;; amdgpu-corpus repo=ROCm/rccl kind=compiled arch=gfx1250 opt=O3
	.amdgcn_target "amdgcn-amd-amdhsa--gfx1250"
	.amdhsa_code_object_version 6
	.text
	.p2align	2                               ; -- Begin function __ockl_fprintf_append_string_n
	.type	__ockl_fprintf_append_string_n,@function
__ockl_fprintf_append_string_n:         ; @__ockl_fprintf_append_string_n
; %bb.0:
	s_wait_loadcnt_dscnt 0x0
	s_wait_kmcnt 0x0
	v_or_b32_e32 v2, 2, v0
	v_cmp_eq_u32_e32 vcc_lo, 0, v6
	v_mbcnt_lo_u32_b32 v30, -1, 0
	s_get_pc_i64 s[0:1]
	s_add_nc_u64 s[0:1], s[0:1], .str.3@rel64+4
	s_mov_b32 s6, 0
	s_cmp_lg_u64 s[0:1], 0
	v_cndmask_b32_e32 v3, v2, v0, vcc_lo
	s_cbranch_scc0 .LBB0_113
; %bb.1:
	s_load_b64 s[2:3], s[8:9], 0x50
	s_delay_alu instid0(VALU_DEP_1) | instskip(SKIP_3) | instid1(VALU_DEP_4)
	v_dual_mov_b32 v7, 0 :: v_dual_bitop2_b32 v0, -3, v3 bitop3:0x40
	v_mov_b64_e32 v[8:9], 0x100000002
	v_mov_b64_e32 v[32:33], s[0:1]
	v_and_b32_e32 v2, 2, v3
	v_mov_b64_e32 v[10:11], v[0:1]
	s_mov_b32 s7, 0
	s_branch .LBB0_3
.LBB0_2:                                ;   in Loop: Header=BB0_3 Depth=1
	s_or_b32 exec_lo, exec_lo, s10
	v_sub_nc_u64_e32 v[4:5], v[4:5], v[34:35]
	v_add_nc_u64_e32 v[32:33], v[32:33], v[34:35]
	s_delay_alu instid0(VALU_DEP_2) | instskip(SKIP_1) | instid1(SALU_CYCLE_1)
	v_cmp_eq_u64_e32 vcc_lo, 0, v[4:5]
	s_or_b32 s7, vcc_lo, s7
	s_and_not1_b32 exec_lo, exec_lo, s7
	s_cbranch_execz .LBB0_85
.LBB0_3:                                ; =>This Loop Header: Depth=1
                                        ;     Child Loop BB0_6 Depth 2
                                        ;     Child Loop BB0_14 Depth 2
	;; [unrolled: 1-line block ×11, first 2 shown]
	v_min_u64 v[34:35], v[4:5], 56
	s_delay_alu instid0(VALU_DEP_3)
	v_add_nc_u64_e32 v[16:17], 8, v[32:33]
	s_mov_b32 s0, exec_lo
	v_cmpx_gt_u64_e32 8, v[4:5]
	s_xor_b32 s4, exec_lo, s0
	s_cbranch_execz .LBB0_9
; %bb.4:                                ;   in Loop: Header=BB0_3 Depth=1
	s_wait_loadcnt 0x0
	v_mov_b64_e32 v[12:13], 0
	s_mov_b32 s5, exec_lo
	v_cmpx_ne_u64_e32 0, v[4:5]
	s_cbranch_execz .LBB0_8
; %bb.5:                                ;   in Loop: Header=BB0_3 Depth=1
	v_mov_b64_e32 v[12:13], 0
	v_mov_b64_e32 v[14:15], v[32:33]
	v_lshlrev_b32_e32 v0, 3, v34
	s_mov_b64 s[0:1], 0
	s_mov_b32 s10, 0
.LBB0_6:                                ;   Parent Loop BB0_3 Depth=1
                                        ; =>  This Inner Loop Header: Depth=2
	global_load_u8 v6, v[14:15], off
	v_mov_b32_e32 v17, s6
	s_wait_xcnt 0x0
	v_add_nc_u64_e32 v[14:15], 1, v[14:15]
	s_wait_loadcnt 0x0
	v_and_b32_e32 v16, 0xffff, v6
	s_delay_alu instid0(VALU_DEP_1) | instskip(SKIP_1) | instid1(SALU_CYCLE_1)
	v_lshlrev_b64_e32 v[16:17], s0, v[16:17]
	s_add_nc_u64 s[0:1], s[0:1], 8
	v_cmp_eq_u32_e32 vcc_lo, s0, v0
	s_delay_alu instid0(VALU_DEP_2) | instskip(NEXT) | instid1(VALU_DEP_3)
	v_or_b32_e32 v13, v17, v13
	v_or_b32_e32 v12, v16, v12
	s_or_b32 s10, vcc_lo, s10
	s_delay_alu instid0(SALU_CYCLE_1)
	s_and_not1_b32 exec_lo, exec_lo, s10
	s_cbranch_execnz .LBB0_6
; %bb.7:                                ;   in Loop: Header=BB0_3 Depth=1
	s_or_b32 exec_lo, exec_lo, s10
.LBB0_8:                                ;   in Loop: Header=BB0_3 Depth=1
	s_delay_alu instid0(SALU_CYCLE_1)
	s_or_b32 exec_lo, exec_lo, s5
	v_mov_b64_e32 v[16:17], v[32:33]
.LBB0_9:                                ;   in Loop: Header=BB0_3 Depth=1
	s_or_saveexec_b32 s0, s4
	v_mov_b32_e32 v0, 0
	s_xor_b32 exec_lo, exec_lo, s0
	s_cbranch_execz .LBB0_11
; %bb.10:                               ;   in Loop: Header=BB0_3 Depth=1
	s_wait_loadcnt 0x0
	global_load_b64 v[12:13], v[32:33], off
	v_add_nc_u32_e32 v0, -8, v34
.LBB0_11:                               ;   in Loop: Header=BB0_3 Depth=1
	s_wait_xcnt 0x0
	s_or_b32 exec_lo, exec_lo, s0
	v_add_nc_u64_e32 v[18:19], 8, v[16:17]
                                        ; implicit-def: $vgpr14_vgpr15
	s_mov_b32 s0, exec_lo
	v_cmpx_gt_u32_e32 8, v0
	s_xor_b32 s10, exec_lo, s0
	s_cbranch_execz .LBB0_17
; %bb.12:                               ;   in Loop: Header=BB0_3 Depth=1
	v_mov_b64_e32 v[14:15], 0
	s_mov_b32 s11, exec_lo
	v_cmpx_ne_u32_e32 0, v0
	s_cbranch_execz .LBB0_16
; %bb.13:                               ;   in Loop: Header=BB0_3 Depth=1
	v_mov_b64_e32 v[14:15], 0
	s_mov_b64 s[0:1], 0
	s_mov_b32 s12, 0
	s_mov_b64 s[4:5], 0
.LBB0_14:                               ;   Parent Loop BB0_3 Depth=1
                                        ; =>  This Inner Loop Header: Depth=2
	s_delay_alu instid0(SALU_CYCLE_1) | instskip(SKIP_1) | instid1(SALU_CYCLE_1)
	v_add_nc_u64_e32 v[18:19], s[4:5], v[16:17]
	s_add_nc_u64 s[4:5], s[4:5], 1
	v_cmp_eq_u32_e32 vcc_lo, s4, v0
	global_load_u8 v6, v[18:19], off
	s_wait_xcnt 0x0
	v_mov_b32_e32 v19, s6
	s_or_b32 s12, vcc_lo, s12
	s_wait_loadcnt 0x0
	v_and_b32_e32 v18, 0xffff, v6
	s_delay_alu instid0(VALU_DEP_1) | instskip(SKIP_1) | instid1(VALU_DEP_1)
	v_lshlrev_b64_e32 v[18:19], s0, v[18:19]
	s_add_nc_u64 s[0:1], s[0:1], 8
	v_or_b32_e32 v15, v19, v15
	s_delay_alu instid0(VALU_DEP_2)
	v_or_b32_e32 v14, v18, v14
	s_and_not1_b32 exec_lo, exec_lo, s12
	s_cbranch_execnz .LBB0_14
; %bb.15:                               ;   in Loop: Header=BB0_3 Depth=1
	s_or_b32 exec_lo, exec_lo, s12
.LBB0_16:                               ;   in Loop: Header=BB0_3 Depth=1
	s_delay_alu instid0(SALU_CYCLE_1)
	s_or_b32 exec_lo, exec_lo, s11
	v_mov_b64_e32 v[18:19], v[16:17]
                                        ; implicit-def: $vgpr0
.LBB0_17:                               ;   in Loop: Header=BB0_3 Depth=1
	s_or_saveexec_b32 s0, s10
	v_mov_b32_e32 v6, 0
	s_xor_b32 exec_lo, exec_lo, s0
	s_cbranch_execz .LBB0_19
; %bb.18:                               ;   in Loop: Header=BB0_3 Depth=1
	global_load_b64 v[14:15], v[16:17], off
	v_add_nc_u32_e32 v6, -8, v0
.LBB0_19:                               ;   in Loop: Header=BB0_3 Depth=1
	s_wait_xcnt 0x0
	s_or_b32 exec_lo, exec_lo, s0
	v_add_nc_u64_e32 v[20:21], 8, v[18:19]
	s_mov_b32 s0, exec_lo
	v_cmpx_gt_u32_e32 8, v6
	s_xor_b32 s10, exec_lo, s0
	s_cbranch_execz .LBB0_25
; %bb.20:                               ;   in Loop: Header=BB0_3 Depth=1
	v_mov_b64_e32 v[16:17], 0
	s_mov_b32 s11, exec_lo
	v_cmpx_ne_u32_e32 0, v6
	s_cbranch_execz .LBB0_24
; %bb.21:                               ;   in Loop: Header=BB0_3 Depth=1
	v_mov_b64_e32 v[16:17], 0
	s_mov_b64 s[0:1], 0
	s_mov_b32 s12, 0
	s_mov_b64 s[4:5], 0
.LBB0_22:                               ;   Parent Loop BB0_3 Depth=1
                                        ; =>  This Inner Loop Header: Depth=2
	s_delay_alu instid0(SALU_CYCLE_1) | instskip(SKIP_1) | instid1(SALU_CYCLE_1)
	v_add_nc_u64_e32 v[20:21], s[4:5], v[18:19]
	s_add_nc_u64 s[4:5], s[4:5], 1
	v_cmp_eq_u32_e32 vcc_lo, s4, v6
	global_load_u8 v0, v[20:21], off
	s_wait_xcnt 0x0
	v_mov_b32_e32 v21, s6
	s_or_b32 s12, vcc_lo, s12
	s_wait_loadcnt 0x0
	v_and_b32_e32 v20, 0xffff, v0
	s_delay_alu instid0(VALU_DEP_1) | instskip(SKIP_1) | instid1(VALU_DEP_1)
	v_lshlrev_b64_e32 v[20:21], s0, v[20:21]
	s_add_nc_u64 s[0:1], s[0:1], 8
	v_or_b32_e32 v17, v21, v17
	s_delay_alu instid0(VALU_DEP_2)
	v_or_b32_e32 v16, v20, v16
	s_and_not1_b32 exec_lo, exec_lo, s12
	s_cbranch_execnz .LBB0_22
; %bb.23:                               ;   in Loop: Header=BB0_3 Depth=1
	s_or_b32 exec_lo, exec_lo, s12
.LBB0_24:                               ;   in Loop: Header=BB0_3 Depth=1
	s_delay_alu instid0(SALU_CYCLE_1)
	s_or_b32 exec_lo, exec_lo, s11
	v_mov_b64_e32 v[20:21], v[18:19]
                                        ; implicit-def: $vgpr6
.LBB0_25:                               ;   in Loop: Header=BB0_3 Depth=1
	s_or_saveexec_b32 s0, s10
	v_mov_b32_e32 v0, 0
	s_xor_b32 exec_lo, exec_lo, s0
	s_cbranch_execz .LBB0_27
; %bb.26:                               ;   in Loop: Header=BB0_3 Depth=1
	global_load_b64 v[16:17], v[18:19], off
	v_add_nc_u32_e32 v0, -8, v6
.LBB0_27:                               ;   in Loop: Header=BB0_3 Depth=1
	s_wait_xcnt 0x0
	s_or_b32 exec_lo, exec_lo, s0
	v_add_nc_u64_e32 v[22:23], 8, v[20:21]
                                        ; implicit-def: $vgpr18_vgpr19
	s_mov_b32 s0, exec_lo
	v_cmpx_gt_u32_e32 8, v0
	s_xor_b32 s10, exec_lo, s0
	s_cbranch_execz .LBB0_33
; %bb.28:                               ;   in Loop: Header=BB0_3 Depth=1
	v_mov_b64_e32 v[18:19], 0
	s_mov_b32 s11, exec_lo
	v_cmpx_ne_u32_e32 0, v0
	s_cbranch_execz .LBB0_32
; %bb.29:                               ;   in Loop: Header=BB0_3 Depth=1
	v_mov_b64_e32 v[18:19], 0
	s_mov_b64 s[0:1], 0
	s_mov_b32 s12, 0
	s_mov_b64 s[4:5], 0
.LBB0_30:                               ;   Parent Loop BB0_3 Depth=1
                                        ; =>  This Inner Loop Header: Depth=2
	s_delay_alu instid0(SALU_CYCLE_1) | instskip(SKIP_1) | instid1(SALU_CYCLE_1)
	v_add_nc_u64_e32 v[22:23], s[4:5], v[20:21]
	s_add_nc_u64 s[4:5], s[4:5], 1
	v_cmp_eq_u32_e32 vcc_lo, s4, v0
	global_load_u8 v6, v[22:23], off
	s_wait_xcnt 0x0
	v_mov_b32_e32 v23, s6
	s_or_b32 s12, vcc_lo, s12
	s_wait_loadcnt 0x0
	v_and_b32_e32 v22, 0xffff, v6
	s_delay_alu instid0(VALU_DEP_1) | instskip(SKIP_1) | instid1(VALU_DEP_1)
	v_lshlrev_b64_e32 v[22:23], s0, v[22:23]
	s_add_nc_u64 s[0:1], s[0:1], 8
	v_or_b32_e32 v19, v23, v19
	s_delay_alu instid0(VALU_DEP_2)
	v_or_b32_e32 v18, v22, v18
	s_and_not1_b32 exec_lo, exec_lo, s12
	s_cbranch_execnz .LBB0_30
; %bb.31:                               ;   in Loop: Header=BB0_3 Depth=1
	s_or_b32 exec_lo, exec_lo, s12
.LBB0_32:                               ;   in Loop: Header=BB0_3 Depth=1
	s_delay_alu instid0(SALU_CYCLE_1)
	s_or_b32 exec_lo, exec_lo, s11
	v_mov_b64_e32 v[22:23], v[20:21]
                                        ; implicit-def: $vgpr0
.LBB0_33:                               ;   in Loop: Header=BB0_3 Depth=1
	s_or_saveexec_b32 s0, s10
	v_mov_b32_e32 v6, 0
	s_xor_b32 exec_lo, exec_lo, s0
	s_cbranch_execz .LBB0_35
; %bb.34:                               ;   in Loop: Header=BB0_3 Depth=1
	global_load_b64 v[18:19], v[20:21], off
	v_add_nc_u32_e32 v6, -8, v0
.LBB0_35:                               ;   in Loop: Header=BB0_3 Depth=1
	s_wait_xcnt 0x0
	s_or_b32 exec_lo, exec_lo, s0
	v_add_nc_u64_e32 v[24:25], 8, v[22:23]
	s_mov_b32 s0, exec_lo
	v_cmpx_gt_u32_e32 8, v6
	s_xor_b32 s10, exec_lo, s0
	s_cbranch_execz .LBB0_41
; %bb.36:                               ;   in Loop: Header=BB0_3 Depth=1
	v_mov_b64_e32 v[20:21], 0
	s_mov_b32 s11, exec_lo
	v_cmpx_ne_u32_e32 0, v6
	s_cbranch_execz .LBB0_40
; %bb.37:                               ;   in Loop: Header=BB0_3 Depth=1
	v_mov_b64_e32 v[20:21], 0
	s_mov_b64 s[0:1], 0
	s_mov_b32 s12, 0
	s_mov_b64 s[4:5], 0
.LBB0_38:                               ;   Parent Loop BB0_3 Depth=1
                                        ; =>  This Inner Loop Header: Depth=2
	s_delay_alu instid0(SALU_CYCLE_1) | instskip(SKIP_1) | instid1(SALU_CYCLE_1)
	v_add_nc_u64_e32 v[24:25], s[4:5], v[22:23]
	s_add_nc_u64 s[4:5], s[4:5], 1
	v_cmp_eq_u32_e32 vcc_lo, s4, v6
	global_load_u8 v0, v[24:25], off
	s_wait_xcnt 0x0
	v_mov_b32_e32 v25, s6
	s_or_b32 s12, vcc_lo, s12
	s_wait_loadcnt 0x0
	v_and_b32_e32 v24, 0xffff, v0
	s_delay_alu instid0(VALU_DEP_1) | instskip(SKIP_1) | instid1(VALU_DEP_1)
	v_lshlrev_b64_e32 v[24:25], s0, v[24:25]
	s_add_nc_u64 s[0:1], s[0:1], 8
	v_or_b32_e32 v21, v25, v21
	s_delay_alu instid0(VALU_DEP_2)
	v_or_b32_e32 v20, v24, v20
	s_and_not1_b32 exec_lo, exec_lo, s12
	s_cbranch_execnz .LBB0_38
; %bb.39:                               ;   in Loop: Header=BB0_3 Depth=1
	s_or_b32 exec_lo, exec_lo, s12
.LBB0_40:                               ;   in Loop: Header=BB0_3 Depth=1
	s_delay_alu instid0(SALU_CYCLE_1)
	s_or_b32 exec_lo, exec_lo, s11
	v_mov_b64_e32 v[24:25], v[22:23]
                                        ; implicit-def: $vgpr6
.LBB0_41:                               ;   in Loop: Header=BB0_3 Depth=1
	s_or_saveexec_b32 s0, s10
	v_mov_b32_e32 v0, 0
	s_xor_b32 exec_lo, exec_lo, s0
	s_cbranch_execz .LBB0_43
; %bb.42:                               ;   in Loop: Header=BB0_3 Depth=1
	global_load_b64 v[20:21], v[22:23], off
	v_add_nc_u32_e32 v0, -8, v6
.LBB0_43:                               ;   in Loop: Header=BB0_3 Depth=1
	s_wait_xcnt 0x0
	s_or_b32 exec_lo, exec_lo, s0
	v_add_nc_u64_e32 v[26:27], 8, v[24:25]
                                        ; implicit-def: $vgpr22_vgpr23
	s_mov_b32 s0, exec_lo
	v_cmpx_gt_u32_e32 8, v0
	s_xor_b32 s10, exec_lo, s0
	s_cbranch_execz .LBB0_49
; %bb.44:                               ;   in Loop: Header=BB0_3 Depth=1
	v_mov_b64_e32 v[22:23], 0
	s_mov_b32 s11, exec_lo
	v_cmpx_ne_u32_e32 0, v0
	s_cbranch_execz .LBB0_48
; %bb.45:                               ;   in Loop: Header=BB0_3 Depth=1
	v_mov_b64_e32 v[22:23], 0
	s_mov_b64 s[0:1], 0
	s_mov_b32 s12, 0
	s_mov_b64 s[4:5], 0
.LBB0_46:                               ;   Parent Loop BB0_3 Depth=1
                                        ; =>  This Inner Loop Header: Depth=2
	s_delay_alu instid0(SALU_CYCLE_1) | instskip(SKIP_1) | instid1(SALU_CYCLE_1)
	v_add_nc_u64_e32 v[26:27], s[4:5], v[24:25]
	s_add_nc_u64 s[4:5], s[4:5], 1
	v_cmp_eq_u32_e32 vcc_lo, s4, v0
	global_load_u8 v6, v[26:27], off
	s_wait_xcnt 0x0
	v_mov_b32_e32 v27, s6
	s_or_b32 s12, vcc_lo, s12
	s_wait_loadcnt 0x0
	v_and_b32_e32 v26, 0xffff, v6
	s_delay_alu instid0(VALU_DEP_1) | instskip(SKIP_1) | instid1(VALU_DEP_1)
	v_lshlrev_b64_e32 v[26:27], s0, v[26:27]
	s_add_nc_u64 s[0:1], s[0:1], 8
	v_or_b32_e32 v23, v27, v23
	s_delay_alu instid0(VALU_DEP_2)
	v_or_b32_e32 v22, v26, v22
	s_and_not1_b32 exec_lo, exec_lo, s12
	s_cbranch_execnz .LBB0_46
; %bb.47:                               ;   in Loop: Header=BB0_3 Depth=1
	s_or_b32 exec_lo, exec_lo, s12
.LBB0_48:                               ;   in Loop: Header=BB0_3 Depth=1
	s_delay_alu instid0(SALU_CYCLE_1)
	s_or_b32 exec_lo, exec_lo, s11
	v_mov_b64_e32 v[26:27], v[24:25]
                                        ; implicit-def: $vgpr0
.LBB0_49:                               ;   in Loop: Header=BB0_3 Depth=1
	s_or_saveexec_b32 s0, s10
	v_mov_b32_e32 v6, 0
	s_xor_b32 exec_lo, exec_lo, s0
	s_cbranch_execz .LBB0_51
; %bb.50:                               ;   in Loop: Header=BB0_3 Depth=1
	global_load_b64 v[22:23], v[24:25], off
	v_add_nc_u32_e32 v6, -8, v0
.LBB0_51:                               ;   in Loop: Header=BB0_3 Depth=1
	s_wait_xcnt 0x0
	s_or_b32 exec_lo, exec_lo, s0
	s_delay_alu instid0(SALU_CYCLE_1) | instskip(NEXT) | instid1(VALU_DEP_1)
	s_mov_b32 s0, exec_lo
	v_cmpx_gt_u32_e32 8, v6
	s_xor_b32 s4, exec_lo, s0
	s_cbranch_execz .LBB0_57
; %bb.52:                               ;   in Loop: Header=BB0_3 Depth=1
	v_mov_b64_e32 v[24:25], 0
	s_mov_b32 s5, exec_lo
	v_cmpx_ne_u32_e32 0, v6
	s_cbranch_execz .LBB0_56
; %bb.53:                               ;   in Loop: Header=BB0_3 Depth=1
	v_mov_b64_e32 v[24:25], 0
	s_mov_b64 s[0:1], 0
	s_mov_b32 s10, 0
.LBB0_54:                               ;   Parent Loop BB0_3 Depth=1
                                        ; =>  This Inner Loop Header: Depth=2
	global_load_u8 v0, v[26:27], off
	v_dual_mov_b32 v29, s6 :: v_dual_add_nc_u32 v6, -1, v6
	s_wait_xcnt 0x0
	v_add_nc_u64_e32 v[26:27], 1, v[26:27]
	s_delay_alu instid0(VALU_DEP_2) | instskip(SKIP_3) | instid1(VALU_DEP_1)
	v_cmp_eq_u32_e32 vcc_lo, 0, v6
	s_or_b32 s10, vcc_lo, s10
	s_wait_loadcnt 0x0
	v_and_b32_e32 v28, 0xffff, v0
	v_lshlrev_b64_e32 v[28:29], s0, v[28:29]
	s_add_nc_u64 s[0:1], s[0:1], 8
	s_delay_alu instid0(VALU_DEP_1) | instskip(NEXT) | instid1(VALU_DEP_2)
	v_or_b32_e32 v25, v29, v25
	v_or_b32_e32 v24, v28, v24
	s_and_not1_b32 exec_lo, exec_lo, s10
	s_cbranch_execnz .LBB0_54
; %bb.55:                               ;   in Loop: Header=BB0_3 Depth=1
	s_or_b32 exec_lo, exec_lo, s10
.LBB0_56:                               ;   in Loop: Header=BB0_3 Depth=1
	s_delay_alu instid0(SALU_CYCLE_1)
	s_or_b32 exec_lo, exec_lo, s5
                                        ; implicit-def: $vgpr26_vgpr27
.LBB0_57:                               ;   in Loop: Header=BB0_3 Depth=1
	s_and_not1_saveexec_b32 s0, s4
	s_cbranch_execz .LBB0_59
; %bb.58:                               ;   in Loop: Header=BB0_3 Depth=1
	global_load_b64 v[24:25], v[26:27], off
.LBB0_59:                               ;   in Loop: Header=BB0_3 Depth=1
	s_wait_xcnt 0x0
	s_or_b32 exec_lo, exec_lo, s0
	v_readfirstlane_b32 s0, v30
	v_mov_b64_e32 v[36:37], 0
	s_delay_alu instid0(VALU_DEP_2)
	v_cmp_eq_u32_e64 s0, s0, v30
	s_and_saveexec_b32 s1, s0
	s_cbranch_execz .LBB0_65
; %bb.60:                               ;   in Loop: Header=BB0_3 Depth=1
	s_wait_kmcnt 0x0
	global_load_b64 v[28:29], v7, s[2:3] offset:24 scope:SCOPE_SYS
	s_wait_loadcnt 0x0
	global_inv scope:SCOPE_SYS
	s_clause 0x1
	global_load_b64 v[26:27], v7, s[2:3] offset:40
	global_load_b64 v[36:37], v7, s[2:3]
	s_mov_b32 s4, exec_lo
	s_wait_loadcnt 0x1
	v_and_b32_e32 v26, v26, v28
	v_and_b32_e32 v27, v27, v29
	s_delay_alu instid0(VALU_DEP_1) | instskip(SKIP_1) | instid1(VALU_DEP_1)
	v_mul_u64_e32 v[26:27], 24, v[26:27]
	s_wait_loadcnt 0x0
	v_add_nc_u64_e32 v[26:27], v[36:37], v[26:27]
	global_load_b64 v[26:27], v[26:27], off scope:SCOPE_SYS
	s_wait_xcnt 0x0
	s_wait_loadcnt 0x0
	global_atomic_cmpswap_b64 v[36:37], v7, v[26:29], s[2:3] offset:24 th:TH_ATOMIC_RETURN scope:SCOPE_SYS
	s_wait_loadcnt 0x0
	global_inv scope:SCOPE_SYS
	s_wait_xcnt 0x0
	v_cmpx_ne_u64_e64 v[36:37], v[28:29]
	s_cbranch_execz .LBB0_64
; %bb.61:                               ;   in Loop: Header=BB0_3 Depth=1
	s_mov_b32 s5, 0
.LBB0_62:                               ;   Parent Loop BB0_3 Depth=1
                                        ; =>  This Inner Loop Header: Depth=2
	s_sleep 1
	s_clause 0x1
	global_load_b64 v[26:27], v7, s[2:3] offset:40
	global_load_b64 v[38:39], v7, s[2:3]
	v_mov_b64_e32 v[28:29], v[36:37]
	s_wait_loadcnt 0x1
	s_delay_alu instid0(VALU_DEP_1) | instskip(SKIP_1) | instid1(VALU_DEP_1)
	v_and_b32_e32 v0, v26, v28
	s_wait_loadcnt 0x0
	v_mad_nc_u64_u32 v[36:37], v0, 24, v[38:39]
	s_delay_alu instid0(VALU_DEP_3) | instskip(NEXT) | instid1(VALU_DEP_1)
	v_and_b32_e32 v0, v27, v29
	v_mad_u32 v37, v0, 24, v37
	global_load_b64 v[26:27], v[36:37], off scope:SCOPE_SYS
	s_wait_xcnt 0x0
	s_wait_loadcnt 0x0
	global_atomic_cmpswap_b64 v[36:37], v7, v[26:29], s[2:3] offset:24 th:TH_ATOMIC_RETURN scope:SCOPE_SYS
	s_wait_loadcnt 0x0
	global_inv scope:SCOPE_SYS
	v_cmp_eq_u64_e32 vcc_lo, v[36:37], v[28:29]
	s_or_b32 s5, vcc_lo, s5
	s_wait_xcnt 0x0
	s_and_not1_b32 exec_lo, exec_lo, s5
	s_cbranch_execnz .LBB0_62
; %bb.63:                               ;   in Loop: Header=BB0_3 Depth=1
	s_or_b32 exec_lo, exec_lo, s5
.LBB0_64:                               ;   in Loop: Header=BB0_3 Depth=1
	s_delay_alu instid0(SALU_CYCLE_1)
	s_or_b32 exec_lo, exec_lo, s4
.LBB0_65:                               ;   in Loop: Header=BB0_3 Depth=1
	s_delay_alu instid0(SALU_CYCLE_1)
	s_or_b32 exec_lo, exec_lo, s1
	s_wait_kmcnt 0x0
	s_clause 0x1
	global_load_b64 v[38:39], v7, s[2:3] offset:40
	global_load_b128 v[26:29], v7, s[2:3]
	v_readfirstlane_b32 s4, v36
	v_readfirstlane_b32 s5, v37
	s_mov_b32 s1, exec_lo
	s_wait_loadcnt 0x1
	v_and_b32_e32 v38, s4, v38
	v_and_b32_e32 v39, s5, v39
	s_delay_alu instid0(VALU_DEP_1) | instskip(SKIP_1) | instid1(VALU_DEP_1)
	v_mul_u64_e32 v[36:37], 24, v[38:39]
	s_wait_loadcnt 0x0
	v_add_nc_u64_e32 v[36:37], v[26:27], v[36:37]
	s_wait_xcnt 0x0
	s_and_saveexec_b32 s10, s0
	s_cbranch_execz .LBB0_67
; %bb.66:                               ;   in Loop: Header=BB0_3 Depth=1
	v_mov_b32_e32 v6, s1
	global_store_b128 v[36:37], v[6:9], off offset:8
.LBB0_67:                               ;   in Loop: Header=BB0_3 Depth=1
	s_wait_xcnt 0x0
	s_or_b32 exec_lo, exec_lo, s10
	v_cmp_gt_u64_e32 vcc_lo, 57, v[4:5]
	v_lshlrev_b64_e32 v[38:39], 12, v[38:39]
	v_and_b32_e32 v6, 0xffffff1f, v10
	v_lshl_add_u32 v10, v34, 2, 28
	v_cndmask_b32_e32 v0, 0, v2, vcc_lo
	s_delay_alu instid0(VALU_DEP_4) | instskip(NEXT) | instid1(VALU_DEP_2)
	v_add_nc_u64_e32 v[28:29], v[28:29], v[38:39]
	v_dual_lshlrev_b32 v6, 6, v30 :: v_dual_bitop2_b32 v0, v6, v0 bitop3:0x54
	s_delay_alu instid0(VALU_DEP_2) | instskip(NEXT) | instid1(VALU_DEP_3)
	v_readfirstlane_b32 s10, v28
	v_readfirstlane_b32 s11, v29
	s_delay_alu instid0(VALU_DEP_3)
	v_and_or_b32 v10, 0x1e0, v10, v0
	s_clause 0x3
	global_store_b128 v6, v[10:13], s[10:11]
	global_store_b128 v6, v[14:17], s[10:11] offset:16
	global_store_b128 v6, v[18:21], s[10:11] offset:32
	;; [unrolled: 1-line block ×3, first 2 shown]
	s_wait_xcnt 0x0
	s_and_saveexec_b32 s1, s0
	s_cbranch_execz .LBB0_75
; %bb.68:                               ;   in Loop: Header=BB0_3 Depth=1
	s_clause 0x1
	global_load_b64 v[18:19], v7, s[2:3] offset:32 scope:SCOPE_SYS
	global_load_b64 v[10:11], v7, s[2:3] offset:40
	s_mov_b32 s10, exec_lo
	v_dual_mov_b32 v16, s4 :: v_dual_mov_b32 v17, s5
	s_wait_loadcnt 0x0
	v_and_b32_e32 v11, s5, v11
	v_and_b32_e32 v10, s4, v10
	s_delay_alu instid0(VALU_DEP_1) | instskip(NEXT) | instid1(VALU_DEP_1)
	v_mul_u64_e32 v[10:11], 24, v[10:11]
	v_add_nc_u64_e32 v[14:15], v[26:27], v[10:11]
	global_store_b64 v[14:15], v[18:19], off
	global_wb scope:SCOPE_SYS
	s_wait_storecnt 0x0
	s_wait_xcnt 0x0
	global_atomic_cmpswap_b64 v[12:13], v7, v[16:19], s[2:3] offset:32 th:TH_ATOMIC_RETURN scope:SCOPE_SYS
	s_wait_loadcnt 0x0
	v_cmpx_ne_u64_e64 v[12:13], v[18:19]
	s_cbranch_execz .LBB0_71
; %bb.69:                               ;   in Loop: Header=BB0_3 Depth=1
	s_mov_b32 s11, 0
.LBB0_70:                               ;   Parent Loop BB0_3 Depth=1
                                        ; =>  This Inner Loop Header: Depth=2
	v_dual_mov_b32 v10, s4 :: v_dual_mov_b32 v11, s5
	s_sleep 1
	global_store_b64 v[14:15], v[12:13], off
	global_wb scope:SCOPE_SYS
	s_wait_storecnt 0x0
	s_wait_xcnt 0x0
	global_atomic_cmpswap_b64 v[10:11], v7, v[10:13], s[2:3] offset:32 th:TH_ATOMIC_RETURN scope:SCOPE_SYS
	s_wait_loadcnt 0x0
	v_cmp_eq_u64_e32 vcc_lo, v[10:11], v[12:13]
	v_mov_b64_e32 v[12:13], v[10:11]
	s_or_b32 s11, vcc_lo, s11
	s_delay_alu instid0(SALU_CYCLE_1)
	s_and_not1_b32 exec_lo, exec_lo, s11
	s_cbranch_execnz .LBB0_70
.LBB0_71:                               ;   in Loop: Header=BB0_3 Depth=1
	s_or_b32 exec_lo, exec_lo, s10
	global_load_b64 v[10:11], v7, s[2:3] offset:16
	s_mov_b32 s11, exec_lo
	s_mov_b32 s10, exec_lo
	v_mbcnt_lo_u32_b32 v0, s11, 0
	s_wait_xcnt 0x0
	s_delay_alu instid0(VALU_DEP_1)
	v_cmpx_eq_u32_e32 0, v0
	s_cbranch_execz .LBB0_73
; %bb.72:                               ;   in Loop: Header=BB0_3 Depth=1
	s_bcnt1_i32_b32 s11, s11
	s_delay_alu instid0(SALU_CYCLE_1)
	v_dual_mov_b32 v13, v7 :: v_dual_mov_b32 v12, s11
	global_wb scope:SCOPE_SYS
	s_wait_loadcnt 0x0
	s_wait_storecnt 0x0
	global_atomic_add_u64 v[10:11], v[12:13], off offset:8 scope:SCOPE_SYS
.LBB0_73:                               ;   in Loop: Header=BB0_3 Depth=1
	s_wait_xcnt 0x0
	s_or_b32 exec_lo, exec_lo, s10
	s_wait_loadcnt 0x0
	global_load_b64 v[12:13], v[10:11], off offset:16
	s_wait_loadcnt 0x0
	v_cmp_eq_u64_e32 vcc_lo, 0, v[12:13]
	s_cbranch_vccnz .LBB0_75
; %bb.74:                               ;   in Loop: Header=BB0_3 Depth=1
	global_load_b32 v10, v[10:11], off offset:24
	s_wait_xcnt 0x0
	v_mov_b32_e32 v11, v7
	s_wait_loadcnt 0x0
	v_readfirstlane_b32 s10, v10
	global_wb scope:SCOPE_SYS
	s_wait_storecnt 0x0
	global_store_b64 v[12:13], v[10:11], off scope:SCOPE_SYS
	s_and_b32 m0, s10, 0xffffff
	s_sendmsg sendmsg(MSG_INTERRUPT)
.LBB0_75:                               ;   in Loop: Header=BB0_3 Depth=1
	s_wait_xcnt 0x0
	s_or_b32 exec_lo, exec_lo, s1
	v_add_nc_u64_e32 v[10:11], v[28:29], v[6:7]
	s_branch .LBB0_79
.LBB0_76:                               ;   in Loop: Header=BB0_79 Depth=2
	s_wait_xcnt 0x0
	s_or_b32 exec_lo, exec_lo, s1
	s_delay_alu instid0(VALU_DEP_1)
	v_readfirstlane_b32 s1, v0
	s_cmp_eq_u32 s1, 0
	s_cbranch_scc1 .LBB0_78
; %bb.77:                               ;   in Loop: Header=BB0_79 Depth=2
	s_sleep 1
	s_cbranch_execnz .LBB0_79
	s_branch .LBB0_81
.LBB0_78:                               ;   in Loop: Header=BB0_3 Depth=1
	s_branch .LBB0_81
.LBB0_79:                               ;   Parent Loop BB0_3 Depth=1
                                        ; =>  This Inner Loop Header: Depth=2
	v_mov_b32_e32 v0, 1
	s_and_saveexec_b32 s1, s0
	s_cbranch_execz .LBB0_76
; %bb.80:                               ;   in Loop: Header=BB0_79 Depth=2
	global_load_b32 v0, v[36:37], off offset:20 scope:SCOPE_SYS
	s_wait_loadcnt 0x0
	global_inv scope:SCOPE_SYS
	v_and_b32_e32 v0, 1, v0
	s_branch .LBB0_76
.LBB0_81:                               ;   in Loop: Header=BB0_3 Depth=1
	global_load_b128 v[10:13], v[10:11], off
	s_wait_xcnt 0x0
	s_and_saveexec_b32 s10, s0
	s_cbranch_execz .LBB0_2
; %bb.82:                               ;   in Loop: Header=BB0_3 Depth=1
	s_wait_loadcnt 0x0
	s_clause 0x2
	global_load_b64 v[12:13], v7, s[2:3] offset:40
	global_load_b64 v[20:21], v7, s[2:3] offset:24 scope:SCOPE_SYS
	global_load_b64 v[14:15], v7, s[2:3]
	s_wait_loadcnt 0x2
	v_readfirstlane_b32 s12, v12
	v_readfirstlane_b32 s13, v13
	s_add_nc_u64 s[0:1], s[12:13], 1
	s_delay_alu instid0(SALU_CYCLE_1) | instskip(NEXT) | instid1(SALU_CYCLE_1)
	s_add_nc_u64 s[4:5], s[0:1], s[4:5]
	s_cmp_eq_u64 s[4:5], 0
	s_cselect_b32 s1, s1, s5
	s_cselect_b32 s0, s0, s4
	s_delay_alu instid0(SALU_CYCLE_1) | instskip(SKIP_1) | instid1(SALU_CYCLE_1)
	v_dual_mov_b32 v19, s1 :: v_dual_mov_b32 v18, s0
	s_and_b64 s[4:5], s[0:1], s[12:13]
	s_mul_u64 s[4:5], s[4:5], 24
	s_wait_loadcnt 0x0
	v_add_nc_u64_e32 v[16:17], s[4:5], v[14:15]
	global_store_b64 v[16:17], v[20:21], off
	global_wb scope:SCOPE_SYS
	s_wait_storecnt 0x0
	s_wait_xcnt 0x0
	global_atomic_cmpswap_b64 v[14:15], v7, v[18:21], s[2:3] offset:24 th:TH_ATOMIC_RETURN scope:SCOPE_SYS
	s_wait_loadcnt 0x0
	v_cmp_ne_u64_e32 vcc_lo, v[14:15], v[20:21]
	s_and_b32 exec_lo, exec_lo, vcc_lo
	s_cbranch_execz .LBB0_2
; %bb.83:                               ;   in Loop: Header=BB0_3 Depth=1
	s_mov_b32 s4, 0
.LBB0_84:                               ;   Parent Loop BB0_3 Depth=1
                                        ; =>  This Inner Loop Header: Depth=2
	v_dual_mov_b32 v12, s0 :: v_dual_mov_b32 v13, s1
	s_sleep 1
	global_store_b64 v[16:17], v[14:15], off
	global_wb scope:SCOPE_SYS
	s_wait_storecnt 0x0
	s_wait_xcnt 0x0
	global_atomic_cmpswap_b64 v[12:13], v7, v[12:15], s[2:3] offset:24 th:TH_ATOMIC_RETURN scope:SCOPE_SYS
	s_wait_loadcnt 0x0
	v_cmp_eq_u64_e32 vcc_lo, v[12:13], v[14:15]
	v_mov_b64_e32 v[14:15], v[12:13]
	s_or_b32 s4, vcc_lo, s4
	s_delay_alu instid0(SALU_CYCLE_1)
	s_and_not1_b32 exec_lo, exec_lo, s4
	s_cbranch_execnz .LBB0_84
	s_branch .LBB0_2
.LBB0_85:
	s_or_b32 exec_lo, exec_lo, s7
	s_branch .LBB0_114
.LBB0_86:
	s_load_b64 s[2:3], s[8:9], 0x50
	v_readfirstlane_b32 s0, v30
	v_mov_b64_e32 v[8:9], 0
	s_delay_alu instid0(VALU_DEP_2)
	v_cmp_eq_u32_e64 s0, s0, v30
	s_and_saveexec_b32 s1, s0
	s_cbranch_execz .LBB0_92
; %bb.87:
	v_mov_b32_e32 v0, 0
	s_mov_b32 s4, exec_lo
	s_wait_kmcnt 0x0
	global_load_b64 v[6:7], v0, s[2:3] offset:24 scope:SCOPE_SYS
	s_wait_loadcnt 0x0
	global_inv scope:SCOPE_SYS
	s_clause 0x1
	global_load_b64 v[4:5], v0, s[2:3] offset:40
	global_load_b64 v[8:9], v0, s[2:3]
	s_wait_loadcnt 0x1
	v_and_b32_e32 v4, v4, v6
	v_and_b32_e32 v5, v5, v7
	s_delay_alu instid0(VALU_DEP_1) | instskip(SKIP_1) | instid1(VALU_DEP_1)
	v_mul_u64_e32 v[4:5], 24, v[4:5]
	s_wait_loadcnt 0x0
	v_add_nc_u64_e32 v[4:5], v[8:9], v[4:5]
	global_load_b64 v[4:5], v[4:5], off scope:SCOPE_SYS
	s_wait_xcnt 0x0
	s_wait_loadcnt 0x0
	global_atomic_cmpswap_b64 v[8:9], v0, v[4:7], s[2:3] offset:24 th:TH_ATOMIC_RETURN scope:SCOPE_SYS
	s_wait_loadcnt 0x0
	global_inv scope:SCOPE_SYS
	s_wait_xcnt 0x0
	v_cmpx_ne_u64_e64 v[8:9], v[6:7]
	s_cbranch_execz .LBB0_91
; %bb.88:
	s_mov_b32 s5, 0
.LBB0_89:                               ; =>This Inner Loop Header: Depth=1
	s_sleep 1
	s_clause 0x1
	global_load_b64 v[4:5], v0, s[2:3] offset:40
	global_load_b64 v[10:11], v0, s[2:3]
	v_mov_b64_e32 v[6:7], v[8:9]
	s_wait_loadcnt 0x1
	s_delay_alu instid0(VALU_DEP_1) | instskip(SKIP_1) | instid1(VALU_DEP_1)
	v_and_b32_e32 v2, v4, v6
	s_wait_loadcnt 0x0
	v_mad_nc_u64_u32 v[8:9], v2, 24, v[10:11]
	s_delay_alu instid0(VALU_DEP_3) | instskip(NEXT) | instid1(VALU_DEP_1)
	v_and_b32_e32 v2, v5, v7
	v_mad_u32 v9, v2, 24, v9
	global_load_b64 v[4:5], v[8:9], off scope:SCOPE_SYS
	s_wait_xcnt 0x0
	s_wait_loadcnt 0x0
	global_atomic_cmpswap_b64 v[8:9], v0, v[4:7], s[2:3] offset:24 th:TH_ATOMIC_RETURN scope:SCOPE_SYS
	s_wait_loadcnt 0x0
	global_inv scope:SCOPE_SYS
	v_cmp_eq_u64_e32 vcc_lo, v[8:9], v[6:7]
	s_or_b32 s5, vcc_lo, s5
	s_wait_xcnt 0x0
	s_and_not1_b32 exec_lo, exec_lo, s5
	s_cbranch_execnz .LBB0_89
; %bb.90:
	s_or_b32 exec_lo, exec_lo, s5
.LBB0_91:
	s_delay_alu instid0(SALU_CYCLE_1)
	s_or_b32 exec_lo, exec_lo, s4
.LBB0_92:
	s_delay_alu instid0(SALU_CYCLE_1)
	s_or_b32 exec_lo, exec_lo, s1
	v_readfirstlane_b32 s4, v8
	v_mov_b32_e32 v2, 0
	v_readfirstlane_b32 s5, v9
	s_mov_b32 s1, exec_lo
	s_wait_loadcnt 0x0
	s_wait_kmcnt 0x0
	s_clause 0x1
	global_load_b64 v[10:11], v2, s[2:3] offset:40
	global_load_b128 v[4:7], v2, s[2:3]
	s_wait_loadcnt 0x1
	v_and_b32_e32 v10, s4, v10
	v_and_b32_e32 v11, s5, v11
	s_delay_alu instid0(VALU_DEP_1) | instskip(SKIP_1) | instid1(VALU_DEP_1)
	v_mul_u64_e32 v[8:9], 24, v[10:11]
	s_wait_loadcnt 0x0
	v_add_nc_u64_e32 v[8:9], v[4:5], v[8:9]
	s_wait_xcnt 0x0
	s_and_saveexec_b32 s6, s0
	s_cbranch_execz .LBB0_94
; %bb.93:
	v_mov_b64_e32 v[14:15], 0x100000002
	v_dual_mov_b32 v12, s1 :: v_dual_mov_b32 v13, v2
	global_store_b128 v[8:9], v[12:15], off offset:8
.LBB0_94:
	s_wait_xcnt 0x0
	s_or_b32 exec_lo, exec_lo, s6
	v_lshlrev_b64_e32 v[10:11], 12, v[10:11]
	s_mov_b32 s8, 0
	v_and_or_b32 v0, 0xffffff1f, v3, 32
	s_mov_b32 s10, s8
	s_mov_b32 s11, s8
	;; [unrolled: 1-line block ×3, first 2 shown]
	v_dual_mov_b32 v3, v2 :: v_dual_lshlrev_b32 v14, 6, v30
	v_add_nc_u64_e32 v[6:7], v[6:7], v[10:11]
	v_mov_b64_e32 v[12:13], s[10:11]
	v_mov_b64_e32 v[10:11], s[8:9]
	s_delay_alu instid0(VALU_DEP_3) | instskip(NEXT) | instid1(VALU_DEP_4)
	v_readfirstlane_b32 s6, v6
	v_readfirstlane_b32 s7, v7
	s_clause 0x3
	global_store_b128 v14, v[0:3], s[6:7]
	global_store_b128 v14, v[10:13], s[6:7] offset:16
	global_store_b128 v14, v[10:13], s[6:7] offset:32
	;; [unrolled: 1-line block ×3, first 2 shown]
	s_wait_xcnt 0x0
	s_and_saveexec_b32 s1, s0
	s_cbranch_execz .LBB0_102
; %bb.95:
	v_dual_mov_b32 v6, 0 :: v_dual_mov_b32 v11, s5
	s_mov_b32 s6, exec_lo
	s_clause 0x1
	global_load_b64 v[12:13], v6, s[2:3] offset:32 scope:SCOPE_SYS
	global_load_b64 v[0:1], v6, s[2:3] offset:40
	s_wait_loadcnt 0x0
	v_dual_mov_b32 v10, s4 :: v_dual_bitop2_b32 v1, s5, v1 bitop3:0x40
	v_and_b32_e32 v0, s4, v0
	s_delay_alu instid0(VALU_DEP_1) | instskip(NEXT) | instid1(VALU_DEP_1)
	v_mul_u64_e32 v[0:1], 24, v[0:1]
	v_add_nc_u64_e32 v[4:5], v[4:5], v[0:1]
	global_store_b64 v[4:5], v[12:13], off
	global_wb scope:SCOPE_SYS
	s_wait_storecnt 0x0
	s_wait_xcnt 0x0
	global_atomic_cmpswap_b64 v[2:3], v6, v[10:13], s[2:3] offset:32 th:TH_ATOMIC_RETURN scope:SCOPE_SYS
	s_wait_loadcnt 0x0
	v_cmpx_ne_u64_e64 v[2:3], v[12:13]
	s_cbranch_execz .LBB0_98
; %bb.96:
	s_mov_b32 s7, 0
.LBB0_97:                               ; =>This Inner Loop Header: Depth=1
	v_dual_mov_b32 v0, s4 :: v_dual_mov_b32 v1, s5
	s_sleep 1
	global_store_b64 v[4:5], v[2:3], off
	global_wb scope:SCOPE_SYS
	s_wait_storecnt 0x0
	s_wait_xcnt 0x0
	global_atomic_cmpswap_b64 v[0:1], v6, v[0:3], s[2:3] offset:32 th:TH_ATOMIC_RETURN scope:SCOPE_SYS
	s_wait_loadcnt 0x0
	v_cmp_eq_u64_e32 vcc_lo, v[0:1], v[2:3]
	v_mov_b64_e32 v[2:3], v[0:1]
	s_or_b32 s7, vcc_lo, s7
	s_delay_alu instid0(SALU_CYCLE_1)
	s_and_not1_b32 exec_lo, exec_lo, s7
	s_cbranch_execnz .LBB0_97
.LBB0_98:
	s_or_b32 exec_lo, exec_lo, s6
	v_mov_b32_e32 v3, 0
	s_mov_b32 s7, exec_lo
	s_mov_b32 s6, exec_lo
	v_mbcnt_lo_u32_b32 v2, s7, 0
	global_load_b64 v[0:1], v3, s[2:3] offset:16
	s_wait_xcnt 0x0
	v_cmpx_eq_u32_e32 0, v2
	s_cbranch_execz .LBB0_100
; %bb.99:
	s_bcnt1_i32_b32 s7, s7
	s_delay_alu instid0(SALU_CYCLE_1)
	v_mov_b32_e32 v2, s7
	global_wb scope:SCOPE_SYS
	s_wait_loadcnt 0x0
	s_wait_storecnt 0x0
	global_atomic_add_u64 v[0:1], v[2:3], off offset:8 scope:SCOPE_SYS
.LBB0_100:
	s_wait_xcnt 0x0
	s_or_b32 exec_lo, exec_lo, s6
	s_wait_loadcnt 0x0
	global_load_b64 v[2:3], v[0:1], off offset:16
	s_wait_loadcnt 0x0
	v_cmp_eq_u64_e32 vcc_lo, 0, v[2:3]
	s_cbranch_vccnz .LBB0_102
; %bb.101:
	global_load_b32 v0, v[0:1], off offset:24
	s_wait_xcnt 0x0
	v_mov_b32_e32 v1, 0
	s_wait_loadcnt 0x0
	v_readfirstlane_b32 s6, v0
	global_wb scope:SCOPE_SYS
	s_wait_storecnt 0x0
	global_store_b64 v[2:3], v[0:1], off scope:SCOPE_SYS
	s_and_b32 m0, s6, 0xffffff
	s_sendmsg sendmsg(MSG_INTERRUPT)
.LBB0_102:
	s_wait_xcnt 0x0
	s_or_b32 exec_lo, exec_lo, s1
	s_branch .LBB0_106
.LBB0_103:                              ;   in Loop: Header=BB0_106 Depth=1
	s_wait_xcnt 0x0
	s_or_b32 exec_lo, exec_lo, s1
	s_delay_alu instid0(VALU_DEP_1)
	v_readfirstlane_b32 s1, v0
	s_cmp_eq_u32 s1, 0
	s_cbranch_scc1 .LBB0_105
; %bb.104:                              ;   in Loop: Header=BB0_106 Depth=1
	s_sleep 1
	s_cbranch_execnz .LBB0_106
	s_branch .LBB0_108
.LBB0_105:
	s_branch .LBB0_108
.LBB0_106:                              ; =>This Inner Loop Header: Depth=1
	v_mov_b32_e32 v0, 1
	s_and_saveexec_b32 s1, s0
	s_cbranch_execz .LBB0_103
; %bb.107:                              ;   in Loop: Header=BB0_106 Depth=1
	global_load_b32 v0, v[8:9], off offset:20 scope:SCOPE_SYS
	s_wait_loadcnt 0x0
	global_inv scope:SCOPE_SYS
	v_and_b32_e32 v0, 1, v0
	s_branch .LBB0_103
.LBB0_108:
	s_and_saveexec_b32 s6, s0
	s_cbranch_execz .LBB0_112
; %bb.109:
	v_mov_b32_e32 v6, 0
	s_clause 0x2
	global_load_b64 v[0:1], v6, s[2:3] offset:40
	global_load_b64 v[10:11], v6, s[2:3] offset:24 scope:SCOPE_SYS
	global_load_b64 v[2:3], v6, s[2:3]
	s_wait_loadcnt 0x2
	v_readfirstlane_b32 s8, v0
	v_readfirstlane_b32 s9, v1
	s_add_nc_u64 s[0:1], s[8:9], 1
	s_delay_alu instid0(SALU_CYCLE_1) | instskip(NEXT) | instid1(SALU_CYCLE_1)
	s_add_nc_u64 s[4:5], s[0:1], s[4:5]
	s_cmp_eq_u64 s[4:5], 0
	s_cselect_b32 s1, s1, s5
	s_cselect_b32 s0, s0, s4
	v_mov_b32_e32 v9, s1
	s_and_b64 s[4:5], s[0:1], s[8:9]
	v_mov_b32_e32 v8, s0
	s_mul_u64 s[4:5], s[4:5], 24
	s_wait_loadcnt 0x0
	v_add_nc_u64_e32 v[4:5], s[4:5], v[2:3]
	global_store_b64 v[4:5], v[10:11], off
	global_wb scope:SCOPE_SYS
	s_wait_storecnt 0x0
	s_wait_xcnt 0x0
	global_atomic_cmpswap_b64 v[2:3], v6, v[8:11], s[2:3] offset:24 th:TH_ATOMIC_RETURN scope:SCOPE_SYS
	s_wait_loadcnt 0x0
	v_cmp_ne_u64_e32 vcc_lo, v[2:3], v[10:11]
	s_and_b32 exec_lo, exec_lo, vcc_lo
	s_cbranch_execz .LBB0_112
; %bb.110:
	s_mov_b32 s4, 0
.LBB0_111:                              ; =>This Inner Loop Header: Depth=1
	v_dual_mov_b32 v0, s0 :: v_dual_mov_b32 v1, s1
	s_sleep 1
	global_store_b64 v[4:5], v[2:3], off
	global_wb scope:SCOPE_SYS
	s_wait_storecnt 0x0
	s_wait_xcnt 0x0
	global_atomic_cmpswap_b64 v[0:1], v6, v[0:3], s[2:3] offset:24 th:TH_ATOMIC_RETURN scope:SCOPE_SYS
	s_wait_loadcnt 0x0
	v_cmp_eq_u64_e32 vcc_lo, v[0:1], v[2:3]
	v_mov_b64_e32 v[2:3], v[0:1]
	s_or_b32 s4, vcc_lo, s4
	s_delay_alu instid0(SALU_CYCLE_1)
	s_and_not1_b32 exec_lo, exec_lo, s4
	s_cbranch_execnz .LBB0_111
.LBB0_112:
	s_or_b32 exec_lo, exec_lo, s6
	s_wait_loadcnt 0x0
	s_wait_kmcnt 0x0
	s_set_pc_i64 s[30:31]
.LBB0_113:
	s_cbranch_execnz .LBB0_86
.LBB0_114:
	s_wait_loadcnt 0x0
	s_wait_kmcnt 0x0
	s_set_pc_i64 s[30:31]
.Lfunc_end0:
	.size	__ockl_fprintf_append_string_n, .Lfunc_end0-__ockl_fprintf_append_string_n
                                        ; -- End function
	.set .L__ockl_fprintf_append_string_n.num_vgpr, 40
	.set .L__ockl_fprintf_append_string_n.num_agpr, 0
	.set .L__ockl_fprintf_append_string_n.numbered_sgpr, 32
	.set .L__ockl_fprintf_append_string_n.num_named_barrier, 0
	.set .L__ockl_fprintf_append_string_n.private_seg_size, 0
	.set .L__ockl_fprintf_append_string_n.uses_vcc, 1
	.set .L__ockl_fprintf_append_string_n.uses_flat_scratch, 0
	.set .L__ockl_fprintf_append_string_n.has_dyn_sized_stack, 0
	.set .L__ockl_fprintf_append_string_n.has_recursion, 0
	.set .L__ockl_fprintf_append_string_n.has_indirect_call, 0
	.section	.AMDGPU.csdata,"",@progbits
; Function info:
; codeLenInByte = 4324
; TotalNumSgprs: 34
; NumVgprs: 40
; ScratchSize: 0
; MemoryBound: 0
	.text
	.p2align	2                               ; -- Begin function __assert_fail
	.type	__assert_fail,@function
__assert_fail:                          ; @__assert_fail
; %bb.0:
	s_wait_loadcnt_dscnt 0x0
	s_wait_kmcnt 0x0
	s_mov_b32 s20, s33
	s_mov_b32 s33, s32
	s_or_saveexec_b32 s0, -1
	scratch_store_b32 off, v40, s33 offset:48 ; 4-byte Folded Spill
	s_wait_xcnt 0x0
	s_mov_b32 exec_lo, s0
	v_writelane_b32 v40, s30, 0
	s_add_co_i32 s32, s32, 64
	v_writelane_b32 v40, s31, 1
	v_mov_b32_e32 v8, 0
	s_get_pc_i64 s[0:1]
	s_add_nc_u64 s[0:1], s[0:1], __const.__assert_fail.fmt@rel64+35
	v_dual_mov_b32 v5, v1 :: v_dual_mov_b32 v4, v0
	s_get_pc_i64 s[10:11]
	s_add_nc_u64 s[10:11], s[10:11], __const.__assert_fail.fmt@rel64+20
	global_load_b128 v[0:3], v8, s[0:1]
	s_wait_xcnt 0x0
	s_get_pc_i64 s[0:1]
	s_add_nc_u64 s[0:1], s[0:1], __const.__assert_fail.fmt@rel64+4
	s_clause 0x1
	s_load_b128 s[4:7], s[0:1], 0x0
	s_load_b128 s[12:15], s[10:11], 0x0
	s_load_b64 s[2:3], s[8:9], 0x50
	v_mbcnt_lo_u32_b32 v48, -1, 0
	v_mov_b64_e32 v[6:7], 0
	s_wait_xcnt 0x0
	s_delay_alu instid0(VALU_DEP_2) | instskip(NEXT) | instid1(VALU_DEP_1)
	v_readfirstlane_b32 s0, v48
	v_cmp_eq_u32_e64 s0, s0, v48
	s_wait_kmcnt 0x0
	v_mov_b64_e32 v[12:13], s[6:7]
	v_mov_b64_e32 v[10:11], s[4:5]
	;; [unrolled: 1-line block ×4, first 2 shown]
	s_clause 0x1
	scratch_store_b128 off, v[10:13], s33
	scratch_store_b128 off, v[14:17], s33 offset:16
	s_wait_loadcnt 0x0
	scratch_store_b128 off, v[0:3], s33 offset:31
	s_wait_xcnt 0x0
	s_and_saveexec_b32 s1, s0
	s_cbranch_execz .LBB1_6
; %bb.1:
	global_load_b64 v[2:3], v8, s[2:3] offset:24 scope:SCOPE_SYS
	s_wait_loadcnt 0x0
	global_inv scope:SCOPE_SYS
	s_clause 0x1
	global_load_b64 v[0:1], v8, s[2:3] offset:40
	global_load_b64 v[6:7], v8, s[2:3]
	s_mov_b32 s4, exec_lo
	s_wait_loadcnt 0x1
	v_and_b32_e32 v0, v0, v2
	v_and_b32_e32 v1, v1, v3
	s_delay_alu instid0(VALU_DEP_1) | instskip(SKIP_1) | instid1(VALU_DEP_1)
	v_mul_u64_e32 v[0:1], 24, v[0:1]
	s_wait_loadcnt 0x0
	v_add_nc_u64_e32 v[0:1], v[6:7], v[0:1]
	global_load_b64 v[0:1], v[0:1], off scope:SCOPE_SYS
	s_wait_xcnt 0x0
	s_wait_loadcnt 0x0
	global_atomic_cmpswap_b64 v[6:7], v8, v[0:3], s[2:3] offset:24 th:TH_ATOMIC_RETURN scope:SCOPE_SYS
	s_wait_loadcnt 0x0
	global_inv scope:SCOPE_SYS
	s_wait_xcnt 0x0
	v_cmpx_ne_u64_e64 v[6:7], v[2:3]
	s_cbranch_execz .LBB1_5
; %bb.2:
	v_mov_b32_e32 v0, 0
	s_mov_b32 s5, 0
.LBB1_3:                                ; =>This Inner Loop Header: Depth=1
	s_sleep 1
	s_clause 0x1
	global_load_b64 v[2:3], v0, s[2:3] offset:40
	global_load_b64 v[10:11], v0, s[2:3]
	v_mov_b64_e32 v[12:13], v[6:7]
	s_wait_loadcnt 0x1
	s_delay_alu instid0(VALU_DEP_1) | instskip(SKIP_1) | instid1(VALU_DEP_1)
	v_and_b32_e32 v1, v2, v12
	s_wait_loadcnt 0x0
	v_mad_nc_u64_u32 v[6:7], v1, 24, v[10:11]
	s_delay_alu instid0(VALU_DEP_3) | instskip(NEXT) | instid1(VALU_DEP_1)
	v_and_b32_e32 v1, v3, v13
	v_mad_u32 v7, v1, 24, v7
	global_load_b64 v[10:11], v[6:7], off scope:SCOPE_SYS
	s_wait_xcnt 0x0
	s_wait_loadcnt 0x0
	global_atomic_cmpswap_b64 v[6:7], v0, v[10:13], s[2:3] offset:24 th:TH_ATOMIC_RETURN scope:SCOPE_SYS
	s_wait_loadcnt 0x0
	global_inv scope:SCOPE_SYS
	v_cmp_eq_u64_e32 vcc_lo, v[6:7], v[12:13]
	s_or_b32 s5, vcc_lo, s5
	s_wait_xcnt 0x0
	s_and_not1_b32 exec_lo, exec_lo, s5
	s_cbranch_execnz .LBB1_3
; %bb.4:
	s_or_b32 exec_lo, exec_lo, s5
.LBB1_5:
	s_delay_alu instid0(SALU_CYCLE_1)
	s_or_b32 exec_lo, exec_lo, s4
.LBB1_6:
	s_delay_alu instid0(SALU_CYCLE_1)
	s_or_b32 exec_lo, exec_lo, s1
	s_clause 0x1
	global_load_b64 v[10:11], v8, s[2:3] offset:40
	global_load_b128 v[0:3], v8, s[2:3]
	v_readfirstlane_b32 s4, v6
	v_readfirstlane_b32 s5, v7
	s_mov_b32 s1, exec_lo
	s_wait_loadcnt 0x1
	s_wait_xcnt 0x0
	v_and_b32_e32 v8, s4, v10
	v_and_b32_e32 v9, s5, v11
	s_delay_alu instid0(VALU_DEP_1) | instskip(SKIP_1) | instid1(VALU_DEP_1)
	v_mul_u64_e32 v[6:7], 24, v[8:9]
	s_wait_loadcnt 0x0
	v_add_nc_u64_e32 v[6:7], v[0:1], v[6:7]
	s_and_saveexec_b32 s6, s0
	s_cbranch_execz .LBB1_8
; %bb.7:
	v_mov_b64_e32 v[12:13], 0x100000002
	v_dual_mov_b32 v10, s1 :: v_dual_mov_b32 v11, 0
	global_store_b128 v[6:7], v[10:13], off offset:8
.LBB1_8:
	s_wait_xcnt 0x0
	s_or_b32 exec_lo, exec_lo, s6
	v_lshlrev_b64_e32 v[8:9], 12, v[8:9]
	s_mov_b32 s12, 0
	v_dual_mov_b32 v31, 0 :: v_dual_lshlrev_b32 v30, 6, v48
	s_mov_b32 s14, s12
	s_mov_b32 s15, s12
	;; [unrolled: 1-line block ×3, first 2 shown]
	s_delay_alu instid0(VALU_DEP_2)
	v_add_nc_u64_e32 v[8:9], v[2:3], v[8:9]
	v_mov_b64_e32 v[16:17], s[14:15]
	v_mov_b64_e32 v[14:15], s[12:13]
	v_dual_mov_b32 v10, 33 :: v_dual_mov_b32 v12, 1
	v_dual_mov_b32 v11, v31 :: v_dual_mov_b32 v13, v31
	v_readfirstlane_b32 s6, v8
	v_readfirstlane_b32 s7, v9
	s_clause 0x3
	global_store_b128 v30, v[10:13], s[6:7]
	global_store_b128 v30, v[14:17], s[6:7] offset:16
	global_store_b128 v30, v[14:17], s[6:7] offset:32
	;; [unrolled: 1-line block ×3, first 2 shown]
	s_wait_xcnt 0x0
	s_and_saveexec_b32 s1, s0
	s_cbranch_execz .LBB1_16
; %bb.9:
	s_clause 0x1
	global_load_b64 v[14:15], v31, s[2:3] offset:32 scope:SCOPE_SYS
	global_load_b64 v[2:3], v31, s[2:3] offset:40
	s_mov_b32 s6, exec_lo
	v_dual_mov_b32 v12, s4 :: v_dual_mov_b32 v13, s5
	s_wait_loadcnt 0x0
	v_and_b32_e32 v3, s5, v3
	v_and_b32_e32 v2, s4, v2
	s_delay_alu instid0(VALU_DEP_1) | instskip(NEXT) | instid1(VALU_DEP_1)
	v_mul_u64_e32 v[2:3], 24, v[2:3]
	v_add_nc_u64_e32 v[10:11], v[0:1], v[2:3]
	global_store_b64 v[10:11], v[14:15], off
	global_wb scope:SCOPE_SYS
	s_wait_storecnt 0x0
	s_wait_xcnt 0x0
	global_atomic_cmpswap_b64 v[2:3], v31, v[12:15], s[2:3] offset:32 th:TH_ATOMIC_RETURN scope:SCOPE_SYS
	s_wait_loadcnt 0x0
	v_cmpx_ne_u64_e64 v[2:3], v[14:15]
	s_cbranch_execz .LBB1_12
; %bb.10:
	v_mov_b32_e32 v12, 0
	s_mov_b32 s7, 0
.LBB1_11:                               ; =>This Inner Loop Header: Depth=1
	v_dual_mov_b32 v0, s4 :: v_dual_mov_b32 v1, s5
	s_sleep 1
	global_store_b64 v[10:11], v[2:3], off
	global_wb scope:SCOPE_SYS
	s_wait_storecnt 0x0
	s_wait_xcnt 0x0
	global_atomic_cmpswap_b64 v[0:1], v12, v[0:3], s[2:3] offset:32 th:TH_ATOMIC_RETURN scope:SCOPE_SYS
	s_wait_loadcnt 0x0
	v_cmp_eq_u64_e32 vcc_lo, v[0:1], v[2:3]
	v_mov_b64_e32 v[2:3], v[0:1]
	s_or_b32 s7, vcc_lo, s7
	s_delay_alu instid0(SALU_CYCLE_1)
	s_and_not1_b32 exec_lo, exec_lo, s7
	s_cbranch_execnz .LBB1_11
.LBB1_12:
	s_or_b32 exec_lo, exec_lo, s6
	v_mov_b32_e32 v3, 0
	s_mov_b32 s7, exec_lo
	s_mov_b32 s6, exec_lo
	v_mbcnt_lo_u32_b32 v2, s7, 0
	global_load_b64 v[0:1], v3, s[2:3] offset:16
	s_wait_xcnt 0x0
	v_cmpx_eq_u32_e32 0, v2
	s_cbranch_execz .LBB1_14
; %bb.13:
	s_bcnt1_i32_b32 s7, s7
	s_delay_alu instid0(SALU_CYCLE_1)
	v_mov_b32_e32 v2, s7
	global_wb scope:SCOPE_SYS
	s_wait_loadcnt 0x0
	s_wait_storecnt 0x0
	global_atomic_add_u64 v[0:1], v[2:3], off offset:8 scope:SCOPE_SYS
.LBB1_14:
	s_wait_xcnt 0x0
	s_or_b32 exec_lo, exec_lo, s6
	s_wait_loadcnt 0x0
	global_load_b64 v[2:3], v[0:1], off offset:16
	s_wait_loadcnt 0x0
	v_cmp_eq_u64_e32 vcc_lo, 0, v[2:3]
	s_cbranch_vccnz .LBB1_16
; %bb.15:
	global_load_b32 v0, v[0:1], off offset:24
	s_wait_xcnt 0x0
	v_mov_b32_e32 v1, 0
	s_wait_loadcnt 0x0
	v_readfirstlane_b32 s6, v0
	global_wb scope:SCOPE_SYS
	s_wait_storecnt 0x0
	global_store_b64 v[2:3], v[0:1], off scope:SCOPE_SYS
	s_and_b32 m0, s6, 0xffffff
	s_sendmsg sendmsg(MSG_INTERRUPT)
.LBB1_16:
	s_wait_xcnt 0x0
	s_or_b32 exec_lo, exec_lo, s1
	v_add_nc_u64_e32 v[0:1], v[8:9], v[30:31]
	s_branch .LBB1_20
.LBB1_17:                               ;   in Loop: Header=BB1_20 Depth=1
	s_wait_xcnt 0x0
	s_or_b32 exec_lo, exec_lo, s1
	s_delay_alu instid0(VALU_DEP_1)
	v_readfirstlane_b32 s1, v2
	s_cmp_eq_u32 s1, 0
	s_cbranch_scc1 .LBB1_19
; %bb.18:                               ;   in Loop: Header=BB1_20 Depth=1
	s_sleep 1
	s_cbranch_execnz .LBB1_20
	s_branch .LBB1_22
.LBB1_19:
	s_branch .LBB1_22
.LBB1_20:                               ; =>This Inner Loop Header: Depth=1
	v_mov_b32_e32 v2, 1
	s_and_saveexec_b32 s1, s0
	s_cbranch_execz .LBB1_17
; %bb.21:                               ;   in Loop: Header=BB1_20 Depth=1
	global_load_b32 v2, v[6:7], off offset:20 scope:SCOPE_SYS
	s_wait_loadcnt 0x0
	global_inv scope:SCOPE_SYS
	v_and_b32_e32 v2, 1, v2
	s_branch .LBB1_17
.LBB1_22:
	global_load_b64 v[6:7], v[0:1], off
	s_wait_xcnt 0x0
	s_and_saveexec_b32 s6, s0
	s_cbranch_execz .LBB1_26
; %bb.23:
	v_mov_b32_e32 v10, 0
	s_clause 0x2
	global_load_b64 v[0:1], v10, s[2:3] offset:40
	global_load_b64 v[14:15], v10, s[2:3] offset:24 scope:SCOPE_SYS
	global_load_b64 v[2:3], v10, s[2:3]
	s_wait_loadcnt 0x2
	v_readfirstlane_b32 s10, v0
	v_readfirstlane_b32 s11, v1
	s_add_nc_u64 s[0:1], s[10:11], 1
	s_delay_alu instid0(SALU_CYCLE_1) | instskip(NEXT) | instid1(SALU_CYCLE_1)
	s_add_nc_u64 s[4:5], s[0:1], s[4:5]
	s_cmp_eq_u64 s[4:5], 0
	s_cselect_b32 s1, s1, s5
	s_cselect_b32 s0, s0, s4
	v_mov_b32_e32 v13, s1
	s_and_b64 s[4:5], s[0:1], s[10:11]
	v_mov_b32_e32 v12, s0
	s_mul_u64 s[4:5], s[4:5], 24
	s_wait_loadcnt 0x0
	v_add_nc_u64_e32 v[8:9], s[4:5], v[2:3]
	global_store_b64 v[8:9], v[14:15], off
	global_wb scope:SCOPE_SYS
	s_wait_storecnt 0x0
	s_wait_xcnt 0x0
	global_atomic_cmpswap_b64 v[2:3], v10, v[12:15], s[2:3] offset:24 th:TH_ATOMIC_RETURN scope:SCOPE_SYS
	s_wait_loadcnt 0x0
	v_cmp_ne_u64_e32 vcc_lo, v[2:3], v[14:15]
	s_and_b32 exec_lo, exec_lo, vcc_lo
	s_cbranch_execz .LBB1_26
; %bb.24:
	s_mov_b32 s4, 0
.LBB1_25:                               ; =>This Inner Loop Header: Depth=1
	v_dual_mov_b32 v0, s0 :: v_dual_mov_b32 v1, s1
	s_sleep 1
	global_store_b64 v[8:9], v[2:3], off
	global_wb scope:SCOPE_SYS
	s_wait_storecnt 0x0
	s_wait_xcnt 0x0
	global_atomic_cmpswap_b64 v[0:1], v10, v[0:3], s[2:3] offset:24 th:TH_ATOMIC_RETURN scope:SCOPE_SYS
	s_wait_loadcnt 0x0
	v_cmp_eq_u64_e32 vcc_lo, v[0:1], v[2:3]
	v_mov_b64_e32 v[2:3], v[0:1]
	s_or_b32 s4, vcc_lo, s4
	s_delay_alu instid0(SALU_CYCLE_1)
	s_and_not1_b32 exec_lo, exec_lo, s4
	s_cbranch_execnz .LBB1_25
.LBB1_26:
	s_or_b32 exec_lo, exec_lo, s6
	s_mov_b32 s1, s33
	s_mov_b32 s0, 0
.LBB1_27:                               ; =>This Inner Loop Header: Depth=1
	scratch_load_u8 v0, off, s1
	s_wait_xcnt 0x0
	s_add_co_i32 s1, s1, 1
	s_wait_loadcnt 0x0
	v_cmp_eq_u16_e32 vcc_lo, 0, v0
	v_mov_b32_e32 v0, s1
	s_or_b32 s0, vcc_lo, s0
	s_delay_alu instid0(SALU_CYCLE_1)
	s_and_not1_b32 exec_lo, exec_lo, s0
	s_cbranch_execnz .LBB1_27
; %bb.28:
	s_or_b32 exec_lo, exec_lo, s0
	s_cmp_lg_u32 s33, -1
	s_cbranch_scc0 .LBB1_113
; %bb.29:
	s_mov_b64 s[0:1], src_flat_scratch_base_lo
	v_mov_b64_e32 v[10:11], 0x100000002
	v_dual_add_nc_u32 v0, s0, v0 :: v_dual_bitop2_b32 v28, 2, v6 bitop3:0x40
	s_add_co_i32 s0, s33, s0
	v_dual_mov_b32 v31, 0 :: v_dual_mov_b32 v29, s33
	s_delay_alu instid0(VALU_DEP_2) | instskip(SKIP_3) | instid1(VALU_DEP_2)
	v_subrev_nc_u32_e32 v32, s0, v0
	v_dual_mov_b32 v1, v7 :: v_dual_bitop2_b32 v0, -3, v6 bitop3:0x40
	s_mov_b32 s7, 0
	s_mov_b32 s6, 0
	v_ashrrev_i32_e32 v33, 31, v32
	s_branch .LBB1_31
.LBB1_30:                               ;   in Loop: Header=BB1_31 Depth=1
	s_or_b32 exec_lo, exec_lo, s10
	v_sub_nc_u64_e32 v[32:33], v[32:33], v[34:35]
	v_add_nc_u32_e32 v29, v29, v34
	s_delay_alu instid0(VALU_DEP_2) | instskip(SKIP_1) | instid1(SALU_CYCLE_1)
	v_cmp_eq_u64_e32 vcc_lo, 0, v[32:33]
	s_or_b32 s6, vcc_lo, s6
	s_and_not1_b32 exec_lo, exec_lo, s6
	s_cbranch_execz .LBB1_192
.LBB1_31:                               ; =>This Loop Header: Depth=1
                                        ;     Child Loop BB1_34 Depth 2
                                        ;     Child Loop BB1_42 Depth 2
	;; [unrolled: 1-line block ×11, first 2 shown]
	s_delay_alu instid0(VALU_DEP_1)
	v_min_u64 v[34:35], v[32:33], 56
	v_add_nc_u32_e32 v9, 8, v29
	s_mov_b32 s0, exec_lo
	v_cmpx_gt_u64_e32 8, v[32:33]
	s_xor_b32 s4, exec_lo, s0
	s_cbranch_execz .LBB1_37
; %bb.32:                               ;   in Loop: Header=BB1_31 Depth=1
	v_mov_b64_e32 v[2:3], 0
	s_mov_b32 s5, exec_lo
	v_cmpx_ne_u64_e32 0, v[32:33]
	s_cbranch_execz .LBB1_36
; %bb.33:                               ;   in Loop: Header=BB1_31 Depth=1
	v_mov_b64_e32 v[2:3], 0
	v_dual_mov_b32 v9, v29 :: v_dual_lshlrev_b32 v8, 3, v34
	s_mov_b64 s[0:1], 0
	s_mov_b32 s10, 0
.LBB1_34:                               ;   Parent Loop BB1_31 Depth=1
                                        ; =>  This Inner Loop Header: Depth=2
	scratch_load_u8 v12, v9, off
	s_wait_xcnt 0x0
	v_dual_mov_b32 v13, s7 :: v_dual_add_nc_u32 v9, 1, v9
	s_wait_loadcnt 0x0
	v_and_b32_e32 v12, 0xffff, v12
	s_delay_alu instid0(VALU_DEP_1) | instskip(SKIP_1) | instid1(SALU_CYCLE_1)
	v_lshlrev_b64_e32 v[12:13], s0, v[12:13]
	s_add_nc_u64 s[0:1], s[0:1], 8
	v_cmp_eq_u32_e32 vcc_lo, s0, v8
	s_delay_alu instid0(VALU_DEP_2) | instskip(NEXT) | instid1(VALU_DEP_3)
	v_or_b32_e32 v3, v13, v3
	v_or_b32_e32 v2, v12, v2
	s_or_b32 s10, vcc_lo, s10
	s_delay_alu instid0(SALU_CYCLE_1)
	s_and_not1_b32 exec_lo, exec_lo, s10
	s_cbranch_execnz .LBB1_34
; %bb.35:                               ;   in Loop: Header=BB1_31 Depth=1
	s_or_b32 exec_lo, exec_lo, s10
.LBB1_36:                               ;   in Loop: Header=BB1_31 Depth=1
	s_delay_alu instid0(SALU_CYCLE_1)
	s_or_b32 exec_lo, exec_lo, s5
	v_mov_b32_e32 v9, v29
.LBB1_37:                               ;   in Loop: Header=BB1_31 Depth=1
	s_or_saveexec_b32 s0, s4
	v_mov_b32_e32 v14, 0
	s_xor_b32 exec_lo, exec_lo, s0
	s_cbranch_execz .LBB1_39
; %bb.38:                               ;   in Loop: Header=BB1_31 Depth=1
	scratch_load_b64 v[2:3], v29, off
	v_add_nc_u32_e32 v14, -8, v34
.LBB1_39:                               ;   in Loop: Header=BB1_31 Depth=1
	s_wait_xcnt 0x0
	s_or_b32 exec_lo, exec_lo, s0
	v_add_nc_u32_e32 v8, 8, v9
                                        ; implicit-def: $vgpr12_vgpr13
	s_mov_b32 s0, exec_lo
	v_cmpx_gt_u32_e32 8, v14
	s_xor_b32 s4, exec_lo, s0
	s_cbranch_execz .LBB1_45
; %bb.40:                               ;   in Loop: Header=BB1_31 Depth=1
	v_mov_b64_e32 v[12:13], 0
	s_mov_b32 s5, exec_lo
	v_cmpx_ne_u32_e32 0, v14
	s_cbranch_execz .LBB1_44
; %bb.41:                               ;   in Loop: Header=BB1_31 Depth=1
	v_mov_b64_e32 v[12:13], 0
	s_mov_b64 s[0:1], 0
	s_mov_b32 s10, 0
	s_mov_b32 s11, 0
.LBB1_42:                               ;   Parent Loop BB1_31 Depth=1
                                        ; =>  This Inner Loop Header: Depth=2
	scratch_load_u8 v8, v9, s11
	v_mov_b32_e32 v17, s7
	s_wait_xcnt 0x0
	s_add_co_i32 s11, s11, 1
	s_delay_alu instid0(SALU_CYCLE_1) | instskip(SKIP_3) | instid1(VALU_DEP_1)
	v_cmp_eq_u32_e32 vcc_lo, s11, v14
	s_or_b32 s10, vcc_lo, s10
	s_wait_loadcnt 0x0
	v_and_b32_e32 v16, 0xffff, v8
	v_lshlrev_b64_e32 v[16:17], s0, v[16:17]
	s_add_nc_u64 s[0:1], s[0:1], 8
	s_delay_alu instid0(VALU_DEP_1) | instskip(NEXT) | instid1(VALU_DEP_2)
	v_or_b32_e32 v13, v17, v13
	v_or_b32_e32 v12, v16, v12
	s_and_not1_b32 exec_lo, exec_lo, s10
	s_cbranch_execnz .LBB1_42
; %bb.43:                               ;   in Loop: Header=BB1_31 Depth=1
	s_or_b32 exec_lo, exec_lo, s10
.LBB1_44:                               ;   in Loop: Header=BB1_31 Depth=1
	s_delay_alu instid0(SALU_CYCLE_1)
	s_or_b32 exec_lo, exec_lo, s5
	v_mov_b32_e32 v8, v9
                                        ; implicit-def: $vgpr14
.LBB1_45:                               ;   in Loop: Header=BB1_31 Depth=1
	s_or_saveexec_b32 s0, s4
	v_mov_b32_e32 v16, 0
	s_xor_b32 exec_lo, exec_lo, s0
	s_cbranch_execz .LBB1_47
; %bb.46:                               ;   in Loop: Header=BB1_31 Depth=1
	scratch_load_b64 v[12:13], v9, off
	v_add_nc_u32_e32 v16, -8, v14
.LBB1_47:                               ;   in Loop: Header=BB1_31 Depth=1
	s_wait_xcnt 0x0
	s_or_b32 exec_lo, exec_lo, s0
	v_add_nc_u32_e32 v9, 8, v8
	s_mov_b32 s0, exec_lo
	v_cmpx_gt_u32_e32 8, v16
	s_xor_b32 s4, exec_lo, s0
	s_cbranch_execz .LBB1_53
; %bb.48:                               ;   in Loop: Header=BB1_31 Depth=1
	v_mov_b64_e32 v[14:15], 0
	s_mov_b32 s5, exec_lo
	v_cmpx_ne_u32_e32 0, v16
	s_cbranch_execz .LBB1_52
; %bb.49:                               ;   in Loop: Header=BB1_31 Depth=1
	v_mov_b64_e32 v[14:15], 0
	s_mov_b64 s[0:1], 0
	s_mov_b32 s10, 0
	s_mov_b32 s11, 0
.LBB1_50:                               ;   Parent Loop BB1_31 Depth=1
                                        ; =>  This Inner Loop Header: Depth=2
	scratch_load_u8 v9, v8, s11
	v_mov_b32_e32 v19, s7
	s_wait_xcnt 0x0
	s_add_co_i32 s11, s11, 1
	s_delay_alu instid0(SALU_CYCLE_1) | instskip(SKIP_3) | instid1(VALU_DEP_1)
	v_cmp_eq_u32_e32 vcc_lo, s11, v16
	s_or_b32 s10, vcc_lo, s10
	s_wait_loadcnt 0x0
	v_and_b32_e32 v18, 0xffff, v9
	v_lshlrev_b64_e32 v[18:19], s0, v[18:19]
	s_add_nc_u64 s[0:1], s[0:1], 8
	s_delay_alu instid0(VALU_DEP_1) | instskip(NEXT) | instid1(VALU_DEP_2)
	v_or_b32_e32 v15, v19, v15
	v_or_b32_e32 v14, v18, v14
	s_and_not1_b32 exec_lo, exec_lo, s10
	s_cbranch_execnz .LBB1_50
; %bb.51:                               ;   in Loop: Header=BB1_31 Depth=1
	s_or_b32 exec_lo, exec_lo, s10
.LBB1_52:                               ;   in Loop: Header=BB1_31 Depth=1
	s_delay_alu instid0(SALU_CYCLE_1)
	s_or_b32 exec_lo, exec_lo, s5
	v_mov_b32_e32 v9, v8
                                        ; implicit-def: $vgpr16
.LBB1_53:                               ;   in Loop: Header=BB1_31 Depth=1
	s_or_saveexec_b32 s0, s4
	v_mov_b32_e32 v18, 0
	s_xor_b32 exec_lo, exec_lo, s0
	s_cbranch_execz .LBB1_55
; %bb.54:                               ;   in Loop: Header=BB1_31 Depth=1
	scratch_load_b64 v[14:15], v8, off
	v_add_nc_u32_e32 v18, -8, v16
.LBB1_55:                               ;   in Loop: Header=BB1_31 Depth=1
	s_wait_xcnt 0x0
	s_or_b32 exec_lo, exec_lo, s0
	v_add_nc_u32_e32 v8, 8, v9
                                        ; implicit-def: $vgpr16_vgpr17
	s_mov_b32 s0, exec_lo
	v_cmpx_gt_u32_e32 8, v18
	s_xor_b32 s4, exec_lo, s0
	s_cbranch_execz .LBB1_61
; %bb.56:                               ;   in Loop: Header=BB1_31 Depth=1
	v_mov_b64_e32 v[16:17], 0
	s_mov_b32 s5, exec_lo
	v_cmpx_ne_u32_e32 0, v18
	s_cbranch_execz .LBB1_60
; %bb.57:                               ;   in Loop: Header=BB1_31 Depth=1
	v_mov_b64_e32 v[16:17], 0
	s_mov_b64 s[0:1], 0
	s_mov_b32 s10, 0
	s_mov_b32 s11, 0
.LBB1_58:                               ;   Parent Loop BB1_31 Depth=1
                                        ; =>  This Inner Loop Header: Depth=2
	scratch_load_u8 v8, v9, s11
	v_mov_b32_e32 v21, s7
	s_wait_xcnt 0x0
	s_add_co_i32 s11, s11, 1
	s_delay_alu instid0(SALU_CYCLE_1) | instskip(SKIP_3) | instid1(VALU_DEP_1)
	v_cmp_eq_u32_e32 vcc_lo, s11, v18
	s_or_b32 s10, vcc_lo, s10
	s_wait_loadcnt 0x0
	v_and_b32_e32 v20, 0xffff, v8
	v_lshlrev_b64_e32 v[20:21], s0, v[20:21]
	s_add_nc_u64 s[0:1], s[0:1], 8
	s_delay_alu instid0(VALU_DEP_1) | instskip(NEXT) | instid1(VALU_DEP_2)
	v_or_b32_e32 v17, v21, v17
	v_or_b32_e32 v16, v20, v16
	s_and_not1_b32 exec_lo, exec_lo, s10
	s_cbranch_execnz .LBB1_58
; %bb.59:                               ;   in Loop: Header=BB1_31 Depth=1
	s_or_b32 exec_lo, exec_lo, s10
.LBB1_60:                               ;   in Loop: Header=BB1_31 Depth=1
	s_delay_alu instid0(SALU_CYCLE_1)
	s_or_b32 exec_lo, exec_lo, s5
	v_mov_b32_e32 v8, v9
                                        ; implicit-def: $vgpr18
.LBB1_61:                               ;   in Loop: Header=BB1_31 Depth=1
	s_or_saveexec_b32 s0, s4
	v_mov_b32_e32 v20, 0
	s_xor_b32 exec_lo, exec_lo, s0
	s_cbranch_execz .LBB1_63
; %bb.62:                               ;   in Loop: Header=BB1_31 Depth=1
	scratch_load_b64 v[16:17], v9, off
	v_add_nc_u32_e32 v20, -8, v18
.LBB1_63:                               ;   in Loop: Header=BB1_31 Depth=1
	s_wait_xcnt 0x0
	s_or_b32 exec_lo, exec_lo, s0
	v_add_nc_u32_e32 v9, 8, v8
	s_mov_b32 s0, exec_lo
	v_cmpx_gt_u32_e32 8, v20
	s_xor_b32 s4, exec_lo, s0
	s_cbranch_execz .LBB1_69
; %bb.64:                               ;   in Loop: Header=BB1_31 Depth=1
	v_mov_b64_e32 v[18:19], 0
	s_mov_b32 s5, exec_lo
	v_cmpx_ne_u32_e32 0, v20
	s_cbranch_execz .LBB1_68
; %bb.65:                               ;   in Loop: Header=BB1_31 Depth=1
	v_mov_b64_e32 v[18:19], 0
	s_mov_b64 s[0:1], 0
	s_mov_b32 s10, 0
	s_mov_b32 s11, 0
.LBB1_66:                               ;   Parent Loop BB1_31 Depth=1
                                        ; =>  This Inner Loop Header: Depth=2
	scratch_load_u8 v9, v8, s11
	v_mov_b32_e32 v23, s7
	s_wait_xcnt 0x0
	s_add_co_i32 s11, s11, 1
	s_delay_alu instid0(SALU_CYCLE_1) | instskip(SKIP_3) | instid1(VALU_DEP_1)
	v_cmp_eq_u32_e32 vcc_lo, s11, v20
	s_or_b32 s10, vcc_lo, s10
	s_wait_loadcnt 0x0
	v_and_b32_e32 v22, 0xffff, v9
	v_lshlrev_b64_e32 v[22:23], s0, v[22:23]
	s_add_nc_u64 s[0:1], s[0:1], 8
	s_delay_alu instid0(VALU_DEP_1) | instskip(NEXT) | instid1(VALU_DEP_2)
	v_or_b32_e32 v19, v23, v19
	v_or_b32_e32 v18, v22, v18
	s_and_not1_b32 exec_lo, exec_lo, s10
	s_cbranch_execnz .LBB1_66
; %bb.67:                               ;   in Loop: Header=BB1_31 Depth=1
	s_or_b32 exec_lo, exec_lo, s10
.LBB1_68:                               ;   in Loop: Header=BB1_31 Depth=1
	s_delay_alu instid0(SALU_CYCLE_1)
	s_or_b32 exec_lo, exec_lo, s5
	v_mov_b32_e32 v9, v8
                                        ; implicit-def: $vgpr20
.LBB1_69:                               ;   in Loop: Header=BB1_31 Depth=1
	s_or_saveexec_b32 s0, s4
	v_mov_b32_e32 v22, 0
	s_xor_b32 exec_lo, exec_lo, s0
	s_cbranch_execz .LBB1_71
; %bb.70:                               ;   in Loop: Header=BB1_31 Depth=1
	scratch_load_b64 v[18:19], v8, off
	v_add_nc_u32_e32 v22, -8, v20
.LBB1_71:                               ;   in Loop: Header=BB1_31 Depth=1
	s_wait_xcnt 0x0
	s_or_b32 exec_lo, exec_lo, s0
	v_add_nc_u32_e32 v8, 8, v9
                                        ; implicit-def: $vgpr20_vgpr21
	s_mov_b32 s0, exec_lo
	v_cmpx_gt_u32_e32 8, v22
	s_xor_b32 s4, exec_lo, s0
	s_cbranch_execz .LBB1_77
; %bb.72:                               ;   in Loop: Header=BB1_31 Depth=1
	v_mov_b64_e32 v[20:21], 0
	s_mov_b32 s5, exec_lo
	v_cmpx_ne_u32_e32 0, v22
	s_cbranch_execz .LBB1_76
; %bb.73:                               ;   in Loop: Header=BB1_31 Depth=1
	v_mov_b64_e32 v[20:21], 0
	s_mov_b64 s[0:1], 0
	s_mov_b32 s10, 0
	s_mov_b32 s11, 0
.LBB1_74:                               ;   Parent Loop BB1_31 Depth=1
                                        ; =>  This Inner Loop Header: Depth=2
	scratch_load_u8 v8, v9, s11
	v_mov_b32_e32 v25, s7
	s_wait_xcnt 0x0
	s_add_co_i32 s11, s11, 1
	s_delay_alu instid0(SALU_CYCLE_1) | instskip(SKIP_3) | instid1(VALU_DEP_1)
	v_cmp_eq_u32_e32 vcc_lo, s11, v22
	s_or_b32 s10, vcc_lo, s10
	s_wait_loadcnt 0x0
	v_and_b32_e32 v24, 0xffff, v8
	v_lshlrev_b64_e32 v[24:25], s0, v[24:25]
	s_add_nc_u64 s[0:1], s[0:1], 8
	s_delay_alu instid0(VALU_DEP_1) | instskip(NEXT) | instid1(VALU_DEP_2)
	v_or_b32_e32 v21, v25, v21
	v_or_b32_e32 v20, v24, v20
	s_and_not1_b32 exec_lo, exec_lo, s10
	s_cbranch_execnz .LBB1_74
; %bb.75:                               ;   in Loop: Header=BB1_31 Depth=1
	s_or_b32 exec_lo, exec_lo, s10
.LBB1_76:                               ;   in Loop: Header=BB1_31 Depth=1
	s_delay_alu instid0(SALU_CYCLE_1)
	s_or_b32 exec_lo, exec_lo, s5
	v_mov_b32_e32 v8, v9
                                        ; implicit-def: $vgpr22
.LBB1_77:                               ;   in Loop: Header=BB1_31 Depth=1
	s_or_saveexec_b32 s0, s4
	v_mov_b32_e32 v24, 0
	s_xor_b32 exec_lo, exec_lo, s0
	s_cbranch_execz .LBB1_79
; %bb.78:                               ;   in Loop: Header=BB1_31 Depth=1
	scratch_load_b64 v[20:21], v9, off
	v_add_nc_u32_e32 v24, -8, v22
.LBB1_79:                               ;   in Loop: Header=BB1_31 Depth=1
	s_wait_xcnt 0x0
	s_or_b32 exec_lo, exec_lo, s0
	s_delay_alu instid0(SALU_CYCLE_1) | instskip(NEXT) | instid1(VALU_DEP_1)
	s_mov_b32 s0, exec_lo
	v_cmpx_gt_u32_e32 8, v24
	s_xor_b32 s4, exec_lo, s0
	s_cbranch_execz .LBB1_85
; %bb.80:                               ;   in Loop: Header=BB1_31 Depth=1
	v_mov_b64_e32 v[22:23], 0
	s_mov_b32 s5, exec_lo
	v_cmpx_ne_u32_e32 0, v24
	s_cbranch_execz .LBB1_84
; %bb.81:                               ;   in Loop: Header=BB1_31 Depth=1
	v_mov_b64_e32 v[22:23], 0
	s_mov_b64 s[0:1], 0
	s_mov_b32 s10, 0
.LBB1_82:                               ;   Parent Loop BB1_31 Depth=1
                                        ; =>  This Inner Loop Header: Depth=2
	scratch_load_u8 v9, v8, off
	v_dual_mov_b32 v27, s7 :: v_dual_add_nc_u32 v24, -1, v24
	s_delay_alu instid0(VALU_DEP_1) | instskip(SKIP_3) | instid1(VALU_DEP_1)
	v_cmp_eq_u32_e32 vcc_lo, 0, v24
	s_or_b32 s10, vcc_lo, s10
	s_wait_loadcnt 0x0
	v_and_b32_e32 v26, 0xffff, v9
	v_lshlrev_b64_e32 v[26:27], s0, v[26:27]
	s_wait_xcnt 0x0
	v_add_nc_u32_e32 v8, 1, v8
	s_add_nc_u64 s[0:1], s[0:1], 8
	s_delay_alu instid0(VALU_DEP_2) | instskip(NEXT) | instid1(VALU_DEP_3)
	v_or_b32_e32 v23, v27, v23
	v_or_b32_e32 v22, v26, v22
	s_and_not1_b32 exec_lo, exec_lo, s10
	s_cbranch_execnz .LBB1_82
; %bb.83:                               ;   in Loop: Header=BB1_31 Depth=1
	s_or_b32 exec_lo, exec_lo, s10
.LBB1_84:                               ;   in Loop: Header=BB1_31 Depth=1
	s_delay_alu instid0(SALU_CYCLE_1)
	s_or_b32 exec_lo, exec_lo, s5
                                        ; implicit-def: $vgpr8
.LBB1_85:                               ;   in Loop: Header=BB1_31 Depth=1
	s_and_not1_saveexec_b32 s0, s4
	s_cbranch_execz .LBB1_87
; %bb.86:                               ;   in Loop: Header=BB1_31 Depth=1
	scratch_load_b64 v[22:23], v8, off
.LBB1_87:                               ;   in Loop: Header=BB1_31 Depth=1
	s_wait_xcnt 0x0
	s_or_b32 exec_lo, exec_lo, s0
	v_readfirstlane_b32 s0, v48
	v_mov_b64_e32 v[8:9], 0
	s_delay_alu instid0(VALU_DEP_2)
	v_cmp_eq_u32_e64 s0, s0, v48
	s_and_saveexec_b32 s1, s0
	s_cbranch_execz .LBB1_93
; %bb.88:                               ;   in Loop: Header=BB1_31 Depth=1
	global_load_b64 v[26:27], v31, s[2:3] offset:24 scope:SCOPE_SYS
	s_wait_loadcnt 0x0
	global_inv scope:SCOPE_SYS
	s_clause 0x1
	global_load_b64 v[8:9], v31, s[2:3] offset:40
	global_load_b64 v[24:25], v31, s[2:3]
	s_mov_b32 s4, exec_lo
	s_wait_loadcnt 0x1
	v_and_b32_e32 v8, v8, v26
	v_and_b32_e32 v9, v9, v27
	s_delay_alu instid0(VALU_DEP_1) | instskip(SKIP_1) | instid1(VALU_DEP_1)
	v_mul_u64_e32 v[8:9], 24, v[8:9]
	s_wait_loadcnt 0x0
	v_add_nc_u64_e32 v[8:9], v[24:25], v[8:9]
	global_load_b64 v[24:25], v[8:9], off scope:SCOPE_SYS
	s_wait_xcnt 0x0
	s_wait_loadcnt 0x0
	global_atomic_cmpswap_b64 v[8:9], v31, v[24:27], s[2:3] offset:24 th:TH_ATOMIC_RETURN scope:SCOPE_SYS
	s_wait_loadcnt 0x0
	global_inv scope:SCOPE_SYS
	s_wait_xcnt 0x0
	v_cmpx_ne_u64_e64 v[8:9], v[26:27]
	s_cbranch_execz .LBB1_92
; %bb.89:                               ;   in Loop: Header=BB1_31 Depth=1
	s_mov_b32 s5, 0
.LBB1_90:                               ;   Parent Loop BB1_31 Depth=1
                                        ; =>  This Inner Loop Header: Depth=2
	s_sleep 1
	s_clause 0x1
	global_load_b64 v[24:25], v31, s[2:3] offset:40
	global_load_b64 v[36:37], v31, s[2:3]
	v_mov_b64_e32 v[26:27], v[8:9]
	s_wait_loadcnt 0x1
	s_delay_alu instid0(VALU_DEP_1) | instskip(NEXT) | instid1(VALU_DEP_2)
	v_and_b32_e32 v8, v24, v26
	v_and_b32_e32 v24, v25, v27
	s_wait_loadcnt 0x0
	s_delay_alu instid0(VALU_DEP_2) | instskip(NEXT) | instid1(VALU_DEP_1)
	v_mad_nc_u64_u32 v[8:9], v8, 24, v[36:37]
	v_mad_u32 v9, v24, 24, v9
	global_load_b64 v[24:25], v[8:9], off scope:SCOPE_SYS
	s_wait_xcnt 0x0
	s_wait_loadcnt 0x0
	global_atomic_cmpswap_b64 v[8:9], v31, v[24:27], s[2:3] offset:24 th:TH_ATOMIC_RETURN scope:SCOPE_SYS
	s_wait_loadcnt 0x0
	global_inv scope:SCOPE_SYS
	v_cmp_eq_u64_e32 vcc_lo, v[8:9], v[26:27]
	s_or_b32 s5, vcc_lo, s5
	s_wait_xcnt 0x0
	s_and_not1_b32 exec_lo, exec_lo, s5
	s_cbranch_execnz .LBB1_90
; %bb.91:                               ;   in Loop: Header=BB1_31 Depth=1
	s_or_b32 exec_lo, exec_lo, s5
.LBB1_92:                               ;   in Loop: Header=BB1_31 Depth=1
	s_delay_alu instid0(SALU_CYCLE_1)
	s_or_b32 exec_lo, exec_lo, s4
.LBB1_93:                               ;   in Loop: Header=BB1_31 Depth=1
	s_delay_alu instid0(SALU_CYCLE_1)
	s_or_b32 exec_lo, exec_lo, s1
	s_clause 0x1
	global_load_b64 v[36:37], v31, s[2:3] offset:40
	global_load_b128 v[24:27], v31, s[2:3]
	v_readfirstlane_b32 s4, v8
	v_readfirstlane_b32 s5, v9
	s_mov_b32 s1, exec_lo
	s_wait_loadcnt 0x1
	v_and_b32_e32 v38, s4, v36
	v_and_b32_e32 v39, s5, v37
	s_delay_alu instid0(VALU_DEP_1) | instskip(SKIP_1) | instid1(VALU_DEP_1)
	v_mul_u64_e32 v[8:9], 24, v[38:39]
	s_wait_loadcnt 0x0
	v_add_nc_u64_e32 v[36:37], v[24:25], v[8:9]
	s_wait_xcnt 0x0
	s_and_saveexec_b32 s10, s0
	s_cbranch_execz .LBB1_95
; %bb.94:                               ;   in Loop: Header=BB1_31 Depth=1
	v_dual_mov_b32 v8, s1 :: v_dual_mov_b32 v9, v31
	global_store_b128 v[36:37], v[8:11], off offset:8
.LBB1_95:                               ;   in Loop: Header=BB1_31 Depth=1
	s_wait_xcnt 0x0
	s_or_b32 exec_lo, exec_lo, s10
	v_cmp_gt_u64_e32 vcc_lo, 57, v[32:33]
	v_lshlrev_b64_e32 v[8:9], 12, v[38:39]
	v_and_b32_e32 v0, 0xffffff1f, v0
	v_lshl_add_u32 v39, v34, 2, 28
	v_cndmask_b32_e32 v38, 0, v28, vcc_lo
	s_delay_alu instid0(VALU_DEP_4) | instskip(NEXT) | instid1(VALU_DEP_2)
	v_add_nc_u64_e32 v[8:9], v[26:27], v[8:9]
	v_or_b32_e32 v0, v0, v38
	s_delay_alu instid0(VALU_DEP_2) | instskip(NEXT) | instid1(VALU_DEP_3)
	v_readfirstlane_b32 s10, v8
	v_readfirstlane_b32 s11, v9
	s_delay_alu instid0(VALU_DEP_3)
	v_and_or_b32 v0, 0x1e0, v39, v0
	s_clause 0x3
	global_store_b128 v30, v[0:3], s[10:11]
	global_store_b128 v30, v[12:15], s[10:11] offset:16
	global_store_b128 v30, v[16:19], s[10:11] offset:32
	;; [unrolled: 1-line block ×3, first 2 shown]
	s_wait_xcnt 0x0
	s_and_saveexec_b32 s1, s0
	s_cbranch_execz .LBB1_103
; %bb.96:                               ;   in Loop: Header=BB1_31 Depth=1
	s_clause 0x1
	global_load_b64 v[16:17], v31, s[2:3] offset:32 scope:SCOPE_SYS
	global_load_b64 v[0:1], v31, s[2:3] offset:40
	s_mov_b32 s10, exec_lo
	v_dual_mov_b32 v14, s4 :: v_dual_mov_b32 v15, s5
	s_wait_loadcnt 0x0
	v_and_b32_e32 v1, s5, v1
	v_and_b32_e32 v0, s4, v0
	s_delay_alu instid0(VALU_DEP_1) | instskip(NEXT) | instid1(VALU_DEP_1)
	v_mul_u64_e32 v[0:1], 24, v[0:1]
	v_add_nc_u64_e32 v[12:13], v[24:25], v[0:1]
	global_store_b64 v[12:13], v[16:17], off
	global_wb scope:SCOPE_SYS
	s_wait_storecnt 0x0
	s_wait_xcnt 0x0
	global_atomic_cmpswap_b64 v[2:3], v31, v[14:17], s[2:3] offset:32 th:TH_ATOMIC_RETURN scope:SCOPE_SYS
	s_wait_loadcnt 0x0
	v_cmpx_ne_u64_e64 v[2:3], v[16:17]
	s_cbranch_execz .LBB1_99
; %bb.97:                               ;   in Loop: Header=BB1_31 Depth=1
	s_mov_b32 s11, 0
.LBB1_98:                               ;   Parent Loop BB1_31 Depth=1
                                        ; =>  This Inner Loop Header: Depth=2
	v_dual_mov_b32 v0, s4 :: v_dual_mov_b32 v1, s5
	s_sleep 1
	global_store_b64 v[12:13], v[2:3], off
	global_wb scope:SCOPE_SYS
	s_wait_storecnt 0x0
	s_wait_xcnt 0x0
	global_atomic_cmpswap_b64 v[0:1], v31, v[0:3], s[2:3] offset:32 th:TH_ATOMIC_RETURN scope:SCOPE_SYS
	s_wait_loadcnt 0x0
	v_cmp_eq_u64_e32 vcc_lo, v[0:1], v[2:3]
	v_mov_b64_e32 v[2:3], v[0:1]
	s_or_b32 s11, vcc_lo, s11
	s_delay_alu instid0(SALU_CYCLE_1)
	s_and_not1_b32 exec_lo, exec_lo, s11
	s_cbranch_execnz .LBB1_98
.LBB1_99:                               ;   in Loop: Header=BB1_31 Depth=1
	s_or_b32 exec_lo, exec_lo, s10
	global_load_b64 v[0:1], v31, s[2:3] offset:16
	s_mov_b32 s11, exec_lo
	s_mov_b32 s10, exec_lo
	v_mbcnt_lo_u32_b32 v2, s11, 0
	s_wait_xcnt 0x0
	s_delay_alu instid0(VALU_DEP_1)
	v_cmpx_eq_u32_e32 0, v2
	s_cbranch_execz .LBB1_101
; %bb.100:                              ;   in Loop: Header=BB1_31 Depth=1
	s_bcnt1_i32_b32 s11, s11
	s_delay_alu instid0(SALU_CYCLE_1)
	v_dual_mov_b32 v3, v31 :: v_dual_mov_b32 v2, s11
	global_wb scope:SCOPE_SYS
	s_wait_loadcnt 0x0
	s_wait_storecnt 0x0
	global_atomic_add_u64 v[0:1], v[2:3], off offset:8 scope:SCOPE_SYS
.LBB1_101:                              ;   in Loop: Header=BB1_31 Depth=1
	s_wait_xcnt 0x0
	s_or_b32 exec_lo, exec_lo, s10
	s_wait_loadcnt 0x0
	global_load_b64 v[2:3], v[0:1], off offset:16
	s_wait_loadcnt 0x0
	v_cmp_eq_u64_e32 vcc_lo, 0, v[2:3]
	s_cbranch_vccnz .LBB1_103
; %bb.102:                              ;   in Loop: Header=BB1_31 Depth=1
	global_load_b32 v0, v[0:1], off offset:24
	s_wait_xcnt 0x0
	v_mov_b32_e32 v1, v31
	s_wait_loadcnt 0x0
	v_readfirstlane_b32 s10, v0
	global_wb scope:SCOPE_SYS
	s_wait_storecnt 0x0
	global_store_b64 v[2:3], v[0:1], off scope:SCOPE_SYS
	s_and_b32 m0, s10, 0xffffff
	s_sendmsg sendmsg(MSG_INTERRUPT)
.LBB1_103:                              ;   in Loop: Header=BB1_31 Depth=1
	s_wait_xcnt 0x0
	s_or_b32 exec_lo, exec_lo, s1
	v_add_nc_u64_e32 v[0:1], v[8:9], v[30:31]
	s_branch .LBB1_107
.LBB1_104:                              ;   in Loop: Header=BB1_107 Depth=2
	s_wait_xcnt 0x0
	s_or_b32 exec_lo, exec_lo, s1
	s_delay_alu instid0(VALU_DEP_1)
	v_readfirstlane_b32 s1, v2
	s_cmp_eq_u32 s1, 0
	s_cbranch_scc1 .LBB1_106
; %bb.105:                              ;   in Loop: Header=BB1_107 Depth=2
	s_sleep 1
	s_cbranch_execnz .LBB1_107
	s_branch .LBB1_109
.LBB1_106:                              ;   in Loop: Header=BB1_31 Depth=1
	s_branch .LBB1_109
.LBB1_107:                              ;   Parent Loop BB1_31 Depth=1
                                        ; =>  This Inner Loop Header: Depth=2
	v_mov_b32_e32 v2, 1
	s_and_saveexec_b32 s1, s0
	s_cbranch_execz .LBB1_104
; %bb.108:                              ;   in Loop: Header=BB1_107 Depth=2
	global_load_b32 v2, v[36:37], off offset:20 scope:SCOPE_SYS
	s_wait_loadcnt 0x0
	global_inv scope:SCOPE_SYS
	v_and_b32_e32 v2, 1, v2
	s_branch .LBB1_104
.LBB1_109:                              ;   in Loop: Header=BB1_31 Depth=1
	global_load_b64 v[0:1], v[0:1], off
	s_wait_xcnt 0x0
	s_and_saveexec_b32 s10, s0
	s_cbranch_execz .LBB1_30
; %bb.110:                              ;   in Loop: Header=BB1_31 Depth=1
	s_clause 0x2
	global_load_b64 v[2:3], v31, s[2:3] offset:40
	global_load_b64 v[16:17], v31, s[2:3] offset:24 scope:SCOPE_SYS
	global_load_b64 v[8:9], v31, s[2:3]
	s_wait_loadcnt 0x2
	v_readfirstlane_b32 s12, v2
	v_readfirstlane_b32 s13, v3
	s_add_nc_u64 s[0:1], s[12:13], 1
	s_delay_alu instid0(SALU_CYCLE_1) | instskip(NEXT) | instid1(SALU_CYCLE_1)
	s_add_nc_u64 s[4:5], s[0:1], s[4:5]
	s_cmp_eq_u64 s[4:5], 0
	s_cselect_b32 s1, s1, s5
	s_cselect_b32 s0, s0, s4
	s_delay_alu instid0(SALU_CYCLE_1) | instskip(SKIP_1) | instid1(SALU_CYCLE_1)
	v_dual_mov_b32 v15, s1 :: v_dual_mov_b32 v14, s0
	s_and_b64 s[4:5], s[0:1], s[12:13]
	s_mul_u64 s[4:5], s[4:5], 24
	s_wait_loadcnt 0x0
	v_add_nc_u64_e32 v[2:3], s[4:5], v[8:9]
	global_store_b64 v[2:3], v[16:17], off
	global_wb scope:SCOPE_SYS
	s_wait_storecnt 0x0
	s_wait_xcnt 0x0
	global_atomic_cmpswap_b64 v[14:15], v31, v[14:17], s[2:3] offset:24 th:TH_ATOMIC_RETURN scope:SCOPE_SYS
	s_wait_loadcnt 0x0
	v_cmp_ne_u64_e32 vcc_lo, v[14:15], v[16:17]
	s_and_b32 exec_lo, exec_lo, vcc_lo
	s_cbranch_execz .LBB1_30
; %bb.111:                              ;   in Loop: Header=BB1_31 Depth=1
	s_mov_b32 s4, 0
.LBB1_112:                              ;   Parent Loop BB1_31 Depth=1
                                        ; =>  This Inner Loop Header: Depth=2
	v_dual_mov_b32 v12, s0 :: v_dual_mov_b32 v13, s1
	s_sleep 1
	global_store_b64 v[2:3], v[14:15], off
	global_wb scope:SCOPE_SYS
	s_wait_storecnt 0x0
	s_wait_xcnt 0x0
	global_atomic_cmpswap_b64 v[8:9], v31, v[12:15], s[2:3] offset:24 th:TH_ATOMIC_RETURN scope:SCOPE_SYS
	s_wait_loadcnt 0x0
	v_cmp_eq_u64_e32 vcc_lo, v[8:9], v[14:15]
	v_mov_b64_e32 v[14:15], v[8:9]
	s_or_b32 s4, vcc_lo, s4
	s_delay_alu instid0(SALU_CYCLE_1)
	s_and_not1_b32 exec_lo, exec_lo, s4
	s_cbranch_execnz .LBB1_112
	s_branch .LBB1_30
.LBB1_113:
                                        ; implicit-def: $vgpr0_vgpr1
	s_cbranch_execnz .LBB1_193
.LBB1_114:
	s_get_pc_i64 s[4:5]
	s_add_nc_u64 s[4:5], s[4:5], .str.4@rel64+4
	s_delay_alu instid0(SALU_CYCLE_1)
	s_cmp_lg_u64 s[4:5], 0
	s_cbranch_scc0 .LBB1_221
.LBB1_115:
	v_mov_b64_e32 v[12:13], 0x100000002
	s_get_pc_i64 s[0:1]
	s_add_nc_u64 s[0:1], s[0:1], .str.4@rel64+80
	s_wait_loadcnt 0x0
	v_dual_mov_b32 v11, 0 :: v_dual_bitop2_b32 v2, 2, v0 bitop3:0x40
	v_dual_mov_b32 v7, v1 :: v_dual_bitop2_b32 v6, -3, v0 bitop3:0x40
	s_sub_co_i32 s6, s0, s4
	s_delay_alu instid0(SALU_CYCLE_1)
	s_ashr_i32 s7, s6, 31
	s_branch .LBB1_117
.LBB1_116:                              ;   in Loop: Header=BB1_117 Depth=1
	s_or_b32 exec_lo, exec_lo, s14
	s_sub_nc_u64 s[6:7], s[6:7], s[10:11]
	s_add_nc_u64 s[4:5], s[4:5], s[10:11]
	s_cmp_lg_u64 s[6:7], 0
	s_cbranch_scc0 .LBB1_215
.LBB1_117:                              ; =>This Loop Header: Depth=1
                                        ;     Child Loop BB1_120 Depth 2
                                        ;     Child Loop BB1_127 Depth 2
	;; [unrolled: 1-line block ×11, first 2 shown]
	v_min_u64 v[8:9], s[6:7], 56
	v_cmp_gt_u64_e64 s0, s[6:7], 7
	s_and_b32 vcc_lo, exec_lo, s0
	v_readfirstlane_b32 s10, v8
	v_readfirstlane_b32 s11, v9
	s_cbranch_vccnz .LBB1_122
; %bb.118:                              ;   in Loop: Header=BB1_117 Depth=1
	v_mov_b64_e32 v[8:9], 0
	s_cmp_eq_u64 s[6:7], 0
	s_cbranch_scc1 .LBB1_121
; %bb.119:                              ;   in Loop: Header=BB1_117 Depth=1
	s_mov_b64 s[0:1], 0
	s_mov_b64 s[12:13], 0
.LBB1_120:                              ;   Parent Loop BB1_117 Depth=1
                                        ; =>  This Inner Loop Header: Depth=2
	s_wait_xcnt 0x0
	s_add_nc_u64 s[14:15], s[4:5], s[12:13]
	s_add_nc_u64 s[12:13], s[12:13], 1
	global_load_u8 v3, v11, s[14:15]
	s_cmp_lg_u32 s10, s12
	s_wait_loadcnt 0x0
	v_and_b32_e32 v10, 0xffff, v3
	s_delay_alu instid0(VALU_DEP_1) | instskip(SKIP_1) | instid1(VALU_DEP_1)
	v_lshlrev_b64_e32 v[14:15], s0, v[10:11]
	s_add_nc_u64 s[0:1], s[0:1], 8
	v_or_b32_e32 v8, v14, v8
	s_delay_alu instid0(VALU_DEP_2)
	v_or_b32_e32 v9, v15, v9
	s_cbranch_scc1 .LBB1_120
.LBB1_121:                              ;   in Loop: Header=BB1_117 Depth=1
	s_mov_b64 s[12:13], s[4:5]
	s_mov_b32 s16, 0
	s_cbranch_execz .LBB1_123
	s_branch .LBB1_124
.LBB1_122:                              ;   in Loop: Header=BB1_117 Depth=1
	s_add_nc_u64 s[12:13], s[4:5], 8
	s_mov_b32 s16, 0
.LBB1_123:                              ;   in Loop: Header=BB1_117 Depth=1
	global_load_b64 v[8:9], v11, s[4:5]
	s_add_co_i32 s16, s10, -8
.LBB1_124:                              ;   in Loop: Header=BB1_117 Depth=1
	s_delay_alu instid0(SALU_CYCLE_1)
	s_cmp_gt_u32 s16, 7
	s_cbranch_scc1 .LBB1_129
; %bb.125:                              ;   in Loop: Header=BB1_117 Depth=1
	v_mov_b64_e32 v[14:15], 0
	s_cmp_eq_u32 s16, 0
	s_cbranch_scc1 .LBB1_128
; %bb.126:                              ;   in Loop: Header=BB1_117 Depth=1
	s_mov_b64 s[0:1], 0
	s_wait_xcnt 0x0
	s_mov_b64 s[14:15], 0
.LBB1_127:                              ;   Parent Loop BB1_117 Depth=1
                                        ; =>  This Inner Loop Header: Depth=2
	s_wait_xcnt 0x0
	s_add_nc_u64 s[18:19], s[12:13], s[14:15]
	s_add_nc_u64 s[14:15], s[14:15], 1
	global_load_u8 v3, v11, s[18:19]
	s_cmp_lg_u32 s16, s14
	s_wait_loadcnt 0x0
	v_and_b32_e32 v10, 0xffff, v3
	s_delay_alu instid0(VALU_DEP_1) | instskip(SKIP_1) | instid1(VALU_DEP_1)
	v_lshlrev_b64_e32 v[16:17], s0, v[10:11]
	s_add_nc_u64 s[0:1], s[0:1], 8
	v_or_b32_e32 v14, v16, v14
	s_delay_alu instid0(VALU_DEP_2)
	v_or_b32_e32 v15, v17, v15
	s_cbranch_scc1 .LBB1_127
.LBB1_128:                              ;   in Loop: Header=BB1_117 Depth=1
	s_wait_xcnt 0x0
	s_mov_b64 s[0:1], s[12:13]
	s_mov_b32 s17, 0
	s_cbranch_execz .LBB1_130
	s_branch .LBB1_131
.LBB1_129:                              ;   in Loop: Header=BB1_117 Depth=1
	s_add_nc_u64 s[0:1], s[12:13], 8
	s_wait_xcnt 0x0
                                        ; implicit-def: $vgpr14_vgpr15
	s_mov_b32 s17, 0
.LBB1_130:                              ;   in Loop: Header=BB1_117 Depth=1
	global_load_b64 v[14:15], v11, s[12:13]
	s_add_co_i32 s17, s16, -8
.LBB1_131:                              ;   in Loop: Header=BB1_117 Depth=1
	s_delay_alu instid0(SALU_CYCLE_1)
	s_cmp_gt_u32 s17, 7
	s_cbranch_scc1 .LBB1_136
; %bb.132:                              ;   in Loop: Header=BB1_117 Depth=1
	v_mov_b64_e32 v[16:17], 0
	s_cmp_eq_u32 s17, 0
	s_cbranch_scc1 .LBB1_135
; %bb.133:                              ;   in Loop: Header=BB1_117 Depth=1
	s_wait_xcnt 0x0
	s_mov_b64 s[12:13], 0
	s_mov_b64 s[14:15], 0
.LBB1_134:                              ;   Parent Loop BB1_117 Depth=1
                                        ; =>  This Inner Loop Header: Depth=2
	s_wait_xcnt 0x0
	s_add_nc_u64 s[18:19], s[0:1], s[14:15]
	s_add_nc_u64 s[14:15], s[14:15], 1
	global_load_u8 v3, v11, s[18:19]
	s_cmp_lg_u32 s17, s14
	s_wait_loadcnt 0x0
	v_and_b32_e32 v10, 0xffff, v3
	s_delay_alu instid0(VALU_DEP_1) | instskip(SKIP_1) | instid1(VALU_DEP_1)
	v_lshlrev_b64_e32 v[18:19], s12, v[10:11]
	s_add_nc_u64 s[12:13], s[12:13], 8
	v_or_b32_e32 v16, v18, v16
	s_delay_alu instid0(VALU_DEP_2)
	v_or_b32_e32 v17, v19, v17
	s_cbranch_scc1 .LBB1_134
.LBB1_135:                              ;   in Loop: Header=BB1_117 Depth=1
	s_wait_xcnt 0x0
	s_mov_b64 s[12:13], s[0:1]
	s_mov_b32 s16, 0
	s_cbranch_execz .LBB1_137
	s_branch .LBB1_138
.LBB1_136:                              ;   in Loop: Header=BB1_117 Depth=1
	s_wait_xcnt 0x0
	s_add_nc_u64 s[12:13], s[0:1], 8
	s_mov_b32 s16, 0
.LBB1_137:                              ;   in Loop: Header=BB1_117 Depth=1
	global_load_b64 v[16:17], v11, s[0:1]
	s_add_co_i32 s16, s17, -8
.LBB1_138:                              ;   in Loop: Header=BB1_117 Depth=1
	s_delay_alu instid0(SALU_CYCLE_1)
	s_cmp_gt_u32 s16, 7
	s_cbranch_scc1 .LBB1_143
; %bb.139:                              ;   in Loop: Header=BB1_117 Depth=1
	v_mov_b64_e32 v[18:19], 0
	s_cmp_eq_u32 s16, 0
	s_cbranch_scc1 .LBB1_142
; %bb.140:                              ;   in Loop: Header=BB1_117 Depth=1
	s_wait_xcnt 0x0
	s_mov_b64 s[0:1], 0
	s_mov_b64 s[14:15], 0
.LBB1_141:                              ;   Parent Loop BB1_117 Depth=1
                                        ; =>  This Inner Loop Header: Depth=2
	s_wait_xcnt 0x0
	s_add_nc_u64 s[18:19], s[12:13], s[14:15]
	s_add_nc_u64 s[14:15], s[14:15], 1
	global_load_u8 v3, v11, s[18:19]
	s_cmp_lg_u32 s16, s14
	s_wait_loadcnt 0x0
	v_and_b32_e32 v10, 0xffff, v3
	s_delay_alu instid0(VALU_DEP_1) | instskip(SKIP_1) | instid1(VALU_DEP_1)
	v_lshlrev_b64_e32 v[20:21], s0, v[10:11]
	s_add_nc_u64 s[0:1], s[0:1], 8
	v_or_b32_e32 v18, v20, v18
	s_delay_alu instid0(VALU_DEP_2)
	v_or_b32_e32 v19, v21, v19
	s_cbranch_scc1 .LBB1_141
.LBB1_142:                              ;   in Loop: Header=BB1_117 Depth=1
	s_wait_xcnt 0x0
	s_mov_b64 s[0:1], s[12:13]
	s_mov_b32 s17, 0
	s_cbranch_execz .LBB1_144
	s_branch .LBB1_145
.LBB1_143:                              ;   in Loop: Header=BB1_117 Depth=1
	s_wait_xcnt 0x0
	s_add_nc_u64 s[0:1], s[12:13], 8
                                        ; implicit-def: $vgpr18_vgpr19
	s_mov_b32 s17, 0
.LBB1_144:                              ;   in Loop: Header=BB1_117 Depth=1
	global_load_b64 v[18:19], v11, s[12:13]
	s_add_co_i32 s17, s16, -8
.LBB1_145:                              ;   in Loop: Header=BB1_117 Depth=1
	s_delay_alu instid0(SALU_CYCLE_1)
	s_cmp_gt_u32 s17, 7
	s_cbranch_scc1 .LBB1_150
; %bb.146:                              ;   in Loop: Header=BB1_117 Depth=1
	v_mov_b64_e32 v[20:21], 0
	s_cmp_eq_u32 s17, 0
	s_cbranch_scc1 .LBB1_149
; %bb.147:                              ;   in Loop: Header=BB1_117 Depth=1
	s_wait_xcnt 0x0
	s_mov_b64 s[12:13], 0
	s_mov_b64 s[14:15], 0
.LBB1_148:                              ;   Parent Loop BB1_117 Depth=1
                                        ; =>  This Inner Loop Header: Depth=2
	s_wait_xcnt 0x0
	s_add_nc_u64 s[18:19], s[0:1], s[14:15]
	s_add_nc_u64 s[14:15], s[14:15], 1
	global_load_u8 v3, v11, s[18:19]
	s_cmp_lg_u32 s17, s14
	s_wait_loadcnt 0x0
	v_and_b32_e32 v10, 0xffff, v3
	s_delay_alu instid0(VALU_DEP_1) | instskip(SKIP_1) | instid1(VALU_DEP_1)
	v_lshlrev_b64_e32 v[22:23], s12, v[10:11]
	s_add_nc_u64 s[12:13], s[12:13], 8
	v_or_b32_e32 v20, v22, v20
	s_delay_alu instid0(VALU_DEP_2)
	v_or_b32_e32 v21, v23, v21
	s_cbranch_scc1 .LBB1_148
.LBB1_149:                              ;   in Loop: Header=BB1_117 Depth=1
	s_wait_xcnt 0x0
	s_mov_b64 s[12:13], s[0:1]
	s_mov_b32 s16, 0
	s_cbranch_execz .LBB1_151
	s_branch .LBB1_152
.LBB1_150:                              ;   in Loop: Header=BB1_117 Depth=1
	s_wait_xcnt 0x0
	s_add_nc_u64 s[12:13], s[0:1], 8
	s_mov_b32 s16, 0
.LBB1_151:                              ;   in Loop: Header=BB1_117 Depth=1
	global_load_b64 v[20:21], v11, s[0:1]
	s_add_co_i32 s16, s17, -8
.LBB1_152:                              ;   in Loop: Header=BB1_117 Depth=1
	s_delay_alu instid0(SALU_CYCLE_1)
	s_cmp_gt_u32 s16, 7
	s_cbranch_scc1 .LBB1_157
; %bb.153:                              ;   in Loop: Header=BB1_117 Depth=1
	v_mov_b64_e32 v[22:23], 0
	s_cmp_eq_u32 s16, 0
	s_cbranch_scc1 .LBB1_156
; %bb.154:                              ;   in Loop: Header=BB1_117 Depth=1
	s_wait_xcnt 0x0
	s_mov_b64 s[0:1], 0
	s_mov_b64 s[14:15], 0
.LBB1_155:                              ;   Parent Loop BB1_117 Depth=1
                                        ; =>  This Inner Loop Header: Depth=2
	s_wait_xcnt 0x0
	s_add_nc_u64 s[18:19], s[12:13], s[14:15]
	s_add_nc_u64 s[14:15], s[14:15], 1
	global_load_u8 v3, v11, s[18:19]
	s_cmp_lg_u32 s16, s14
	s_wait_loadcnt 0x0
	v_and_b32_e32 v10, 0xffff, v3
	s_delay_alu instid0(VALU_DEP_1) | instskip(SKIP_1) | instid1(VALU_DEP_1)
	v_lshlrev_b64_e32 v[24:25], s0, v[10:11]
	s_add_nc_u64 s[0:1], s[0:1], 8
	v_or_b32_e32 v22, v24, v22
	s_delay_alu instid0(VALU_DEP_2)
	v_or_b32_e32 v23, v25, v23
	s_cbranch_scc1 .LBB1_155
.LBB1_156:                              ;   in Loop: Header=BB1_117 Depth=1
	s_wait_xcnt 0x0
	s_mov_b64 s[0:1], s[12:13]
	s_mov_b32 s17, 0
	s_cbranch_execz .LBB1_158
	s_branch .LBB1_159
.LBB1_157:                              ;   in Loop: Header=BB1_117 Depth=1
	s_wait_xcnt 0x0
	s_add_nc_u64 s[0:1], s[12:13], 8
                                        ; implicit-def: $vgpr22_vgpr23
	s_mov_b32 s17, 0
.LBB1_158:                              ;   in Loop: Header=BB1_117 Depth=1
	global_load_b64 v[22:23], v11, s[12:13]
	s_add_co_i32 s17, s16, -8
.LBB1_159:                              ;   in Loop: Header=BB1_117 Depth=1
	s_delay_alu instid0(SALU_CYCLE_1)
	s_cmp_gt_u32 s17, 7
	s_cbranch_scc1 .LBB1_164
; %bb.160:                              ;   in Loop: Header=BB1_117 Depth=1
	v_mov_b64_e32 v[24:25], 0
	s_cmp_eq_u32 s17, 0
	s_cbranch_scc1 .LBB1_163
; %bb.161:                              ;   in Loop: Header=BB1_117 Depth=1
	s_wait_xcnt 0x0
	s_mov_b64 s[12:13], 0
	s_mov_b64 s[14:15], s[0:1]
.LBB1_162:                              ;   Parent Loop BB1_117 Depth=1
                                        ; =>  This Inner Loop Header: Depth=2
	global_load_u8 v3, v11, s[14:15]
	s_add_co_i32 s17, s17, -1
	s_wait_xcnt 0x0
	s_add_nc_u64 s[14:15], s[14:15], 1
	s_cmp_lg_u32 s17, 0
	s_wait_loadcnt 0x0
	v_and_b32_e32 v10, 0xffff, v3
	s_delay_alu instid0(VALU_DEP_1) | instskip(SKIP_1) | instid1(VALU_DEP_1)
	v_lshlrev_b64_e32 v[26:27], s12, v[10:11]
	s_add_nc_u64 s[12:13], s[12:13], 8
	v_or_b32_e32 v24, v26, v24
	s_delay_alu instid0(VALU_DEP_2)
	v_or_b32_e32 v25, v27, v25
	s_cbranch_scc1 .LBB1_162
.LBB1_163:                              ;   in Loop: Header=BB1_117 Depth=1
	s_wait_xcnt 0x0
	s_cbranch_execz .LBB1_165
	s_branch .LBB1_166
.LBB1_164:                              ;   in Loop: Header=BB1_117 Depth=1
	s_wait_xcnt 0x0
.LBB1_165:                              ;   in Loop: Header=BB1_117 Depth=1
	global_load_b64 v[24:25], v11, s[0:1]
.LBB1_166:                              ;   in Loop: Header=BB1_117 Depth=1
	s_wait_xcnt 0x0
	v_readfirstlane_b32 s0, v48
	v_mov_b64_e32 v[32:33], 0
	s_delay_alu instid0(VALU_DEP_2)
	v_cmp_eq_u32_e64 s0, s0, v48
	s_and_saveexec_b32 s1, s0
	s_cbranch_execz .LBB1_172
; %bb.167:                              ;   in Loop: Header=BB1_117 Depth=1
	global_load_b64 v[28:29], v11, s[2:3] offset:24 scope:SCOPE_SYS
	s_wait_loadcnt 0x0
	global_inv scope:SCOPE_SYS
	s_clause 0x1
	global_load_b64 v[26:27], v11, s[2:3] offset:40
	global_load_b64 v[32:33], v11, s[2:3]
	s_mov_b32 s12, exec_lo
	s_wait_loadcnt 0x1
	v_and_b32_e32 v26, v26, v28
	v_and_b32_e32 v27, v27, v29
	s_delay_alu instid0(VALU_DEP_1) | instskip(SKIP_1) | instid1(VALU_DEP_1)
	v_mul_u64_e32 v[26:27], 24, v[26:27]
	s_wait_loadcnt 0x0
	v_add_nc_u64_e32 v[26:27], v[32:33], v[26:27]
	global_load_b64 v[26:27], v[26:27], off scope:SCOPE_SYS
	s_wait_xcnt 0x0
	s_wait_loadcnt 0x0
	global_atomic_cmpswap_b64 v[32:33], v11, v[26:29], s[2:3] offset:24 th:TH_ATOMIC_RETURN scope:SCOPE_SYS
	s_wait_loadcnt 0x0
	global_inv scope:SCOPE_SYS
	s_wait_xcnt 0x0
	v_cmpx_ne_u64_e64 v[32:33], v[28:29]
	s_cbranch_execz .LBB1_171
; %bb.168:                              ;   in Loop: Header=BB1_117 Depth=1
	s_mov_b32 s13, 0
.LBB1_169:                              ;   Parent Loop BB1_117 Depth=1
                                        ; =>  This Inner Loop Header: Depth=2
	s_sleep 1
	s_clause 0x1
	global_load_b64 v[26:27], v11, s[2:3] offset:40
	global_load_b64 v[34:35], v11, s[2:3]
	v_mov_b64_e32 v[28:29], v[32:33]
	s_wait_loadcnt 0x1
	s_delay_alu instid0(VALU_DEP_1) | instskip(SKIP_1) | instid1(VALU_DEP_1)
	v_and_b32_e32 v3, v26, v28
	s_wait_loadcnt 0x0
	v_mad_nc_u64_u32 v[32:33], v3, 24, v[34:35]
	s_delay_alu instid0(VALU_DEP_3) | instskip(NEXT) | instid1(VALU_DEP_1)
	v_and_b32_e32 v3, v27, v29
	v_mad_u32 v33, v3, 24, v33
	global_load_b64 v[26:27], v[32:33], off scope:SCOPE_SYS
	s_wait_xcnt 0x0
	s_wait_loadcnt 0x0
	global_atomic_cmpswap_b64 v[32:33], v11, v[26:29], s[2:3] offset:24 th:TH_ATOMIC_RETURN scope:SCOPE_SYS
	s_wait_loadcnt 0x0
	global_inv scope:SCOPE_SYS
	v_cmp_eq_u64_e32 vcc_lo, v[32:33], v[28:29]
	s_or_b32 s13, vcc_lo, s13
	s_wait_xcnt 0x0
	s_and_not1_b32 exec_lo, exec_lo, s13
	s_cbranch_execnz .LBB1_169
; %bb.170:                              ;   in Loop: Header=BB1_117 Depth=1
	s_or_b32 exec_lo, exec_lo, s13
.LBB1_171:                              ;   in Loop: Header=BB1_117 Depth=1
	s_delay_alu instid0(SALU_CYCLE_1)
	s_or_b32 exec_lo, exec_lo, s12
.LBB1_172:                              ;   in Loop: Header=BB1_117 Depth=1
	s_delay_alu instid0(SALU_CYCLE_1)
	s_or_b32 exec_lo, exec_lo, s1
	s_clause 0x1
	global_load_b64 v[34:35], v11, s[2:3] offset:40
	global_load_b128 v[26:29], v11, s[2:3]
	v_readfirstlane_b32 s12, v32
	v_readfirstlane_b32 s13, v33
	s_mov_b32 s1, exec_lo
	s_wait_loadcnt 0x1
	v_and_b32_e32 v34, s12, v34
	v_and_b32_e32 v35, s13, v35
	s_delay_alu instid0(VALU_DEP_1) | instskip(SKIP_1) | instid1(VALU_DEP_1)
	v_mul_u64_e32 v[32:33], 24, v[34:35]
	s_wait_loadcnt 0x0
	v_add_nc_u64_e32 v[32:33], v[26:27], v[32:33]
	s_wait_xcnt 0x0
	s_and_saveexec_b32 s14, s0
	s_cbranch_execz .LBB1_174
; %bb.173:                              ;   in Loop: Header=BB1_117 Depth=1
	v_mov_b32_e32 v10, s1
	global_store_b128 v[32:33], v[10:13], off offset:8
.LBB1_174:                              ;   in Loop: Header=BB1_117 Depth=1
	s_wait_xcnt 0x0
	s_or_b32 exec_lo, exec_lo, s14
	v_cmp_lt_u64_e64 vcc_lo, s[6:7], 57
	v_lshlrev_b64_e32 v[34:35], 12, v[34:35]
	v_and_b32_e32 v6, 0xffffff1f, v6
	s_lshl_b32 s1, s10, 2
	s_delay_alu instid0(SALU_CYCLE_1) | instskip(SKIP_1) | instid1(VALU_DEP_3)
	s_add_co_i32 s1, s1, 28
	v_cndmask_b32_e32 v3, 0, v2, vcc_lo
	v_add_nc_u64_e32 v[28:29], v[28:29], v[34:35]
	s_delay_alu instid0(VALU_DEP_2) | instskip(NEXT) | instid1(VALU_DEP_2)
	v_or_b32_e32 v3, v6, v3
	v_readfirstlane_b32 s14, v28
	s_delay_alu instid0(VALU_DEP_3) | instskip(NEXT) | instid1(VALU_DEP_3)
	v_readfirstlane_b32 s15, v29
	v_and_or_b32 v6, 0x1e0, s1, v3
	s_clause 0x3
	global_store_b128 v30, v[6:9], s[14:15]
	global_store_b128 v30, v[14:17], s[14:15] offset:16
	global_store_b128 v30, v[18:21], s[14:15] offset:32
	;; [unrolled: 1-line block ×3, first 2 shown]
	s_wait_xcnt 0x0
	s_and_saveexec_b32 s1, s0
	s_cbranch_execz .LBB1_182
; %bb.175:                              ;   in Loop: Header=BB1_117 Depth=1
	s_clause 0x1
	global_load_b64 v[18:19], v11, s[2:3] offset:32 scope:SCOPE_SYS
	global_load_b64 v[6:7], v11, s[2:3] offset:40
	s_mov_b32 s14, exec_lo
	v_dual_mov_b32 v16, s12 :: v_dual_mov_b32 v17, s13
	s_wait_loadcnt 0x0
	v_and_b32_e32 v7, s13, v7
	v_and_b32_e32 v6, s12, v6
	s_delay_alu instid0(VALU_DEP_1) | instskip(NEXT) | instid1(VALU_DEP_1)
	v_mul_u64_e32 v[6:7], 24, v[6:7]
	v_add_nc_u64_e32 v[14:15], v[26:27], v[6:7]
	global_store_b64 v[14:15], v[18:19], off
	global_wb scope:SCOPE_SYS
	s_wait_storecnt 0x0
	s_wait_xcnt 0x0
	global_atomic_cmpswap_b64 v[8:9], v11, v[16:19], s[2:3] offset:32 th:TH_ATOMIC_RETURN scope:SCOPE_SYS
	s_wait_loadcnt 0x0
	v_cmpx_ne_u64_e64 v[8:9], v[18:19]
	s_cbranch_execz .LBB1_178
; %bb.176:                              ;   in Loop: Header=BB1_117 Depth=1
	s_mov_b32 s15, 0
.LBB1_177:                              ;   Parent Loop BB1_117 Depth=1
                                        ; =>  This Inner Loop Header: Depth=2
	v_dual_mov_b32 v6, s12 :: v_dual_mov_b32 v7, s13
	s_sleep 1
	global_store_b64 v[14:15], v[8:9], off
	global_wb scope:SCOPE_SYS
	s_wait_storecnt 0x0
	s_wait_xcnt 0x0
	global_atomic_cmpswap_b64 v[6:7], v11, v[6:9], s[2:3] offset:32 th:TH_ATOMIC_RETURN scope:SCOPE_SYS
	s_wait_loadcnt 0x0
	v_cmp_eq_u64_e32 vcc_lo, v[6:7], v[8:9]
	v_mov_b64_e32 v[8:9], v[6:7]
	s_or_b32 s15, vcc_lo, s15
	s_delay_alu instid0(SALU_CYCLE_1)
	s_and_not1_b32 exec_lo, exec_lo, s15
	s_cbranch_execnz .LBB1_177
.LBB1_178:                              ;   in Loop: Header=BB1_117 Depth=1
	s_or_b32 exec_lo, exec_lo, s14
	global_load_b64 v[6:7], v11, s[2:3] offset:16
	s_mov_b32 s15, exec_lo
	s_mov_b32 s14, exec_lo
	v_mbcnt_lo_u32_b32 v3, s15, 0
	s_wait_xcnt 0x0
	s_delay_alu instid0(VALU_DEP_1)
	v_cmpx_eq_u32_e32 0, v3
	s_cbranch_execz .LBB1_180
; %bb.179:                              ;   in Loop: Header=BB1_117 Depth=1
	s_bcnt1_i32_b32 s15, s15
	s_delay_alu instid0(SALU_CYCLE_1)
	v_mov_b32_e32 v10, s15
	global_wb scope:SCOPE_SYS
	s_wait_loadcnt 0x0
	s_wait_storecnt 0x0
	global_atomic_add_u64 v[6:7], v[10:11], off offset:8 scope:SCOPE_SYS
.LBB1_180:                              ;   in Loop: Header=BB1_117 Depth=1
	s_wait_xcnt 0x0
	s_or_b32 exec_lo, exec_lo, s14
	s_wait_loadcnt 0x0
	global_load_b64 v[8:9], v[6:7], off offset:16
	s_wait_loadcnt 0x0
	v_cmp_eq_u64_e32 vcc_lo, 0, v[8:9]
	s_cbranch_vccnz .LBB1_182
; %bb.181:                              ;   in Loop: Header=BB1_117 Depth=1
	global_load_b32 v10, v[6:7], off offset:24
	s_wait_loadcnt 0x0
	v_readfirstlane_b32 s14, v10
	global_wb scope:SCOPE_SYS
	s_wait_storecnt 0x0
	s_wait_xcnt 0x0
	global_store_b64 v[8:9], v[10:11], off scope:SCOPE_SYS
	s_and_b32 m0, s14, 0xffffff
	s_sendmsg sendmsg(MSG_INTERRUPT)
.LBB1_182:                              ;   in Loop: Header=BB1_117 Depth=1
	s_wait_xcnt 0x0
	s_or_b32 exec_lo, exec_lo, s1
	v_mov_b32_e32 v31, v11
	s_delay_alu instid0(VALU_DEP_1)
	v_add_nc_u64_e32 v[6:7], v[28:29], v[30:31]
	s_branch .LBB1_186
.LBB1_183:                              ;   in Loop: Header=BB1_186 Depth=2
	s_wait_xcnt 0x0
	s_or_b32 exec_lo, exec_lo, s1
	s_delay_alu instid0(VALU_DEP_1)
	v_readfirstlane_b32 s1, v3
	s_cmp_eq_u32 s1, 0
	s_cbranch_scc1 .LBB1_185
; %bb.184:                              ;   in Loop: Header=BB1_186 Depth=2
	s_sleep 1
	s_cbranch_execnz .LBB1_186
	s_branch .LBB1_188
.LBB1_185:                              ;   in Loop: Header=BB1_117 Depth=1
	s_branch .LBB1_188
.LBB1_186:                              ;   Parent Loop BB1_117 Depth=1
                                        ; =>  This Inner Loop Header: Depth=2
	v_mov_b32_e32 v3, 1
	s_and_saveexec_b32 s1, s0
	s_cbranch_execz .LBB1_183
; %bb.187:                              ;   in Loop: Header=BB1_186 Depth=2
	global_load_b32 v3, v[32:33], off offset:20 scope:SCOPE_SYS
	s_wait_loadcnt 0x0
	global_inv scope:SCOPE_SYS
	v_and_b32_e32 v3, 1, v3
	s_branch .LBB1_183
.LBB1_188:                              ;   in Loop: Header=BB1_117 Depth=1
	global_load_b64 v[6:7], v[6:7], off
	s_wait_xcnt 0x0
	s_and_saveexec_b32 s14, s0
	s_cbranch_execz .LBB1_116
; %bb.189:                              ;   in Loop: Header=BB1_117 Depth=1
	s_clause 0x2
	global_load_b64 v[8:9], v11, s[2:3] offset:40
	global_load_b64 v[18:19], v11, s[2:3] offset:24 scope:SCOPE_SYS
	global_load_b64 v[14:15], v11, s[2:3]
	s_wait_loadcnt 0x2
	v_readfirstlane_b32 s16, v8
	v_readfirstlane_b32 s17, v9
	s_add_nc_u64 s[0:1], s[16:17], 1
	s_delay_alu instid0(SALU_CYCLE_1) | instskip(NEXT) | instid1(SALU_CYCLE_1)
	s_add_nc_u64 s[12:13], s[0:1], s[12:13]
	s_cmp_eq_u64 s[12:13], 0
	s_cselect_b32 s1, s1, s13
	s_cselect_b32 s0, s0, s12
	s_delay_alu instid0(SALU_CYCLE_1) | instskip(SKIP_1) | instid1(SALU_CYCLE_1)
	v_dual_mov_b32 v17, s1 :: v_dual_mov_b32 v16, s0
	s_and_b64 s[12:13], s[0:1], s[16:17]
	s_mul_u64 s[12:13], s[12:13], 24
	s_wait_loadcnt 0x0
	v_add_nc_u64_e32 v[8:9], s[12:13], v[14:15]
	global_store_b64 v[8:9], v[18:19], off
	global_wb scope:SCOPE_SYS
	s_wait_storecnt 0x0
	s_wait_xcnt 0x0
	global_atomic_cmpswap_b64 v[16:17], v11, v[16:19], s[2:3] offset:24 th:TH_ATOMIC_RETURN scope:SCOPE_SYS
	s_wait_loadcnt 0x0
	v_cmp_ne_u64_e32 vcc_lo, v[16:17], v[18:19]
	s_and_b32 exec_lo, exec_lo, vcc_lo
	s_cbranch_execz .LBB1_116
; %bb.190:                              ;   in Loop: Header=BB1_117 Depth=1
	s_mov_b32 s12, 0
.LBB1_191:                              ;   Parent Loop BB1_117 Depth=1
                                        ; =>  This Inner Loop Header: Depth=2
	v_dual_mov_b32 v14, s0 :: v_dual_mov_b32 v15, s1
	s_sleep 1
	global_store_b64 v[8:9], v[16:17], off
	global_wb scope:SCOPE_SYS
	s_wait_storecnt 0x0
	s_wait_xcnt 0x0
	global_atomic_cmpswap_b64 v[14:15], v11, v[14:17], s[2:3] offset:24 th:TH_ATOMIC_RETURN scope:SCOPE_SYS
	s_wait_loadcnt 0x0
	v_cmp_eq_u64_e32 vcc_lo, v[14:15], v[16:17]
	v_mov_b64_e32 v[16:17], v[14:15]
	s_or_b32 s12, vcc_lo, s12
	s_delay_alu instid0(SALU_CYCLE_1)
	s_and_not1_b32 exec_lo, exec_lo, s12
	s_cbranch_execnz .LBB1_191
	s_branch .LBB1_116
.LBB1_192:
	s_or_b32 exec_lo, exec_lo, s6
	s_branch .LBB1_114
.LBB1_193:
	v_readfirstlane_b32 s0, v48
	v_mov_b64_e32 v[8:9], 0
	s_delay_alu instid0(VALU_DEP_2)
	v_cmp_eq_u32_e64 s0, s0, v48
	s_and_saveexec_b32 s1, s0
	s_cbranch_execz .LBB1_199
; %bb.194:
	s_wait_loadcnt 0x0
	v_mov_b32_e32 v0, 0
	s_mov_b32 s4, exec_lo
	global_load_b64 v[10:11], v0, s[2:3] offset:24 scope:SCOPE_SYS
	s_wait_loadcnt 0x0
	global_inv scope:SCOPE_SYS
	s_clause 0x1
	global_load_b64 v[2:3], v0, s[2:3] offset:40
	global_load_b64 v[8:9], v0, s[2:3]
	s_wait_loadcnt 0x1
	v_and_b32_e32 v2, v2, v10
	v_and_b32_e32 v3, v3, v11
	s_delay_alu instid0(VALU_DEP_1) | instskip(SKIP_1) | instid1(VALU_DEP_1)
	v_mul_u64_e32 v[2:3], 24, v[2:3]
	s_wait_loadcnt 0x0
	v_add_nc_u64_e32 v[2:3], v[8:9], v[2:3]
	global_load_b64 v[8:9], v[2:3], off scope:SCOPE_SYS
	s_wait_xcnt 0x0
	s_wait_loadcnt 0x0
	global_atomic_cmpswap_b64 v[8:9], v0, v[8:11], s[2:3] offset:24 th:TH_ATOMIC_RETURN scope:SCOPE_SYS
	s_wait_loadcnt 0x0
	global_inv scope:SCOPE_SYS
	s_wait_xcnt 0x0
	v_cmpx_ne_u64_e64 v[8:9], v[10:11]
	s_cbranch_execz .LBB1_198
; %bb.195:
	s_mov_b32 s5, 0
.LBB1_196:                              ; =>This Inner Loop Header: Depth=1
	s_sleep 1
	s_clause 0x1
	global_load_b64 v[2:3], v0, s[2:3] offset:40
	global_load_b64 v[12:13], v0, s[2:3]
	v_mov_b64_e32 v[10:11], v[8:9]
	s_wait_loadcnt 0x1
	s_delay_alu instid0(VALU_DEP_1) | instskip(SKIP_1) | instid1(VALU_DEP_1)
	v_and_b32_e32 v1, v2, v10
	s_wait_loadcnt 0x0
	v_mad_nc_u64_u32 v[8:9], v1, 24, v[12:13]
	s_delay_alu instid0(VALU_DEP_3) | instskip(NEXT) | instid1(VALU_DEP_1)
	v_and_b32_e32 v1, v3, v11
	v_mad_u32 v9, v1, 24, v9
	global_load_b64 v[8:9], v[8:9], off scope:SCOPE_SYS
	s_wait_xcnt 0x0
	s_wait_loadcnt 0x0
	global_atomic_cmpswap_b64 v[8:9], v0, v[8:11], s[2:3] offset:24 th:TH_ATOMIC_RETURN scope:SCOPE_SYS
	s_wait_loadcnt 0x0
	global_inv scope:SCOPE_SYS
	v_cmp_eq_u64_e32 vcc_lo, v[8:9], v[10:11]
	s_or_b32 s5, vcc_lo, s5
	s_wait_xcnt 0x0
	s_and_not1_b32 exec_lo, exec_lo, s5
	s_cbranch_execnz .LBB1_196
; %bb.197:
	s_or_b32 exec_lo, exec_lo, s5
.LBB1_198:
	s_delay_alu instid0(SALU_CYCLE_1)
	s_or_b32 exec_lo, exec_lo, s4
.LBB1_199:
	s_delay_alu instid0(SALU_CYCLE_1)
	s_or_b32 exec_lo, exec_lo, s1
	v_readfirstlane_b32 s4, v8
	v_mov_b32_e32 v31, 0
	v_readfirstlane_b32 s5, v9
	s_mov_b32 s1, exec_lo
	global_load_b64 v[10:11], v31, s[2:3] offset:40
	s_wait_loadcnt 0x1
	global_load_b128 v[0:3], v31, s[2:3]
	s_wait_loadcnt 0x1
	v_and_b32_e32 v8, s4, v10
	v_and_b32_e32 v9, s5, v11
	s_delay_alu instid0(VALU_DEP_1) | instskip(SKIP_1) | instid1(VALU_DEP_1)
	v_mul_u64_e32 v[10:11], 24, v[8:9]
	s_wait_loadcnt 0x0
	v_add_nc_u64_e32 v[10:11], v[0:1], v[10:11]
	s_wait_xcnt 0x0
	s_and_saveexec_b32 s6, s0
	s_cbranch_execz .LBB1_201
; %bb.200:
	v_mov_b64_e32 v[14:15], 0x100000002
	v_dual_mov_b32 v12, s1 :: v_dual_mov_b32 v13, v31
	global_store_b128 v[10:11], v[12:15], off offset:8
.LBB1_201:
	s_wait_xcnt 0x0
	s_or_b32 exec_lo, exec_lo, s6
	v_lshlrev_b64_e32 v[8:9], 12, v[8:9]
	s_mov_b32 s12, 0
	v_and_or_b32 v6, 0xffffff1f, v6, 32
	s_mov_b32 s14, s12
	s_mov_b32 s15, s12
	;; [unrolled: 1-line block ×3, first 2 shown]
	v_mov_b64_e32 v[16:17], s[14:15]
	v_add_nc_u64_e32 v[12:13], v[2:3], v[8:9]
	v_mov_b64_e32 v[14:15], s[12:13]
	v_dual_mov_b32 v8, v31 :: v_dual_mov_b32 v9, v31
	s_delay_alu instid0(VALU_DEP_3) | instskip(NEXT) | instid1(VALU_DEP_4)
	v_readfirstlane_b32 s6, v12
	v_readfirstlane_b32 s7, v13
	s_clause 0x3
	global_store_b128 v30, v[6:9], s[6:7]
	global_store_b128 v30, v[14:17], s[6:7] offset:16
	global_store_b128 v30, v[14:17], s[6:7] offset:32
	;; [unrolled: 1-line block ×3, first 2 shown]
	s_wait_xcnt 0x0
	s_and_saveexec_b32 s1, s0
	s_cbranch_execz .LBB1_209
; %bb.202:
	v_dual_mov_b32 v8, 0 :: v_dual_mov_b32 v15, s5
	s_mov_b32 s6, exec_lo
	s_clause 0x1
	global_load_b64 v[16:17], v8, s[2:3] offset:32 scope:SCOPE_SYS
	global_load_b64 v[2:3], v8, s[2:3] offset:40
	s_wait_loadcnt 0x0
	v_dual_mov_b32 v14, s4 :: v_dual_bitop2_b32 v3, s5, v3 bitop3:0x40
	v_and_b32_e32 v2, s4, v2
	s_delay_alu instid0(VALU_DEP_1) | instskip(NEXT) | instid1(VALU_DEP_1)
	v_mul_u64_e32 v[2:3], 24, v[2:3]
	v_add_nc_u64_e32 v[6:7], v[0:1], v[2:3]
	global_store_b64 v[6:7], v[16:17], off
	global_wb scope:SCOPE_SYS
	s_wait_storecnt 0x0
	s_wait_xcnt 0x0
	global_atomic_cmpswap_b64 v[2:3], v8, v[14:17], s[2:3] offset:32 th:TH_ATOMIC_RETURN scope:SCOPE_SYS
	s_wait_loadcnt 0x0
	v_cmpx_ne_u64_e64 v[2:3], v[16:17]
	s_cbranch_execz .LBB1_205
; %bb.203:
	s_mov_b32 s7, 0
.LBB1_204:                              ; =>This Inner Loop Header: Depth=1
	v_dual_mov_b32 v0, s4 :: v_dual_mov_b32 v1, s5
	s_sleep 1
	global_store_b64 v[6:7], v[2:3], off
	global_wb scope:SCOPE_SYS
	s_wait_storecnt 0x0
	s_wait_xcnt 0x0
	global_atomic_cmpswap_b64 v[0:1], v8, v[0:3], s[2:3] offset:32 th:TH_ATOMIC_RETURN scope:SCOPE_SYS
	s_wait_loadcnt 0x0
	v_cmp_eq_u64_e32 vcc_lo, v[0:1], v[2:3]
	v_mov_b64_e32 v[2:3], v[0:1]
	s_or_b32 s7, vcc_lo, s7
	s_delay_alu instid0(SALU_CYCLE_1)
	s_and_not1_b32 exec_lo, exec_lo, s7
	s_cbranch_execnz .LBB1_204
.LBB1_205:
	s_or_b32 exec_lo, exec_lo, s6
	v_mov_b32_e32 v3, 0
	s_mov_b32 s7, exec_lo
	s_mov_b32 s6, exec_lo
	v_mbcnt_lo_u32_b32 v2, s7, 0
	global_load_b64 v[0:1], v3, s[2:3] offset:16
	s_wait_xcnt 0x0
	v_cmpx_eq_u32_e32 0, v2
	s_cbranch_execz .LBB1_207
; %bb.206:
	s_bcnt1_i32_b32 s7, s7
	s_delay_alu instid0(SALU_CYCLE_1)
	v_mov_b32_e32 v2, s7
	global_wb scope:SCOPE_SYS
	s_wait_loadcnt 0x0
	s_wait_storecnt 0x0
	global_atomic_add_u64 v[0:1], v[2:3], off offset:8 scope:SCOPE_SYS
.LBB1_207:
	s_wait_xcnt 0x0
	s_or_b32 exec_lo, exec_lo, s6
	s_wait_loadcnt 0x0
	global_load_b64 v[2:3], v[0:1], off offset:16
	s_wait_loadcnt 0x0
	v_cmp_eq_u64_e32 vcc_lo, 0, v[2:3]
	s_cbranch_vccnz .LBB1_209
; %bb.208:
	global_load_b32 v0, v[0:1], off offset:24
	s_wait_xcnt 0x0
	v_mov_b32_e32 v1, 0
	s_wait_loadcnt 0x0
	v_readfirstlane_b32 s6, v0
	global_wb scope:SCOPE_SYS
	s_wait_storecnt 0x0
	global_store_b64 v[2:3], v[0:1], off scope:SCOPE_SYS
	s_and_b32 m0, s6, 0xffffff
	s_sendmsg sendmsg(MSG_INTERRUPT)
.LBB1_209:
	s_wait_xcnt 0x0
	s_or_b32 exec_lo, exec_lo, s1
	v_add_nc_u64_e32 v[0:1], v[12:13], v[30:31]
	s_branch .LBB1_213
.LBB1_210:                              ;   in Loop: Header=BB1_213 Depth=1
	s_wait_xcnt 0x0
	s_or_b32 exec_lo, exec_lo, s1
	s_delay_alu instid0(VALU_DEP_1)
	v_readfirstlane_b32 s1, v2
	s_cmp_eq_u32 s1, 0
	s_cbranch_scc1 .LBB1_212
; %bb.211:                              ;   in Loop: Header=BB1_213 Depth=1
	s_sleep 1
	s_cbranch_execnz .LBB1_213
	s_branch .LBB1_216
.LBB1_212:
	s_branch .LBB1_216
.LBB1_213:                              ; =>This Inner Loop Header: Depth=1
	v_mov_b32_e32 v2, 1
	s_and_saveexec_b32 s1, s0
	s_cbranch_execz .LBB1_210
; %bb.214:                              ;   in Loop: Header=BB1_213 Depth=1
	global_load_b32 v2, v[10:11], off offset:20 scope:SCOPE_SYS
	s_wait_loadcnt 0x0
	global_inv scope:SCOPE_SYS
	v_and_b32_e32 v2, 1, v2
	s_branch .LBB1_210
.LBB1_215:
	s_branch .LBB1_249
.LBB1_216:
	global_load_b64 v[0:1], v[0:1], off
	s_wait_xcnt 0x0
	s_and_saveexec_b32 s6, s0
	s_cbranch_execz .LBB1_220
; %bb.217:
	v_mov_b32_e32 v10, 0
	s_clause 0x2
	global_load_b64 v[2:3], v10, s[2:3] offset:40
	global_load_b64 v[14:15], v10, s[2:3] offset:24 scope:SCOPE_SYS
	global_load_b64 v[6:7], v10, s[2:3]
	s_wait_loadcnt 0x2
	v_readfirstlane_b32 s10, v2
	v_readfirstlane_b32 s11, v3
	s_add_nc_u64 s[0:1], s[10:11], 1
	s_delay_alu instid0(SALU_CYCLE_1) | instskip(NEXT) | instid1(SALU_CYCLE_1)
	s_add_nc_u64 s[4:5], s[0:1], s[4:5]
	s_cmp_eq_u64 s[4:5], 0
	s_cselect_b32 s1, s1, s5
	s_cselect_b32 s0, s0, s4
	v_mov_b32_e32 v13, s1
	s_and_b64 s[4:5], s[0:1], s[10:11]
	v_mov_b32_e32 v12, s0
	s_mul_u64 s[4:5], s[4:5], 24
	s_wait_loadcnt 0x0
	v_add_nc_u64_e32 v[2:3], s[4:5], v[6:7]
	global_store_b64 v[2:3], v[14:15], off
	global_wb scope:SCOPE_SYS
	s_wait_storecnt 0x0
	s_wait_xcnt 0x0
	global_atomic_cmpswap_b64 v[8:9], v10, v[12:15], s[2:3] offset:24 th:TH_ATOMIC_RETURN scope:SCOPE_SYS
	s_wait_loadcnt 0x0
	v_cmp_ne_u64_e32 vcc_lo, v[8:9], v[14:15]
	s_and_b32 exec_lo, exec_lo, vcc_lo
	s_cbranch_execz .LBB1_220
; %bb.218:
	s_mov_b32 s4, 0
.LBB1_219:                              ; =>This Inner Loop Header: Depth=1
	v_dual_mov_b32 v6, s0 :: v_dual_mov_b32 v7, s1
	s_sleep 1
	global_store_b64 v[2:3], v[8:9], off
	global_wb scope:SCOPE_SYS
	s_wait_storecnt 0x0
	s_wait_xcnt 0x0
	global_atomic_cmpswap_b64 v[6:7], v10, v[6:9], s[2:3] offset:24 th:TH_ATOMIC_RETURN scope:SCOPE_SYS
	s_wait_loadcnt 0x0
	v_cmp_eq_u64_e32 vcc_lo, v[6:7], v[8:9]
	v_mov_b64_e32 v[8:9], v[6:7]
	s_or_b32 s4, vcc_lo, s4
	s_delay_alu instid0(SALU_CYCLE_1)
	s_and_not1_b32 exec_lo, exec_lo, s4
	s_cbranch_execnz .LBB1_219
.LBB1_220:
	s_or_b32 exec_lo, exec_lo, s6
	s_get_pc_i64 s[4:5]
	s_add_nc_u64 s[4:5], s[4:5], .str.4@rel64+4
	s_delay_alu instid0(SALU_CYCLE_1)
	s_cmp_lg_u64 s[4:5], 0
	s_cbranch_scc1 .LBB1_115
.LBB1_221:
                                        ; implicit-def: $vgpr6_vgpr7
	s_cbranch_execz .LBB1_249
; %bb.222:
	v_readfirstlane_b32 s0, v48
	v_mov_b64_e32 v[2:3], 0
	s_delay_alu instid0(VALU_DEP_2)
	v_cmp_eq_u32_e64 s0, s0, v48
	s_and_saveexec_b32 s1, s0
	s_cbranch_execz .LBB1_228
; %bb.223:
	s_wait_loadcnt 0x0
	v_mov_b32_e32 v6, 0
	s_mov_b32 s4, exec_lo
	global_load_b64 v[10:11], v6, s[2:3] offset:24 scope:SCOPE_SYS
	s_wait_loadcnt 0x0
	global_inv scope:SCOPE_SYS
	s_clause 0x1
	global_load_b64 v[2:3], v6, s[2:3] offset:40
	global_load_b64 v[8:9], v6, s[2:3]
	s_wait_loadcnt 0x1
	v_and_b32_e32 v2, v2, v10
	v_and_b32_e32 v3, v3, v11
	s_delay_alu instid0(VALU_DEP_1) | instskip(SKIP_1) | instid1(VALU_DEP_1)
	v_mul_u64_e32 v[2:3], 24, v[2:3]
	s_wait_loadcnt 0x0
	v_add_nc_u64_e32 v[2:3], v[8:9], v[2:3]
	global_load_b64 v[8:9], v[2:3], off scope:SCOPE_SYS
	s_wait_xcnt 0x0
	s_wait_loadcnt 0x0
	global_atomic_cmpswap_b64 v[2:3], v6, v[8:11], s[2:3] offset:24 th:TH_ATOMIC_RETURN scope:SCOPE_SYS
	s_wait_loadcnt 0x0
	global_inv scope:SCOPE_SYS
	s_wait_xcnt 0x0
	v_cmpx_ne_u64_e64 v[2:3], v[10:11]
	s_cbranch_execz .LBB1_227
; %bb.224:
	s_mov_b32 s5, 0
.LBB1_225:                              ; =>This Inner Loop Header: Depth=1
	s_sleep 1
	s_clause 0x1
	global_load_b64 v[8:9], v6, s[2:3] offset:40
	global_load_b64 v[12:13], v6, s[2:3]
	v_mov_b64_e32 v[10:11], v[2:3]
	s_wait_loadcnt 0x1
	s_delay_alu instid0(VALU_DEP_1) | instskip(NEXT) | instid1(VALU_DEP_2)
	v_and_b32_e32 v2, v8, v10
	v_and_b32_e32 v7, v9, v11
	s_wait_loadcnt 0x0
	s_delay_alu instid0(VALU_DEP_2) | instskip(NEXT) | instid1(VALU_DEP_1)
	v_mad_nc_u64_u32 v[2:3], v2, 24, v[12:13]
	v_mad_u32 v3, v7, 24, v3
	global_load_b64 v[8:9], v[2:3], off scope:SCOPE_SYS
	s_wait_xcnt 0x0
	s_wait_loadcnt 0x0
	global_atomic_cmpswap_b64 v[2:3], v6, v[8:11], s[2:3] offset:24 th:TH_ATOMIC_RETURN scope:SCOPE_SYS
	s_wait_loadcnt 0x0
	global_inv scope:SCOPE_SYS
	v_cmp_eq_u64_e32 vcc_lo, v[2:3], v[10:11]
	s_or_b32 s5, vcc_lo, s5
	s_wait_xcnt 0x0
	s_and_not1_b32 exec_lo, exec_lo, s5
	s_cbranch_execnz .LBB1_225
; %bb.226:
	s_or_b32 exec_lo, exec_lo, s5
.LBB1_227:
	s_delay_alu instid0(SALU_CYCLE_1)
	s_or_b32 exec_lo, exec_lo, s4
.LBB1_228:
	s_delay_alu instid0(SALU_CYCLE_1)
	s_or_b32 exec_lo, exec_lo, s1
	v_readfirstlane_b32 s4, v2
	v_mov_b32_e32 v31, 0
	v_readfirstlane_b32 s5, v3
	s_mov_b32 s1, exec_lo
	global_load_b64 v[10:11], v31, s[2:3] offset:40
	s_wait_loadcnt 0x1
	global_load_b128 v[6:9], v31, s[2:3]
	s_wait_loadcnt 0x1
	v_and_b32_e32 v2, s4, v10
	v_and_b32_e32 v3, s5, v11
	s_delay_alu instid0(VALU_DEP_1) | instskip(SKIP_1) | instid1(VALU_DEP_1)
	v_mul_u64_e32 v[10:11], 24, v[2:3]
	s_wait_loadcnt 0x0
	v_add_nc_u64_e32 v[10:11], v[6:7], v[10:11]
	s_wait_xcnt 0x0
	s_and_saveexec_b32 s6, s0
	s_cbranch_execz .LBB1_230
; %bb.229:
	v_mov_b64_e32 v[14:15], 0x100000002
	v_dual_mov_b32 v12, s1 :: v_dual_mov_b32 v13, v31
	global_store_b128 v[10:11], v[12:15], off offset:8
.LBB1_230:
	s_wait_xcnt 0x0
	s_or_b32 exec_lo, exec_lo, s6
	v_lshlrev_b64_e32 v[2:3], 12, v[2:3]
	s_mov_b32 s12, 0
	v_and_or_b32 v0, 0xffffff1f, v0, 32
	s_mov_b32 s13, s12
	s_mov_b32 s14, s12
	;; [unrolled: 1-line block ×3, first 2 shown]
	v_mov_b64_e32 v[12:13], s[12:13]
	v_add_nc_u64_e32 v[8:9], v[8:9], v[2:3]
	v_mov_b64_e32 v[14:15], s[14:15]
	v_dual_mov_b32 v2, v31 :: v_dual_mov_b32 v3, v31
	s_delay_alu instid0(VALU_DEP_3) | instskip(NEXT) | instid1(VALU_DEP_4)
	v_readfirstlane_b32 s6, v8
	v_readfirstlane_b32 s7, v9
	s_clause 0x3
	global_store_b128 v30, v[0:3], s[6:7]
	global_store_b128 v30, v[12:15], s[6:7] offset:16
	global_store_b128 v30, v[12:15], s[6:7] offset:32
	;; [unrolled: 1-line block ×3, first 2 shown]
	s_wait_xcnt 0x0
	s_and_saveexec_b32 s1, s0
	s_cbranch_execz .LBB1_238
; %bb.231:
	v_dual_mov_b32 v12, 0 :: v_dual_mov_b32 v15, s5
	s_mov_b32 s6, exec_lo
	s_clause 0x1
	global_load_b64 v[16:17], v12, s[2:3] offset:32 scope:SCOPE_SYS
	global_load_b64 v[0:1], v12, s[2:3] offset:40
	s_wait_loadcnt 0x0
	v_dual_mov_b32 v14, s4 :: v_dual_bitop2_b32 v1, s5, v1 bitop3:0x40
	v_and_b32_e32 v0, s4, v0
	s_delay_alu instid0(VALU_DEP_1) | instskip(NEXT) | instid1(VALU_DEP_1)
	v_mul_u64_e32 v[0:1], 24, v[0:1]
	v_add_nc_u64_e32 v[6:7], v[6:7], v[0:1]
	global_store_b64 v[6:7], v[16:17], off
	global_wb scope:SCOPE_SYS
	s_wait_storecnt 0x0
	s_wait_xcnt 0x0
	global_atomic_cmpswap_b64 v[2:3], v12, v[14:17], s[2:3] offset:32 th:TH_ATOMIC_RETURN scope:SCOPE_SYS
	s_wait_loadcnt 0x0
	v_cmpx_ne_u64_e64 v[2:3], v[16:17]
	s_cbranch_execz .LBB1_234
; %bb.232:
	s_mov_b32 s7, 0
.LBB1_233:                              ; =>This Inner Loop Header: Depth=1
	v_dual_mov_b32 v0, s4 :: v_dual_mov_b32 v1, s5
	s_sleep 1
	global_store_b64 v[6:7], v[2:3], off
	global_wb scope:SCOPE_SYS
	s_wait_storecnt 0x0
	s_wait_xcnt 0x0
	global_atomic_cmpswap_b64 v[0:1], v12, v[0:3], s[2:3] offset:32 th:TH_ATOMIC_RETURN scope:SCOPE_SYS
	s_wait_loadcnt 0x0
	v_cmp_eq_u64_e32 vcc_lo, v[0:1], v[2:3]
	v_mov_b64_e32 v[2:3], v[0:1]
	s_or_b32 s7, vcc_lo, s7
	s_delay_alu instid0(SALU_CYCLE_1)
	s_and_not1_b32 exec_lo, exec_lo, s7
	s_cbranch_execnz .LBB1_233
.LBB1_234:
	s_or_b32 exec_lo, exec_lo, s6
	v_mov_b32_e32 v3, 0
	s_mov_b32 s7, exec_lo
	s_mov_b32 s6, exec_lo
	v_mbcnt_lo_u32_b32 v2, s7, 0
	global_load_b64 v[0:1], v3, s[2:3] offset:16
	s_wait_xcnt 0x0
	v_cmpx_eq_u32_e32 0, v2
	s_cbranch_execz .LBB1_236
; %bb.235:
	s_bcnt1_i32_b32 s7, s7
	s_delay_alu instid0(SALU_CYCLE_1)
	v_mov_b32_e32 v2, s7
	global_wb scope:SCOPE_SYS
	s_wait_loadcnt 0x0
	s_wait_storecnt 0x0
	global_atomic_add_u64 v[0:1], v[2:3], off offset:8 scope:SCOPE_SYS
.LBB1_236:
	s_wait_xcnt 0x0
	s_or_b32 exec_lo, exec_lo, s6
	s_wait_loadcnt 0x0
	global_load_b64 v[2:3], v[0:1], off offset:16
	s_wait_loadcnt 0x0
	v_cmp_eq_u64_e32 vcc_lo, 0, v[2:3]
	s_cbranch_vccnz .LBB1_238
; %bb.237:
	global_load_b32 v0, v[0:1], off offset:24
	s_wait_xcnt 0x0
	v_mov_b32_e32 v1, 0
	s_wait_loadcnt 0x0
	v_readfirstlane_b32 s6, v0
	global_wb scope:SCOPE_SYS
	s_wait_storecnt 0x0
	global_store_b64 v[2:3], v[0:1], off scope:SCOPE_SYS
	s_and_b32 m0, s6, 0xffffff
	s_sendmsg sendmsg(MSG_INTERRUPT)
.LBB1_238:
	s_wait_xcnt 0x0
	s_or_b32 exec_lo, exec_lo, s1
	v_add_nc_u64_e32 v[0:1], v[8:9], v[30:31]
	s_branch .LBB1_242
.LBB1_239:                              ;   in Loop: Header=BB1_242 Depth=1
	s_wait_xcnt 0x0
	s_or_b32 exec_lo, exec_lo, s1
	s_delay_alu instid0(VALU_DEP_1)
	v_readfirstlane_b32 s1, v2
	s_cmp_eq_u32 s1, 0
	s_cbranch_scc1 .LBB1_241
; %bb.240:                              ;   in Loop: Header=BB1_242 Depth=1
	s_sleep 1
	s_cbranch_execnz .LBB1_242
	s_branch .LBB1_244
.LBB1_241:
	s_branch .LBB1_244
.LBB1_242:                              ; =>This Inner Loop Header: Depth=1
	v_mov_b32_e32 v2, 1
	s_and_saveexec_b32 s1, s0
	s_cbranch_execz .LBB1_239
; %bb.243:                              ;   in Loop: Header=BB1_242 Depth=1
	global_load_b32 v2, v[10:11], off offset:20 scope:SCOPE_SYS
	s_wait_loadcnt 0x0
	global_inv scope:SCOPE_SYS
	v_and_b32_e32 v2, 1, v2
	s_branch .LBB1_239
.LBB1_244:
	global_load_b64 v[6:7], v[0:1], off
	s_wait_xcnt 0x0
	s_and_saveexec_b32 s6, s0
	s_cbranch_execz .LBB1_248
; %bb.245:
	v_mov_b32_e32 v10, 0
	s_clause 0x2
	global_load_b64 v[0:1], v10, s[2:3] offset:40
	global_load_b64 v[14:15], v10, s[2:3] offset:24 scope:SCOPE_SYS
	global_load_b64 v[2:3], v10, s[2:3]
	s_wait_loadcnt 0x2
	v_readfirstlane_b32 s10, v0
	v_readfirstlane_b32 s11, v1
	s_add_nc_u64 s[0:1], s[10:11], 1
	s_delay_alu instid0(SALU_CYCLE_1) | instskip(NEXT) | instid1(SALU_CYCLE_1)
	s_add_nc_u64 s[4:5], s[0:1], s[4:5]
	s_cmp_eq_u64 s[4:5], 0
	s_cselect_b32 s1, s1, s5
	s_cselect_b32 s0, s0, s4
	v_mov_b32_e32 v13, s1
	s_and_b64 s[4:5], s[0:1], s[10:11]
	v_mov_b32_e32 v12, s0
	s_mul_u64 s[4:5], s[4:5], 24
	s_wait_loadcnt 0x0
	v_add_nc_u64_e32 v[8:9], s[4:5], v[2:3]
	global_store_b64 v[8:9], v[14:15], off
	global_wb scope:SCOPE_SYS
	s_wait_storecnt 0x0
	s_wait_xcnt 0x0
	global_atomic_cmpswap_b64 v[2:3], v10, v[12:15], s[2:3] offset:24 th:TH_ATOMIC_RETURN scope:SCOPE_SYS
	s_wait_loadcnt 0x0
	v_cmp_ne_u64_e32 vcc_lo, v[2:3], v[14:15]
	s_and_b32 exec_lo, exec_lo, vcc_lo
	s_cbranch_execz .LBB1_248
; %bb.246:
	s_mov_b32 s4, 0
.LBB1_247:                              ; =>This Inner Loop Header: Depth=1
	v_dual_mov_b32 v0, s0 :: v_dual_mov_b32 v1, s1
	s_sleep 1
	global_store_b64 v[8:9], v[2:3], off
	global_wb scope:SCOPE_SYS
	s_wait_storecnt 0x0
	s_wait_xcnt 0x0
	global_atomic_cmpswap_b64 v[0:1], v10, v[0:3], s[2:3] offset:24 th:TH_ATOMIC_RETURN scope:SCOPE_SYS
	s_wait_loadcnt 0x0
	v_cmp_eq_u64_e32 vcc_lo, v[0:1], v[2:3]
	v_mov_b64_e32 v[2:3], v[0:1]
	s_or_b32 s4, vcc_lo, s4
	s_delay_alu instid0(SALU_CYCLE_1)
	s_and_not1_b32 exec_lo, exec_lo, s4
	s_cbranch_execnz .LBB1_247
.LBB1_248:
	s_or_b32 exec_lo, exec_lo, s6
.LBB1_249:
	v_readfirstlane_b32 s0, v48
	v_mov_b64_e32 v[8:9], 0
	s_delay_alu instid0(VALU_DEP_2)
	v_cmp_eq_u32_e64 s0, s0, v48
	s_and_saveexec_b32 s1, s0
	s_cbranch_execz .LBB1_255
; %bb.250:
	s_wait_loadcnt 0x0
	v_mov_b32_e32 v0, 0
	s_mov_b32 s4, exec_lo
	global_load_b64 v[10:11], v0, s[2:3] offset:24 scope:SCOPE_SYS
	s_wait_loadcnt 0x0
	global_inv scope:SCOPE_SYS
	s_clause 0x1
	global_load_b64 v[2:3], v0, s[2:3] offset:40
	global_load_b64 v[8:9], v0, s[2:3]
	s_wait_loadcnt 0x1
	v_and_b32_e32 v2, v2, v10
	v_and_b32_e32 v3, v3, v11
	s_delay_alu instid0(VALU_DEP_1) | instskip(SKIP_1) | instid1(VALU_DEP_1)
	v_mul_u64_e32 v[2:3], 24, v[2:3]
	s_wait_loadcnt 0x0
	v_add_nc_u64_e32 v[2:3], v[8:9], v[2:3]
	global_load_b64 v[8:9], v[2:3], off scope:SCOPE_SYS
	s_wait_xcnt 0x0
	s_wait_loadcnt 0x0
	global_atomic_cmpswap_b64 v[8:9], v0, v[8:11], s[2:3] offset:24 th:TH_ATOMIC_RETURN scope:SCOPE_SYS
	s_wait_loadcnt 0x0
	global_inv scope:SCOPE_SYS
	s_wait_xcnt 0x0
	v_cmpx_ne_u64_e64 v[8:9], v[10:11]
	s_cbranch_execz .LBB1_254
; %bb.251:
	s_mov_b32 s5, 0
.LBB1_252:                              ; =>This Inner Loop Header: Depth=1
	s_sleep 1
	s_clause 0x1
	global_load_b64 v[2:3], v0, s[2:3] offset:40
	global_load_b64 v[12:13], v0, s[2:3]
	v_mov_b64_e32 v[10:11], v[8:9]
	s_wait_loadcnt 0x1
	s_delay_alu instid0(VALU_DEP_1) | instskip(SKIP_1) | instid1(VALU_DEP_1)
	v_and_b32_e32 v1, v2, v10
	s_wait_loadcnt 0x0
	v_mad_nc_u64_u32 v[8:9], v1, 24, v[12:13]
	s_delay_alu instid0(VALU_DEP_3) | instskip(NEXT) | instid1(VALU_DEP_1)
	v_and_b32_e32 v1, v3, v11
	v_mad_u32 v9, v1, 24, v9
	global_load_b64 v[8:9], v[8:9], off scope:SCOPE_SYS
	s_wait_xcnt 0x0
	s_wait_loadcnt 0x0
	global_atomic_cmpswap_b64 v[8:9], v0, v[8:11], s[2:3] offset:24 th:TH_ATOMIC_RETURN scope:SCOPE_SYS
	s_wait_loadcnt 0x0
	global_inv scope:SCOPE_SYS
	v_cmp_eq_u64_e32 vcc_lo, v[8:9], v[10:11]
	s_or_b32 s5, vcc_lo, s5
	s_wait_xcnt 0x0
	s_and_not1_b32 exec_lo, exec_lo, s5
	s_cbranch_execnz .LBB1_252
; %bb.253:
	s_or_b32 exec_lo, exec_lo, s5
.LBB1_254:
	s_delay_alu instid0(SALU_CYCLE_1)
	s_or_b32 exec_lo, exec_lo, s4
.LBB1_255:
	s_delay_alu instid0(SALU_CYCLE_1)
	s_or_b32 exec_lo, exec_lo, s1
	v_readfirstlane_b32 s4, v8
	v_mov_b32_e32 v31, 0
	v_readfirstlane_b32 s5, v9
	s_mov_b32 s1, exec_lo
	global_load_b64 v[10:11], v31, s[2:3] offset:40
	s_wait_loadcnt 0x1
	global_load_b128 v[0:3], v31, s[2:3]
	s_wait_loadcnt 0x1
	v_and_b32_e32 v8, s4, v10
	v_and_b32_e32 v9, s5, v11
	s_delay_alu instid0(VALU_DEP_1) | instskip(SKIP_1) | instid1(VALU_DEP_1)
	v_mul_u64_e32 v[10:11], 24, v[8:9]
	s_wait_loadcnt 0x0
	v_add_nc_u64_e32 v[10:11], v[0:1], v[10:11]
	s_wait_xcnt 0x0
	s_and_saveexec_b32 s6, s0
	s_cbranch_execz .LBB1_257
; %bb.256:
	v_mov_b64_e32 v[14:15], 0x100000002
	v_dual_mov_b32 v12, s1 :: v_dual_mov_b32 v13, v31
	global_store_b128 v[10:11], v[12:15], off offset:8
.LBB1_257:
	s_wait_xcnt 0x0
	s_or_b32 exec_lo, exec_lo, s6
	v_lshlrev_b64_e32 v[8:9], 12, v[8:9]
	s_mov_b32 s12, 0
	v_and_or_b32 v6, 0xffffff1f, v6, 32
	s_mov_b32 s14, s12
	s_mov_b32 s15, s12
	s_mov_b32 s13, s12
	v_mov_b64_e32 v[16:17], s[14:15]
	v_add_nc_u64_e32 v[12:13], v[2:3], v[8:9]
	v_mov_b64_e32 v[14:15], s[12:13]
	v_dual_mov_b32 v8, 0x331 :: v_dual_mov_b32 v9, v31
	s_delay_alu instid0(VALU_DEP_3) | instskip(NEXT) | instid1(VALU_DEP_4)
	v_readfirstlane_b32 s6, v12
	v_readfirstlane_b32 s7, v13
	s_clause 0x3
	global_store_b128 v30, v[6:9], s[6:7]
	global_store_b128 v30, v[14:17], s[6:7] offset:16
	global_store_b128 v30, v[14:17], s[6:7] offset:32
	;; [unrolled: 1-line block ×3, first 2 shown]
	s_wait_xcnt 0x0
	s_and_saveexec_b32 s1, s0
	s_cbranch_execz .LBB1_265
; %bb.258:
	v_dual_mov_b32 v8, 0 :: v_dual_mov_b32 v15, s5
	s_mov_b32 s6, exec_lo
	s_clause 0x1
	global_load_b64 v[16:17], v8, s[2:3] offset:32 scope:SCOPE_SYS
	global_load_b64 v[2:3], v8, s[2:3] offset:40
	s_wait_loadcnt 0x0
	v_dual_mov_b32 v14, s4 :: v_dual_bitop2_b32 v3, s5, v3 bitop3:0x40
	v_and_b32_e32 v2, s4, v2
	s_delay_alu instid0(VALU_DEP_1) | instskip(NEXT) | instid1(VALU_DEP_1)
	v_mul_u64_e32 v[2:3], 24, v[2:3]
	v_add_nc_u64_e32 v[6:7], v[0:1], v[2:3]
	global_store_b64 v[6:7], v[16:17], off
	global_wb scope:SCOPE_SYS
	s_wait_storecnt 0x0
	s_wait_xcnt 0x0
	global_atomic_cmpswap_b64 v[2:3], v8, v[14:17], s[2:3] offset:32 th:TH_ATOMIC_RETURN scope:SCOPE_SYS
	s_wait_loadcnt 0x0
	v_cmpx_ne_u64_e64 v[2:3], v[16:17]
	s_cbranch_execz .LBB1_261
; %bb.259:
	s_mov_b32 s7, 0
.LBB1_260:                              ; =>This Inner Loop Header: Depth=1
	v_dual_mov_b32 v0, s4 :: v_dual_mov_b32 v1, s5
	s_sleep 1
	global_store_b64 v[6:7], v[2:3], off
	global_wb scope:SCOPE_SYS
	s_wait_storecnt 0x0
	s_wait_xcnt 0x0
	global_atomic_cmpswap_b64 v[0:1], v8, v[0:3], s[2:3] offset:32 th:TH_ATOMIC_RETURN scope:SCOPE_SYS
	s_wait_loadcnt 0x0
	v_cmp_eq_u64_e32 vcc_lo, v[0:1], v[2:3]
	v_mov_b64_e32 v[2:3], v[0:1]
	s_or_b32 s7, vcc_lo, s7
	s_delay_alu instid0(SALU_CYCLE_1)
	s_and_not1_b32 exec_lo, exec_lo, s7
	s_cbranch_execnz .LBB1_260
.LBB1_261:
	s_or_b32 exec_lo, exec_lo, s6
	v_mov_b32_e32 v3, 0
	s_mov_b32 s7, exec_lo
	s_mov_b32 s6, exec_lo
	v_mbcnt_lo_u32_b32 v2, s7, 0
	global_load_b64 v[0:1], v3, s[2:3] offset:16
	s_wait_xcnt 0x0
	v_cmpx_eq_u32_e32 0, v2
	s_cbranch_execz .LBB1_263
; %bb.262:
	s_bcnt1_i32_b32 s7, s7
	s_delay_alu instid0(SALU_CYCLE_1)
	v_mov_b32_e32 v2, s7
	global_wb scope:SCOPE_SYS
	s_wait_loadcnt 0x0
	s_wait_storecnt 0x0
	global_atomic_add_u64 v[0:1], v[2:3], off offset:8 scope:SCOPE_SYS
.LBB1_263:
	s_wait_xcnt 0x0
	s_or_b32 exec_lo, exec_lo, s6
	s_wait_loadcnt 0x0
	global_load_b64 v[2:3], v[0:1], off offset:16
	s_wait_loadcnt 0x0
	v_cmp_eq_u64_e32 vcc_lo, 0, v[2:3]
	s_cbranch_vccnz .LBB1_265
; %bb.264:
	global_load_b32 v0, v[0:1], off offset:24
	s_wait_xcnt 0x0
	v_mov_b32_e32 v1, 0
	s_wait_loadcnt 0x0
	v_readfirstlane_b32 s6, v0
	global_wb scope:SCOPE_SYS
	s_wait_storecnt 0x0
	global_store_b64 v[2:3], v[0:1], off scope:SCOPE_SYS
	s_and_b32 m0, s6, 0xffffff
	s_sendmsg sendmsg(MSG_INTERRUPT)
.LBB1_265:
	s_wait_xcnt 0x0
	s_or_b32 exec_lo, exec_lo, s1
	v_add_nc_u64_e32 v[0:1], v[12:13], v[30:31]
	s_branch .LBB1_269
.LBB1_266:                              ;   in Loop: Header=BB1_269 Depth=1
	s_wait_xcnt 0x0
	s_or_b32 exec_lo, exec_lo, s1
	s_delay_alu instid0(VALU_DEP_1)
	v_readfirstlane_b32 s1, v2
	s_cmp_eq_u32 s1, 0
	s_cbranch_scc1 .LBB1_268
; %bb.267:                              ;   in Loop: Header=BB1_269 Depth=1
	s_sleep 1
	s_cbranch_execnz .LBB1_269
	s_branch .LBB1_271
.LBB1_268:
	s_branch .LBB1_271
.LBB1_269:                              ; =>This Inner Loop Header: Depth=1
	v_mov_b32_e32 v2, 1
	s_and_saveexec_b32 s1, s0
	s_cbranch_execz .LBB1_266
; %bb.270:                              ;   in Loop: Header=BB1_269 Depth=1
	global_load_b32 v2, v[10:11], off offset:20 scope:SCOPE_SYS
	s_wait_loadcnt 0x0
	global_inv scope:SCOPE_SYS
	v_and_b32_e32 v2, 1, v2
	s_branch .LBB1_266
.LBB1_271:
	global_load_b64 v[0:1], v[0:1], off
	s_wait_xcnt 0x0
	s_and_saveexec_b32 s6, s0
	s_cbranch_execz .LBB1_275
; %bb.272:
	v_mov_b32_e32 v10, 0
	s_clause 0x2
	global_load_b64 v[2:3], v10, s[2:3] offset:40
	global_load_b64 v[14:15], v10, s[2:3] offset:24 scope:SCOPE_SYS
	global_load_b64 v[6:7], v10, s[2:3]
	s_wait_loadcnt 0x2
	v_readfirstlane_b32 s10, v2
	v_readfirstlane_b32 s11, v3
	s_add_nc_u64 s[0:1], s[10:11], 1
	s_delay_alu instid0(SALU_CYCLE_1) | instskip(NEXT) | instid1(SALU_CYCLE_1)
	s_add_nc_u64 s[4:5], s[0:1], s[4:5]
	s_cmp_eq_u64 s[4:5], 0
	s_cselect_b32 s1, s1, s5
	s_cselect_b32 s0, s0, s4
	v_mov_b32_e32 v13, s1
	s_and_b64 s[4:5], s[0:1], s[10:11]
	v_mov_b32_e32 v12, s0
	s_mul_u64 s[4:5], s[4:5], 24
	s_wait_loadcnt 0x0
	v_add_nc_u64_e32 v[2:3], s[4:5], v[6:7]
	global_store_b64 v[2:3], v[14:15], off
	global_wb scope:SCOPE_SYS
	s_wait_storecnt 0x0
	s_wait_xcnt 0x0
	global_atomic_cmpswap_b64 v[8:9], v10, v[12:15], s[2:3] offset:24 th:TH_ATOMIC_RETURN scope:SCOPE_SYS
	s_wait_loadcnt 0x0
	v_cmp_ne_u64_e32 vcc_lo, v[8:9], v[14:15]
	s_and_b32 exec_lo, exec_lo, vcc_lo
	s_cbranch_execz .LBB1_275
; %bb.273:
	s_mov_b32 s4, 0
.LBB1_274:                              ; =>This Inner Loop Header: Depth=1
	v_dual_mov_b32 v6, s0 :: v_dual_mov_b32 v7, s1
	s_sleep 1
	global_store_b64 v[2:3], v[8:9], off
	global_wb scope:SCOPE_SYS
	s_wait_storecnt 0x0
	s_wait_xcnt 0x0
	global_atomic_cmpswap_b64 v[6:7], v10, v[6:9], s[2:3] offset:24 th:TH_ATOMIC_RETURN scope:SCOPE_SYS
	s_wait_loadcnt 0x0
	v_cmp_eq_u64_e32 vcc_lo, v[6:7], v[8:9]
	v_mov_b64_e32 v[8:9], v[6:7]
	s_or_b32 s4, vcc_lo, s4
	s_delay_alu instid0(SALU_CYCLE_1)
	s_and_not1_b32 exec_lo, exec_lo, s4
	s_cbranch_execnz .LBB1_274
.LBB1_275:
	s_or_b32 exec_lo, exec_lo, s6
	v_mov_b64_e32 v[2:3], v[4:5]
	s_mov_b32 s0, 0
.LBB1_276:                              ; =>This Inner Loop Header: Depth=1
	global_load_u8 v6, v[2:3], off
	s_wait_xcnt 0x0
	v_add_nc_u64_e32 v[2:3], 1, v[2:3]
	s_wait_loadcnt 0x0
	v_cmp_eq_u16_e32 vcc_lo, 0, v6
	s_or_b32 s0, vcc_lo, s0
	s_delay_alu instid0(SALU_CYCLE_1)
	s_and_not1_b32 exec_lo, exec_lo, s0
	s_cbranch_execnz .LBB1_276
; %bb.277:
	s_or_b32 exec_lo, exec_lo, s0
	s_delay_alu instid0(SALU_CYCLE_1)
	s_mov_b32 s0, exec_lo
	v_cmpx_ne_u64_e32 0, v[4:5]
	s_xor_b32 s6, exec_lo, s0
	s_cbranch_execz .LBB1_363
; %bb.278:
	v_dual_mov_b32 v31, 0 :: v_dual_sub_nc_u32 v26, v2, v4
	v_mov_b64_e32 v[8:9], 0x100000002
	v_and_b32_e32 v28, 2, v0
	s_delay_alu instid0(VALU_DEP_3)
	v_dual_ashrrev_i32 v27, 31, v26 :: v_dual_bitop2_b32 v0, -3, v0 bitop3:0x40
	s_mov_b32 s10, 0
	s_mov_b32 s7, 0
	s_branch .LBB1_280
.LBB1_279:                              ;   in Loop: Header=BB1_280 Depth=1
	s_or_b32 exec_lo, exec_lo, s11
	v_sub_nc_u64_e32 v[26:27], v[26:27], v[32:33]
	v_add_nc_u64_e32 v[4:5], v[4:5], v[32:33]
	s_delay_alu instid0(VALU_DEP_2) | instskip(SKIP_1) | instid1(SALU_CYCLE_1)
	v_cmp_eq_u64_e32 vcc_lo, 0, v[26:27]
	s_or_b32 s7, vcc_lo, s7
	s_and_not1_b32 exec_lo, exec_lo, s7
	s_cbranch_execz .LBB1_362
.LBB1_280:                              ; =>This Loop Header: Depth=1
                                        ;     Child Loop BB1_283 Depth 2
                                        ;     Child Loop BB1_291 Depth 2
	;; [unrolled: 1-line block ×11, first 2 shown]
	s_delay_alu instid0(VALU_DEP_1) | instskip(NEXT) | instid1(VALU_DEP_3)
	v_min_u64 v[32:33], v[26:27], 56
	v_add_nc_u64_e32 v[12:13], 8, v[4:5]
	s_mov_b32 s0, exec_lo
	v_cmpx_gt_u64_e32 8, v[26:27]
	s_xor_b32 s4, exec_lo, s0
	s_cbranch_execz .LBB1_286
; %bb.281:                              ;   in Loop: Header=BB1_280 Depth=1
	v_mov_b64_e32 v[2:3], 0
	s_mov_b32 s5, exec_lo
	v_cmpx_ne_u64_e32 0, v[26:27]
	s_cbranch_execz .LBB1_285
; %bb.282:                              ;   in Loop: Header=BB1_280 Depth=1
	v_mov_b64_e32 v[2:3], 0
	v_mov_b64_e32 v[10:11], v[4:5]
	v_lshlrev_b32_e32 v6, 3, v32
	s_mov_b64 s[0:1], 0
	s_mov_b32 s11, 0
.LBB1_283:                              ;   Parent Loop BB1_280 Depth=1
                                        ; =>  This Inner Loop Header: Depth=2
	global_load_u8 v7, v[10:11], off
	v_mov_b32_e32 v13, s10
	s_wait_xcnt 0x0
	v_add_nc_u64_e32 v[10:11], 1, v[10:11]
	s_wait_loadcnt 0x0
	v_and_b32_e32 v12, 0xffff, v7
	s_delay_alu instid0(VALU_DEP_1) | instskip(SKIP_1) | instid1(SALU_CYCLE_1)
	v_lshlrev_b64_e32 v[12:13], s0, v[12:13]
	s_add_nc_u64 s[0:1], s[0:1], 8
	v_cmp_eq_u32_e32 vcc_lo, s0, v6
	s_delay_alu instid0(VALU_DEP_2) | instskip(NEXT) | instid1(VALU_DEP_3)
	v_or_b32_e32 v3, v13, v3
	v_or_b32_e32 v2, v12, v2
	s_or_b32 s11, vcc_lo, s11
	s_delay_alu instid0(SALU_CYCLE_1)
	s_and_not1_b32 exec_lo, exec_lo, s11
	s_cbranch_execnz .LBB1_283
; %bb.284:                              ;   in Loop: Header=BB1_280 Depth=1
	s_or_b32 exec_lo, exec_lo, s11
.LBB1_285:                              ;   in Loop: Header=BB1_280 Depth=1
	s_delay_alu instid0(SALU_CYCLE_1)
	s_or_b32 exec_lo, exec_lo, s5
	v_mov_b64_e32 v[12:13], v[4:5]
.LBB1_286:                              ;   in Loop: Header=BB1_280 Depth=1
	s_or_saveexec_b32 s0, s4
	v_mov_b32_e32 v14, 0
	s_xor_b32 exec_lo, exec_lo, s0
	s_cbranch_execz .LBB1_288
; %bb.287:                              ;   in Loop: Header=BB1_280 Depth=1
	global_load_b64 v[2:3], v[4:5], off
	v_add_nc_u32_e32 v14, -8, v32
.LBB1_288:                              ;   in Loop: Header=BB1_280 Depth=1
	s_wait_xcnt 0x0
	s_or_b32 exec_lo, exec_lo, s0
	v_add_nc_u64_e32 v[6:7], 8, v[12:13]
                                        ; implicit-def: $vgpr10_vgpr11
	s_mov_b32 s0, exec_lo
	v_cmpx_gt_u32_e32 8, v14
	s_xor_b32 s11, exec_lo, s0
	s_cbranch_execz .LBB1_294
; %bb.289:                              ;   in Loop: Header=BB1_280 Depth=1
	v_mov_b64_e32 v[10:11], 0
	s_mov_b32 s12, exec_lo
	v_cmpx_ne_u32_e32 0, v14
	s_cbranch_execz .LBB1_293
; %bb.290:                              ;   in Loop: Header=BB1_280 Depth=1
	v_mov_b64_e32 v[10:11], 0
	s_mov_b64 s[0:1], 0
	s_mov_b32 s13, 0
	s_mov_b64 s[4:5], 0
.LBB1_291:                              ;   Parent Loop BB1_280 Depth=1
                                        ; =>  This Inner Loop Header: Depth=2
	s_delay_alu instid0(SALU_CYCLE_1) | instskip(SKIP_1) | instid1(SALU_CYCLE_1)
	v_add_nc_u64_e32 v[6:7], s[4:5], v[12:13]
	s_add_nc_u64 s[4:5], s[4:5], 1
	v_cmp_eq_u32_e32 vcc_lo, s4, v14
	global_load_u8 v6, v[6:7], off
	s_wait_xcnt 0x0
	v_mov_b32_e32 v7, s10
	s_or_b32 s13, vcc_lo, s13
	s_wait_loadcnt 0x0
	v_and_b32_e32 v6, 0xffff, v6
	s_delay_alu instid0(VALU_DEP_1) | instskip(SKIP_1) | instid1(VALU_DEP_1)
	v_lshlrev_b64_e32 v[6:7], s0, v[6:7]
	s_add_nc_u64 s[0:1], s[0:1], 8
	v_or_b32_e32 v11, v7, v11
	s_delay_alu instid0(VALU_DEP_2)
	v_or_b32_e32 v10, v6, v10
	s_and_not1_b32 exec_lo, exec_lo, s13
	s_cbranch_execnz .LBB1_291
; %bb.292:                              ;   in Loop: Header=BB1_280 Depth=1
	s_or_b32 exec_lo, exec_lo, s13
.LBB1_293:                              ;   in Loop: Header=BB1_280 Depth=1
	s_delay_alu instid0(SALU_CYCLE_1)
	s_or_b32 exec_lo, exec_lo, s12
	v_mov_b64_e32 v[6:7], v[12:13]
                                        ; implicit-def: $vgpr14
.LBB1_294:                              ;   in Loop: Header=BB1_280 Depth=1
	s_or_saveexec_b32 s0, s11
	v_mov_b32_e32 v15, 0
	s_xor_b32 exec_lo, exec_lo, s0
	s_cbranch_execz .LBB1_296
; %bb.295:                              ;   in Loop: Header=BB1_280 Depth=1
	global_load_b64 v[10:11], v[12:13], off
	v_add_nc_u32_e32 v15, -8, v14
.LBB1_296:                              ;   in Loop: Header=BB1_280 Depth=1
	s_wait_xcnt 0x0
	s_or_b32 exec_lo, exec_lo, s0
	v_add_nc_u64_e32 v[16:17], 8, v[6:7]
	s_mov_b32 s0, exec_lo
	v_cmpx_gt_u32_e32 8, v15
	s_xor_b32 s11, exec_lo, s0
	s_cbranch_execz .LBB1_302
; %bb.297:                              ;   in Loop: Header=BB1_280 Depth=1
	v_mov_b64_e32 v[12:13], 0
	s_mov_b32 s12, exec_lo
	v_cmpx_ne_u32_e32 0, v15
	s_cbranch_execz .LBB1_301
; %bb.298:                              ;   in Loop: Header=BB1_280 Depth=1
	v_mov_b64_e32 v[12:13], 0
	s_mov_b64 s[0:1], 0
	s_mov_b32 s13, 0
	s_mov_b64 s[4:5], 0
.LBB1_299:                              ;   Parent Loop BB1_280 Depth=1
                                        ; =>  This Inner Loop Header: Depth=2
	s_delay_alu instid0(SALU_CYCLE_1) | instskip(SKIP_1) | instid1(SALU_CYCLE_1)
	v_add_nc_u64_e32 v[16:17], s[4:5], v[6:7]
	s_add_nc_u64 s[4:5], s[4:5], 1
	v_cmp_eq_u32_e32 vcc_lo, s4, v15
	global_load_u8 v14, v[16:17], off
	s_wait_xcnt 0x0
	v_mov_b32_e32 v17, s10
	s_or_b32 s13, vcc_lo, s13
	s_wait_loadcnt 0x0
	v_and_b32_e32 v16, 0xffff, v14
	s_delay_alu instid0(VALU_DEP_1) | instskip(SKIP_1) | instid1(VALU_DEP_1)
	v_lshlrev_b64_e32 v[16:17], s0, v[16:17]
	s_add_nc_u64 s[0:1], s[0:1], 8
	v_or_b32_e32 v13, v17, v13
	s_delay_alu instid0(VALU_DEP_2)
	v_or_b32_e32 v12, v16, v12
	s_and_not1_b32 exec_lo, exec_lo, s13
	s_cbranch_execnz .LBB1_299
; %bb.300:                              ;   in Loop: Header=BB1_280 Depth=1
	s_or_b32 exec_lo, exec_lo, s13
.LBB1_301:                              ;   in Loop: Header=BB1_280 Depth=1
	s_delay_alu instid0(SALU_CYCLE_1)
	s_or_b32 exec_lo, exec_lo, s12
	v_mov_b64_e32 v[16:17], v[6:7]
                                        ; implicit-def: $vgpr15
.LBB1_302:                              ;   in Loop: Header=BB1_280 Depth=1
	s_or_saveexec_b32 s0, s11
	v_mov_b32_e32 v18, 0
	s_xor_b32 exec_lo, exec_lo, s0
	s_cbranch_execz .LBB1_304
; %bb.303:                              ;   in Loop: Header=BB1_280 Depth=1
	global_load_b64 v[12:13], v[6:7], off
	v_add_nc_u32_e32 v18, -8, v15
.LBB1_304:                              ;   in Loop: Header=BB1_280 Depth=1
	s_wait_xcnt 0x0
	s_or_b32 exec_lo, exec_lo, s0
	v_add_nc_u64_e32 v[6:7], 8, v[16:17]
                                        ; implicit-def: $vgpr14_vgpr15
	s_mov_b32 s0, exec_lo
	v_cmpx_gt_u32_e32 8, v18
	s_xor_b32 s11, exec_lo, s0
	s_cbranch_execz .LBB1_310
; %bb.305:                              ;   in Loop: Header=BB1_280 Depth=1
	v_mov_b64_e32 v[14:15], 0
	s_mov_b32 s12, exec_lo
	v_cmpx_ne_u32_e32 0, v18
	s_cbranch_execz .LBB1_309
; %bb.306:                              ;   in Loop: Header=BB1_280 Depth=1
	v_mov_b64_e32 v[14:15], 0
	s_mov_b64 s[0:1], 0
	s_mov_b32 s13, 0
	s_mov_b64 s[4:5], 0
.LBB1_307:                              ;   Parent Loop BB1_280 Depth=1
                                        ; =>  This Inner Loop Header: Depth=2
	s_delay_alu instid0(SALU_CYCLE_1) | instskip(SKIP_1) | instid1(SALU_CYCLE_1)
	v_add_nc_u64_e32 v[6:7], s[4:5], v[16:17]
	s_add_nc_u64 s[4:5], s[4:5], 1
	v_cmp_eq_u32_e32 vcc_lo, s4, v18
	global_load_u8 v6, v[6:7], off
	s_wait_xcnt 0x0
	v_mov_b32_e32 v7, s10
	s_or_b32 s13, vcc_lo, s13
	s_wait_loadcnt 0x0
	v_and_b32_e32 v6, 0xffff, v6
	s_delay_alu instid0(VALU_DEP_1) | instskip(SKIP_1) | instid1(VALU_DEP_1)
	v_lshlrev_b64_e32 v[6:7], s0, v[6:7]
	s_add_nc_u64 s[0:1], s[0:1], 8
	v_or_b32_e32 v15, v7, v15
	s_delay_alu instid0(VALU_DEP_2)
	v_or_b32_e32 v14, v6, v14
	s_and_not1_b32 exec_lo, exec_lo, s13
	s_cbranch_execnz .LBB1_307
; %bb.308:                              ;   in Loop: Header=BB1_280 Depth=1
	s_or_b32 exec_lo, exec_lo, s13
.LBB1_309:                              ;   in Loop: Header=BB1_280 Depth=1
	s_delay_alu instid0(SALU_CYCLE_1)
	s_or_b32 exec_lo, exec_lo, s12
	v_mov_b64_e32 v[6:7], v[16:17]
                                        ; implicit-def: $vgpr18
.LBB1_310:                              ;   in Loop: Header=BB1_280 Depth=1
	s_or_saveexec_b32 s0, s11
	v_mov_b32_e32 v19, 0
	s_xor_b32 exec_lo, exec_lo, s0
	s_cbranch_execz .LBB1_312
; %bb.311:                              ;   in Loop: Header=BB1_280 Depth=1
	global_load_b64 v[14:15], v[16:17], off
	v_add_nc_u32_e32 v19, -8, v18
.LBB1_312:                              ;   in Loop: Header=BB1_280 Depth=1
	s_wait_xcnt 0x0
	s_or_b32 exec_lo, exec_lo, s0
	v_add_nc_u64_e32 v[20:21], 8, v[6:7]
	s_mov_b32 s0, exec_lo
	v_cmpx_gt_u32_e32 8, v19
	s_xor_b32 s11, exec_lo, s0
	s_cbranch_execz .LBB1_318
; %bb.313:                              ;   in Loop: Header=BB1_280 Depth=1
	v_mov_b64_e32 v[16:17], 0
	s_mov_b32 s12, exec_lo
	v_cmpx_ne_u32_e32 0, v19
	s_cbranch_execz .LBB1_317
; %bb.314:                              ;   in Loop: Header=BB1_280 Depth=1
	v_mov_b64_e32 v[16:17], 0
	s_mov_b64 s[0:1], 0
	s_mov_b32 s13, 0
	s_mov_b64 s[4:5], 0
.LBB1_315:                              ;   Parent Loop BB1_280 Depth=1
                                        ; =>  This Inner Loop Header: Depth=2
	s_delay_alu instid0(SALU_CYCLE_1) | instskip(SKIP_1) | instid1(SALU_CYCLE_1)
	v_add_nc_u64_e32 v[20:21], s[4:5], v[6:7]
	s_add_nc_u64 s[4:5], s[4:5], 1
	v_cmp_eq_u32_e32 vcc_lo, s4, v19
	global_load_u8 v18, v[20:21], off
	s_wait_xcnt 0x0
	v_mov_b32_e32 v21, s10
	s_or_b32 s13, vcc_lo, s13
	s_wait_loadcnt 0x0
	v_and_b32_e32 v20, 0xffff, v18
	s_delay_alu instid0(VALU_DEP_1) | instskip(SKIP_1) | instid1(VALU_DEP_1)
	v_lshlrev_b64_e32 v[20:21], s0, v[20:21]
	s_add_nc_u64 s[0:1], s[0:1], 8
	v_or_b32_e32 v17, v21, v17
	s_delay_alu instid0(VALU_DEP_2)
	v_or_b32_e32 v16, v20, v16
	s_and_not1_b32 exec_lo, exec_lo, s13
	s_cbranch_execnz .LBB1_315
; %bb.316:                              ;   in Loop: Header=BB1_280 Depth=1
	s_or_b32 exec_lo, exec_lo, s13
.LBB1_317:                              ;   in Loop: Header=BB1_280 Depth=1
	s_delay_alu instid0(SALU_CYCLE_1)
	s_or_b32 exec_lo, exec_lo, s12
	v_mov_b64_e32 v[20:21], v[6:7]
                                        ; implicit-def: $vgpr19
.LBB1_318:                              ;   in Loop: Header=BB1_280 Depth=1
	s_or_saveexec_b32 s0, s11
	v_mov_b32_e32 v22, 0
	s_xor_b32 exec_lo, exec_lo, s0
	s_cbranch_execz .LBB1_320
; %bb.319:                              ;   in Loop: Header=BB1_280 Depth=1
	global_load_b64 v[16:17], v[6:7], off
	v_add_nc_u32_e32 v22, -8, v19
.LBB1_320:                              ;   in Loop: Header=BB1_280 Depth=1
	s_wait_xcnt 0x0
	s_or_b32 exec_lo, exec_lo, s0
	v_add_nc_u64_e32 v[6:7], 8, v[20:21]
                                        ; implicit-def: $vgpr18_vgpr19
	s_mov_b32 s0, exec_lo
	v_cmpx_gt_u32_e32 8, v22
	s_xor_b32 s11, exec_lo, s0
	s_cbranch_execz .LBB1_326
; %bb.321:                              ;   in Loop: Header=BB1_280 Depth=1
	v_mov_b64_e32 v[18:19], 0
	s_mov_b32 s12, exec_lo
	v_cmpx_ne_u32_e32 0, v22
	s_cbranch_execz .LBB1_325
; %bb.322:                              ;   in Loop: Header=BB1_280 Depth=1
	v_mov_b64_e32 v[18:19], 0
	s_mov_b64 s[0:1], 0
	s_mov_b32 s13, 0
	s_mov_b64 s[4:5], 0
.LBB1_323:                              ;   Parent Loop BB1_280 Depth=1
                                        ; =>  This Inner Loop Header: Depth=2
	s_delay_alu instid0(SALU_CYCLE_1) | instskip(SKIP_1) | instid1(SALU_CYCLE_1)
	v_add_nc_u64_e32 v[6:7], s[4:5], v[20:21]
	s_add_nc_u64 s[4:5], s[4:5], 1
	v_cmp_eq_u32_e32 vcc_lo, s4, v22
	global_load_u8 v6, v[6:7], off
	s_wait_xcnt 0x0
	v_mov_b32_e32 v7, s10
	s_or_b32 s13, vcc_lo, s13
	s_wait_loadcnt 0x0
	v_and_b32_e32 v6, 0xffff, v6
	s_delay_alu instid0(VALU_DEP_1) | instskip(SKIP_1) | instid1(VALU_DEP_1)
	v_lshlrev_b64_e32 v[6:7], s0, v[6:7]
	s_add_nc_u64 s[0:1], s[0:1], 8
	v_or_b32_e32 v19, v7, v19
	s_delay_alu instid0(VALU_DEP_2)
	v_or_b32_e32 v18, v6, v18
	s_and_not1_b32 exec_lo, exec_lo, s13
	s_cbranch_execnz .LBB1_323
; %bb.324:                              ;   in Loop: Header=BB1_280 Depth=1
	s_or_b32 exec_lo, exec_lo, s13
.LBB1_325:                              ;   in Loop: Header=BB1_280 Depth=1
	s_delay_alu instid0(SALU_CYCLE_1)
	s_or_b32 exec_lo, exec_lo, s12
	v_mov_b64_e32 v[6:7], v[20:21]
                                        ; implicit-def: $vgpr22
.LBB1_326:                              ;   in Loop: Header=BB1_280 Depth=1
	s_or_saveexec_b32 s0, s11
	v_mov_b32_e32 v23, 0
	s_xor_b32 exec_lo, exec_lo, s0
	s_cbranch_execz .LBB1_328
; %bb.327:                              ;   in Loop: Header=BB1_280 Depth=1
	global_load_b64 v[18:19], v[20:21], off
	v_add_nc_u32_e32 v23, -8, v22
.LBB1_328:                              ;   in Loop: Header=BB1_280 Depth=1
	s_wait_xcnt 0x0
	s_or_b32 exec_lo, exec_lo, s0
	s_delay_alu instid0(SALU_CYCLE_1) | instskip(NEXT) | instid1(VALU_DEP_1)
	s_mov_b32 s0, exec_lo
	v_cmpx_gt_u32_e32 8, v23
	s_xor_b32 s4, exec_lo, s0
	s_cbranch_execz .LBB1_334
; %bb.329:                              ;   in Loop: Header=BB1_280 Depth=1
	v_mov_b64_e32 v[20:21], 0
	s_mov_b32 s5, exec_lo
	v_cmpx_ne_u32_e32 0, v23
	s_cbranch_execz .LBB1_333
; %bb.330:                              ;   in Loop: Header=BB1_280 Depth=1
	v_mov_b64_e32 v[20:21], 0
	s_mov_b64 s[0:1], 0
	s_mov_b32 s11, 0
.LBB1_331:                              ;   Parent Loop BB1_280 Depth=1
                                        ; =>  This Inner Loop Header: Depth=2
	global_load_u8 v22, v[6:7], off
	v_dual_mov_b32 v25, s10 :: v_dual_add_nc_u32 v23, -1, v23
	s_wait_xcnt 0x0
	v_add_nc_u64_e32 v[6:7], 1, v[6:7]
	s_delay_alu instid0(VALU_DEP_2) | instskip(SKIP_3) | instid1(VALU_DEP_1)
	v_cmp_eq_u32_e32 vcc_lo, 0, v23
	s_or_b32 s11, vcc_lo, s11
	s_wait_loadcnt 0x0
	v_and_b32_e32 v24, 0xffff, v22
	v_lshlrev_b64_e32 v[24:25], s0, v[24:25]
	s_add_nc_u64 s[0:1], s[0:1], 8
	s_delay_alu instid0(VALU_DEP_1) | instskip(NEXT) | instid1(VALU_DEP_2)
	v_or_b32_e32 v21, v25, v21
	v_or_b32_e32 v20, v24, v20
	s_and_not1_b32 exec_lo, exec_lo, s11
	s_cbranch_execnz .LBB1_331
; %bb.332:                              ;   in Loop: Header=BB1_280 Depth=1
	s_or_b32 exec_lo, exec_lo, s11
.LBB1_333:                              ;   in Loop: Header=BB1_280 Depth=1
	s_delay_alu instid0(SALU_CYCLE_1)
	s_or_b32 exec_lo, exec_lo, s5
                                        ; implicit-def: $vgpr6_vgpr7
.LBB1_334:                              ;   in Loop: Header=BB1_280 Depth=1
	s_and_not1_saveexec_b32 s0, s4
	s_cbranch_execz .LBB1_336
; %bb.335:                              ;   in Loop: Header=BB1_280 Depth=1
	global_load_b64 v[20:21], v[6:7], off
.LBB1_336:                              ;   in Loop: Header=BB1_280 Depth=1
	s_wait_xcnt 0x0
	s_or_b32 exec_lo, exec_lo, s0
	v_readfirstlane_b32 s0, v48
	v_mov_b64_e32 v[6:7], 0
	s_delay_alu instid0(VALU_DEP_2)
	v_cmp_eq_u32_e64 s0, s0, v48
	s_and_saveexec_b32 s1, s0
	s_cbranch_execz .LBB1_342
; %bb.337:                              ;   in Loop: Header=BB1_280 Depth=1
	global_load_b64 v[24:25], v31, s[2:3] offset:24 scope:SCOPE_SYS
	s_wait_loadcnt 0x0
	global_inv scope:SCOPE_SYS
	s_clause 0x1
	global_load_b64 v[6:7], v31, s[2:3] offset:40
	global_load_b64 v[22:23], v31, s[2:3]
	s_mov_b32 s4, exec_lo
	s_wait_loadcnt 0x1
	v_and_b32_e32 v6, v6, v24
	v_and_b32_e32 v7, v7, v25
	s_delay_alu instid0(VALU_DEP_1) | instskip(SKIP_1) | instid1(VALU_DEP_1)
	v_mul_u64_e32 v[6:7], 24, v[6:7]
	s_wait_loadcnt 0x0
	v_add_nc_u64_e32 v[6:7], v[22:23], v[6:7]
	global_load_b64 v[22:23], v[6:7], off scope:SCOPE_SYS
	s_wait_xcnt 0x0
	s_wait_loadcnt 0x0
	global_atomic_cmpswap_b64 v[6:7], v31, v[22:25], s[2:3] offset:24 th:TH_ATOMIC_RETURN scope:SCOPE_SYS
	s_wait_loadcnt 0x0
	global_inv scope:SCOPE_SYS
	s_wait_xcnt 0x0
	v_cmpx_ne_u64_e64 v[6:7], v[24:25]
	s_cbranch_execz .LBB1_341
; %bb.338:                              ;   in Loop: Header=BB1_280 Depth=1
	s_mov_b32 s5, 0
.LBB1_339:                              ;   Parent Loop BB1_280 Depth=1
                                        ; =>  This Inner Loop Header: Depth=2
	s_sleep 1
	s_clause 0x1
	global_load_b64 v[22:23], v31, s[2:3] offset:40
	global_load_b64 v[34:35], v31, s[2:3]
	v_mov_b64_e32 v[24:25], v[6:7]
	s_wait_loadcnt 0x1
	s_delay_alu instid0(VALU_DEP_1) | instskip(NEXT) | instid1(VALU_DEP_2)
	v_and_b32_e32 v6, v22, v24
	v_and_b32_e32 v22, v23, v25
	s_wait_loadcnt 0x0
	s_delay_alu instid0(VALU_DEP_2) | instskip(NEXT) | instid1(VALU_DEP_1)
	v_mad_nc_u64_u32 v[6:7], v6, 24, v[34:35]
	v_mad_u32 v7, v22, 24, v7
	global_load_b64 v[22:23], v[6:7], off scope:SCOPE_SYS
	s_wait_xcnt 0x0
	s_wait_loadcnt 0x0
	global_atomic_cmpswap_b64 v[6:7], v31, v[22:25], s[2:3] offset:24 th:TH_ATOMIC_RETURN scope:SCOPE_SYS
	s_wait_loadcnt 0x0
	global_inv scope:SCOPE_SYS
	v_cmp_eq_u64_e32 vcc_lo, v[6:7], v[24:25]
	s_or_b32 s5, vcc_lo, s5
	s_wait_xcnt 0x0
	s_and_not1_b32 exec_lo, exec_lo, s5
	s_cbranch_execnz .LBB1_339
; %bb.340:                              ;   in Loop: Header=BB1_280 Depth=1
	s_or_b32 exec_lo, exec_lo, s5
.LBB1_341:                              ;   in Loop: Header=BB1_280 Depth=1
	s_delay_alu instid0(SALU_CYCLE_1)
	s_or_b32 exec_lo, exec_lo, s4
.LBB1_342:                              ;   in Loop: Header=BB1_280 Depth=1
	s_delay_alu instid0(SALU_CYCLE_1)
	s_or_b32 exec_lo, exec_lo, s1
	s_clause 0x1
	global_load_b64 v[34:35], v31, s[2:3] offset:40
	global_load_b128 v[22:25], v31, s[2:3]
	v_readfirstlane_b32 s4, v6
	v_readfirstlane_b32 s5, v7
	s_mov_b32 s1, exec_lo
	s_wait_loadcnt 0x1
	v_and_b32_e32 v36, s4, v34
	v_and_b32_e32 v37, s5, v35
	s_delay_alu instid0(VALU_DEP_1) | instskip(SKIP_1) | instid1(VALU_DEP_1)
	v_mul_u64_e32 v[6:7], 24, v[36:37]
	s_wait_loadcnt 0x0
	v_add_nc_u64_e32 v[34:35], v[22:23], v[6:7]
	s_wait_xcnt 0x0
	s_and_saveexec_b32 s11, s0
	s_cbranch_execz .LBB1_344
; %bb.343:                              ;   in Loop: Header=BB1_280 Depth=1
	v_dual_mov_b32 v6, s1 :: v_dual_mov_b32 v7, v31
	global_store_b128 v[34:35], v[6:9], off offset:8
.LBB1_344:                              ;   in Loop: Header=BB1_280 Depth=1
	s_wait_xcnt 0x0
	s_or_b32 exec_lo, exec_lo, s11
	v_cmp_gt_u64_e32 vcc_lo, 57, v[26:27]
	v_lshlrev_b64_e32 v[6:7], 12, v[36:37]
	v_and_b32_e32 v0, 0xffffff1f, v0
	v_lshl_add_u32 v36, v32, 2, 28
	v_cndmask_b32_e32 v29, 0, v28, vcc_lo
	s_delay_alu instid0(VALU_DEP_4) | instskip(NEXT) | instid1(VALU_DEP_2)
	v_add_nc_u64_e32 v[6:7], v[24:25], v[6:7]
	v_or_b32_e32 v0, v0, v29
	s_delay_alu instid0(VALU_DEP_2) | instskip(NEXT) | instid1(VALU_DEP_3)
	v_readfirstlane_b32 s12, v6
	v_readfirstlane_b32 s13, v7
	s_delay_alu instid0(VALU_DEP_3)
	v_and_or_b32 v0, 0x1e0, v36, v0
	s_clause 0x3
	global_store_b128 v30, v[0:3], s[12:13]
	global_store_b128 v30, v[10:13], s[12:13] offset:16
	global_store_b128 v30, v[14:17], s[12:13] offset:32
	;; [unrolled: 1-line block ×3, first 2 shown]
	s_wait_xcnt 0x0
	s_and_saveexec_b32 s1, s0
	s_cbranch_execz .LBB1_352
; %bb.345:                              ;   in Loop: Header=BB1_280 Depth=1
	s_clause 0x1
	global_load_b64 v[14:15], v31, s[2:3] offset:32 scope:SCOPE_SYS
	global_load_b64 v[0:1], v31, s[2:3] offset:40
	s_mov_b32 s11, exec_lo
	v_dual_mov_b32 v12, s4 :: v_dual_mov_b32 v13, s5
	s_wait_loadcnt 0x0
	v_and_b32_e32 v1, s5, v1
	v_and_b32_e32 v0, s4, v0
	s_delay_alu instid0(VALU_DEP_1) | instskip(NEXT) | instid1(VALU_DEP_1)
	v_mul_u64_e32 v[0:1], 24, v[0:1]
	v_add_nc_u64_e32 v[10:11], v[22:23], v[0:1]
	global_store_b64 v[10:11], v[14:15], off
	global_wb scope:SCOPE_SYS
	s_wait_storecnt 0x0
	s_wait_xcnt 0x0
	global_atomic_cmpswap_b64 v[2:3], v31, v[12:15], s[2:3] offset:32 th:TH_ATOMIC_RETURN scope:SCOPE_SYS
	s_wait_loadcnt 0x0
	v_cmpx_ne_u64_e64 v[2:3], v[14:15]
	s_cbranch_execz .LBB1_348
; %bb.346:                              ;   in Loop: Header=BB1_280 Depth=1
	s_mov_b32 s12, 0
.LBB1_347:                              ;   Parent Loop BB1_280 Depth=1
                                        ; =>  This Inner Loop Header: Depth=2
	v_dual_mov_b32 v0, s4 :: v_dual_mov_b32 v1, s5
	s_sleep 1
	global_store_b64 v[10:11], v[2:3], off
	global_wb scope:SCOPE_SYS
	s_wait_storecnt 0x0
	s_wait_xcnt 0x0
	global_atomic_cmpswap_b64 v[0:1], v31, v[0:3], s[2:3] offset:32 th:TH_ATOMIC_RETURN scope:SCOPE_SYS
	s_wait_loadcnt 0x0
	v_cmp_eq_u64_e32 vcc_lo, v[0:1], v[2:3]
	v_mov_b64_e32 v[2:3], v[0:1]
	s_or_b32 s12, vcc_lo, s12
	s_delay_alu instid0(SALU_CYCLE_1)
	s_and_not1_b32 exec_lo, exec_lo, s12
	s_cbranch_execnz .LBB1_347
.LBB1_348:                              ;   in Loop: Header=BB1_280 Depth=1
	s_or_b32 exec_lo, exec_lo, s11
	global_load_b64 v[0:1], v31, s[2:3] offset:16
	s_mov_b32 s12, exec_lo
	s_mov_b32 s11, exec_lo
	v_mbcnt_lo_u32_b32 v2, s12, 0
	s_wait_xcnt 0x0
	s_delay_alu instid0(VALU_DEP_1)
	v_cmpx_eq_u32_e32 0, v2
	s_cbranch_execz .LBB1_350
; %bb.349:                              ;   in Loop: Header=BB1_280 Depth=1
	s_bcnt1_i32_b32 s12, s12
	s_delay_alu instid0(SALU_CYCLE_1)
	v_dual_mov_b32 v3, v31 :: v_dual_mov_b32 v2, s12
	global_wb scope:SCOPE_SYS
	s_wait_loadcnt 0x0
	s_wait_storecnt 0x0
	global_atomic_add_u64 v[0:1], v[2:3], off offset:8 scope:SCOPE_SYS
.LBB1_350:                              ;   in Loop: Header=BB1_280 Depth=1
	s_wait_xcnt 0x0
	s_or_b32 exec_lo, exec_lo, s11
	s_wait_loadcnt 0x0
	global_load_b64 v[2:3], v[0:1], off offset:16
	s_wait_loadcnt 0x0
	v_cmp_eq_u64_e32 vcc_lo, 0, v[2:3]
	s_cbranch_vccnz .LBB1_352
; %bb.351:                              ;   in Loop: Header=BB1_280 Depth=1
	global_load_b32 v0, v[0:1], off offset:24
	s_wait_xcnt 0x0
	v_mov_b32_e32 v1, v31
	s_wait_loadcnt 0x0
	v_readfirstlane_b32 s11, v0
	global_wb scope:SCOPE_SYS
	s_wait_storecnt 0x0
	global_store_b64 v[2:3], v[0:1], off scope:SCOPE_SYS
	s_and_b32 m0, s11, 0xffffff
	s_sendmsg sendmsg(MSG_INTERRUPT)
.LBB1_352:                              ;   in Loop: Header=BB1_280 Depth=1
	s_wait_xcnt 0x0
	s_or_b32 exec_lo, exec_lo, s1
	v_add_nc_u64_e32 v[0:1], v[6:7], v[30:31]
	s_branch .LBB1_356
.LBB1_353:                              ;   in Loop: Header=BB1_356 Depth=2
	s_wait_xcnt 0x0
	s_or_b32 exec_lo, exec_lo, s1
	s_delay_alu instid0(VALU_DEP_1)
	v_readfirstlane_b32 s1, v2
	s_cmp_eq_u32 s1, 0
	s_cbranch_scc1 .LBB1_355
; %bb.354:                              ;   in Loop: Header=BB1_356 Depth=2
	s_sleep 1
	s_cbranch_execnz .LBB1_356
	s_branch .LBB1_358
.LBB1_355:                              ;   in Loop: Header=BB1_280 Depth=1
	s_branch .LBB1_358
.LBB1_356:                              ;   Parent Loop BB1_280 Depth=1
                                        ; =>  This Inner Loop Header: Depth=2
	v_mov_b32_e32 v2, 1
	s_and_saveexec_b32 s1, s0
	s_cbranch_execz .LBB1_353
; %bb.357:                              ;   in Loop: Header=BB1_356 Depth=2
	global_load_b32 v2, v[34:35], off offset:20 scope:SCOPE_SYS
	s_wait_loadcnt 0x0
	global_inv scope:SCOPE_SYS
	v_and_b32_e32 v2, 1, v2
	s_branch .LBB1_353
.LBB1_358:                              ;   in Loop: Header=BB1_280 Depth=1
	global_load_b64 v[0:1], v[0:1], off
	s_wait_xcnt 0x0
	s_and_saveexec_b32 s11, s0
	s_cbranch_execz .LBB1_279
; %bb.359:                              ;   in Loop: Header=BB1_280 Depth=1
	s_clause 0x2
	global_load_b64 v[2:3], v31, s[2:3] offset:40
	global_load_b64 v[14:15], v31, s[2:3] offset:24 scope:SCOPE_SYS
	global_load_b64 v[6:7], v31, s[2:3]
	s_wait_loadcnt 0x2
	v_readfirstlane_b32 s12, v2
	v_readfirstlane_b32 s13, v3
	s_add_nc_u64 s[0:1], s[12:13], 1
	s_delay_alu instid0(SALU_CYCLE_1) | instskip(NEXT) | instid1(SALU_CYCLE_1)
	s_add_nc_u64 s[4:5], s[0:1], s[4:5]
	s_cmp_eq_u64 s[4:5], 0
	s_cselect_b32 s1, s1, s5
	s_cselect_b32 s0, s0, s4
	s_delay_alu instid0(SALU_CYCLE_1) | instskip(SKIP_1) | instid1(SALU_CYCLE_1)
	v_dual_mov_b32 v13, s1 :: v_dual_mov_b32 v12, s0
	s_and_b64 s[4:5], s[0:1], s[12:13]
	s_mul_u64 s[4:5], s[4:5], 24
	s_wait_loadcnt 0x0
	v_add_nc_u64_e32 v[2:3], s[4:5], v[6:7]
	global_store_b64 v[2:3], v[14:15], off
	global_wb scope:SCOPE_SYS
	s_wait_storecnt 0x0
	s_wait_xcnt 0x0
	global_atomic_cmpswap_b64 v[12:13], v31, v[12:15], s[2:3] offset:24 th:TH_ATOMIC_RETURN scope:SCOPE_SYS
	s_wait_loadcnt 0x0
	v_cmp_ne_u64_e32 vcc_lo, v[12:13], v[14:15]
	s_and_b32 exec_lo, exec_lo, vcc_lo
	s_cbranch_execz .LBB1_279
; %bb.360:                              ;   in Loop: Header=BB1_280 Depth=1
	s_mov_b32 s4, 0
.LBB1_361:                              ;   Parent Loop BB1_280 Depth=1
                                        ; =>  This Inner Loop Header: Depth=2
	v_dual_mov_b32 v10, s0 :: v_dual_mov_b32 v11, s1
	s_sleep 1
	global_store_b64 v[2:3], v[12:13], off
	global_wb scope:SCOPE_SYS
	s_wait_storecnt 0x0
	s_wait_xcnt 0x0
	global_atomic_cmpswap_b64 v[6:7], v31, v[10:13], s[2:3] offset:24 th:TH_ATOMIC_RETURN scope:SCOPE_SYS
	s_wait_loadcnt 0x0
	v_cmp_eq_u64_e32 vcc_lo, v[6:7], v[12:13]
	v_mov_b64_e32 v[12:13], v[6:7]
	s_or_b32 s4, vcc_lo, s4
	s_delay_alu instid0(SALU_CYCLE_1)
	s_and_not1_b32 exec_lo, exec_lo, s4
	s_cbranch_execnz .LBB1_361
	s_branch .LBB1_279
.LBB1_362:
	s_or_b32 exec_lo, exec_lo, s7
                                        ; implicit-def: $vgpr30
                                        ; implicit-def: $vgpr48
.LBB1_363:
	s_and_not1_saveexec_b32 s6, s6
	s_cbranch_execz .LBB1_391
; %bb.364:
	v_readfirstlane_b32 s0, v48
	v_mov_b64_e32 v[2:3], 0
	s_delay_alu instid0(VALU_DEP_2)
	v_cmp_eq_u32_e64 s0, s0, v48
	s_and_saveexec_b32 s1, s0
	s_cbranch_execz .LBB1_370
; %bb.365:
	v_mov_b32_e32 v4, 0
	s_mov_b32 s4, exec_lo
	global_load_b64 v[8:9], v4, s[2:3] offset:24 scope:SCOPE_SYS
	s_wait_loadcnt 0x0
	global_inv scope:SCOPE_SYS
	s_clause 0x1
	global_load_b64 v[2:3], v4, s[2:3] offset:40
	global_load_b64 v[6:7], v4, s[2:3]
	s_wait_loadcnt 0x1
	v_and_b32_e32 v2, v2, v8
	v_and_b32_e32 v3, v3, v9
	s_delay_alu instid0(VALU_DEP_1) | instskip(SKIP_1) | instid1(VALU_DEP_1)
	v_mul_u64_e32 v[2:3], 24, v[2:3]
	s_wait_loadcnt 0x0
	v_add_nc_u64_e32 v[2:3], v[6:7], v[2:3]
	global_load_b64 v[6:7], v[2:3], off scope:SCOPE_SYS
	s_wait_xcnt 0x0
	s_wait_loadcnt 0x0
	global_atomic_cmpswap_b64 v[2:3], v4, v[6:9], s[2:3] offset:24 th:TH_ATOMIC_RETURN scope:SCOPE_SYS
	s_wait_loadcnt 0x0
	global_inv scope:SCOPE_SYS
	s_wait_xcnt 0x0
	v_cmpx_ne_u64_e64 v[2:3], v[8:9]
	s_cbranch_execz .LBB1_369
; %bb.366:
	s_mov_b32 s5, 0
.LBB1_367:                              ; =>This Inner Loop Header: Depth=1
	s_sleep 1
	s_clause 0x1
	global_load_b64 v[6:7], v4, s[2:3] offset:40
	global_load_b64 v[10:11], v4, s[2:3]
	v_mov_b64_e32 v[8:9], v[2:3]
	s_wait_loadcnt 0x1
	s_delay_alu instid0(VALU_DEP_1) | instskip(NEXT) | instid1(VALU_DEP_2)
	v_and_b32_e32 v2, v6, v8
	v_and_b32_e32 v5, v7, v9
	s_wait_loadcnt 0x0
	s_delay_alu instid0(VALU_DEP_2) | instskip(NEXT) | instid1(VALU_DEP_1)
	v_mad_nc_u64_u32 v[2:3], v2, 24, v[10:11]
	v_mad_u32 v3, v5, 24, v3
	global_load_b64 v[6:7], v[2:3], off scope:SCOPE_SYS
	s_wait_xcnt 0x0
	s_wait_loadcnt 0x0
	global_atomic_cmpswap_b64 v[2:3], v4, v[6:9], s[2:3] offset:24 th:TH_ATOMIC_RETURN scope:SCOPE_SYS
	s_wait_loadcnt 0x0
	global_inv scope:SCOPE_SYS
	v_cmp_eq_u64_e32 vcc_lo, v[2:3], v[8:9]
	s_or_b32 s5, vcc_lo, s5
	s_wait_xcnt 0x0
	s_and_not1_b32 exec_lo, exec_lo, s5
	s_cbranch_execnz .LBB1_367
; %bb.368:
	s_or_b32 exec_lo, exec_lo, s5
.LBB1_369:
	s_delay_alu instid0(SALU_CYCLE_1)
	s_or_b32 exec_lo, exec_lo, s4
.LBB1_370:
	s_delay_alu instid0(SALU_CYCLE_1)
	s_or_b32 exec_lo, exec_lo, s1
	v_readfirstlane_b32 s4, v2
	v_mov_b32_e32 v31, 0
	v_readfirstlane_b32 s5, v3
	s_mov_b32 s1, exec_lo
	s_clause 0x1
	global_load_b64 v[8:9], v31, s[2:3] offset:40
	global_load_b128 v[4:7], v31, s[2:3]
	s_wait_loadcnt 0x1
	v_and_b32_e32 v2, s4, v8
	v_and_b32_e32 v3, s5, v9
	s_delay_alu instid0(VALU_DEP_1) | instskip(SKIP_1) | instid1(VALU_DEP_1)
	v_mul_u64_e32 v[8:9], 24, v[2:3]
	s_wait_loadcnt 0x0
	v_add_nc_u64_e32 v[8:9], v[4:5], v[8:9]
	s_wait_xcnt 0x0
	s_and_saveexec_b32 s7, s0
	s_cbranch_execz .LBB1_372
; %bb.371:
	v_mov_b64_e32 v[12:13], 0x100000002
	v_dual_mov_b32 v10, s1 :: v_dual_mov_b32 v11, v31
	global_store_b128 v[8:9], v[10:13], off offset:8
.LBB1_372:
	s_wait_xcnt 0x0
	s_or_b32 exec_lo, exec_lo, s7
	v_lshlrev_b64_e32 v[2:3], 12, v[2:3]
	s_mov_b32 s12, 0
	v_and_or_b32 v0, 0xffffff1f, v0, 32
	s_mov_b32 s13, s12
	s_mov_b32 s14, s12
	;; [unrolled: 1-line block ×3, first 2 shown]
	v_mov_b64_e32 v[10:11], s[12:13]
	v_add_nc_u64_e32 v[6:7], v[6:7], v[2:3]
	v_mov_b64_e32 v[12:13], s[14:15]
	v_dual_mov_b32 v2, v31 :: v_dual_mov_b32 v3, v31
	s_delay_alu instid0(VALU_DEP_3) | instskip(NEXT) | instid1(VALU_DEP_4)
	v_readfirstlane_b32 s10, v6
	v_readfirstlane_b32 s11, v7
	s_clause 0x3
	global_store_b128 v30, v[0:3], s[10:11]
	global_store_b128 v30, v[10:13], s[10:11] offset:16
	global_store_b128 v30, v[10:13], s[10:11] offset:32
	global_store_b128 v30, v[10:13], s[10:11] offset:48
	s_wait_xcnt 0x0
	s_and_saveexec_b32 s1, s0
	s_cbranch_execz .LBB1_380
; %bb.373:
	v_dual_mov_b32 v10, 0 :: v_dual_mov_b32 v13, s5
	s_mov_b32 s7, exec_lo
	s_clause 0x1
	global_load_b64 v[14:15], v10, s[2:3] offset:32 scope:SCOPE_SYS
	global_load_b64 v[0:1], v10, s[2:3] offset:40
	s_wait_loadcnt 0x0
	v_dual_mov_b32 v12, s4 :: v_dual_bitop2_b32 v1, s5, v1 bitop3:0x40
	v_and_b32_e32 v0, s4, v0
	s_delay_alu instid0(VALU_DEP_1) | instskip(NEXT) | instid1(VALU_DEP_1)
	v_mul_u64_e32 v[0:1], 24, v[0:1]
	v_add_nc_u64_e32 v[4:5], v[4:5], v[0:1]
	global_store_b64 v[4:5], v[14:15], off
	global_wb scope:SCOPE_SYS
	s_wait_storecnt 0x0
	s_wait_xcnt 0x0
	global_atomic_cmpswap_b64 v[2:3], v10, v[12:15], s[2:3] offset:32 th:TH_ATOMIC_RETURN scope:SCOPE_SYS
	s_wait_loadcnt 0x0
	v_cmpx_ne_u64_e64 v[2:3], v[14:15]
	s_cbranch_execz .LBB1_376
; %bb.374:
	s_mov_b32 s10, 0
.LBB1_375:                              ; =>This Inner Loop Header: Depth=1
	v_dual_mov_b32 v0, s4 :: v_dual_mov_b32 v1, s5
	s_sleep 1
	global_store_b64 v[4:5], v[2:3], off
	global_wb scope:SCOPE_SYS
	s_wait_storecnt 0x0
	s_wait_xcnt 0x0
	global_atomic_cmpswap_b64 v[0:1], v10, v[0:3], s[2:3] offset:32 th:TH_ATOMIC_RETURN scope:SCOPE_SYS
	s_wait_loadcnt 0x0
	v_cmp_eq_u64_e32 vcc_lo, v[0:1], v[2:3]
	v_mov_b64_e32 v[2:3], v[0:1]
	s_or_b32 s10, vcc_lo, s10
	s_delay_alu instid0(SALU_CYCLE_1)
	s_and_not1_b32 exec_lo, exec_lo, s10
	s_cbranch_execnz .LBB1_375
.LBB1_376:
	s_or_b32 exec_lo, exec_lo, s7
	v_mov_b32_e32 v3, 0
	s_mov_b32 s10, exec_lo
	s_mov_b32 s7, exec_lo
	v_mbcnt_lo_u32_b32 v2, s10, 0
	global_load_b64 v[0:1], v3, s[2:3] offset:16
	s_wait_xcnt 0x0
	v_cmpx_eq_u32_e32 0, v2
	s_cbranch_execz .LBB1_378
; %bb.377:
	s_bcnt1_i32_b32 s10, s10
	s_delay_alu instid0(SALU_CYCLE_1)
	v_mov_b32_e32 v2, s10
	global_wb scope:SCOPE_SYS
	s_wait_loadcnt 0x0
	s_wait_storecnt 0x0
	global_atomic_add_u64 v[0:1], v[2:3], off offset:8 scope:SCOPE_SYS
.LBB1_378:
	s_wait_xcnt 0x0
	s_or_b32 exec_lo, exec_lo, s7
	s_wait_loadcnt 0x0
	global_load_b64 v[2:3], v[0:1], off offset:16
	s_wait_loadcnt 0x0
	v_cmp_eq_u64_e32 vcc_lo, 0, v[2:3]
	s_cbranch_vccnz .LBB1_380
; %bb.379:
	global_load_b32 v0, v[0:1], off offset:24
	s_wait_xcnt 0x0
	v_mov_b32_e32 v1, 0
	s_wait_loadcnt 0x0
	v_readfirstlane_b32 s7, v0
	global_wb scope:SCOPE_SYS
	s_wait_storecnt 0x0
	global_store_b64 v[2:3], v[0:1], off scope:SCOPE_SYS
	s_and_b32 m0, s7, 0xffffff
	s_sendmsg sendmsg(MSG_INTERRUPT)
.LBB1_380:
	s_wait_xcnt 0x0
	s_or_b32 exec_lo, exec_lo, s1
	v_add_nc_u64_e32 v[0:1], v[6:7], v[30:31]
	s_branch .LBB1_384
.LBB1_381:                              ;   in Loop: Header=BB1_384 Depth=1
	s_wait_xcnt 0x0
	s_or_b32 exec_lo, exec_lo, s1
	s_delay_alu instid0(VALU_DEP_1)
	v_readfirstlane_b32 s1, v2
	s_cmp_eq_u32 s1, 0
	s_cbranch_scc1 .LBB1_383
; %bb.382:                              ;   in Loop: Header=BB1_384 Depth=1
	s_sleep 1
	s_cbranch_execnz .LBB1_384
	s_branch .LBB1_386
.LBB1_383:
	s_branch .LBB1_386
.LBB1_384:                              ; =>This Inner Loop Header: Depth=1
	v_mov_b32_e32 v2, 1
	s_and_saveexec_b32 s1, s0
	s_cbranch_execz .LBB1_381
; %bb.385:                              ;   in Loop: Header=BB1_384 Depth=1
	global_load_b32 v2, v[8:9], off offset:20 scope:SCOPE_SYS
	s_wait_loadcnt 0x0
	global_inv scope:SCOPE_SYS
	v_and_b32_e32 v2, 1, v2
	s_branch .LBB1_381
.LBB1_386:
	global_load_b64 v[0:1], v[0:1], off
	s_wait_xcnt 0x0
	s_and_saveexec_b32 s7, s0
	s_cbranch_execz .LBB1_390
; %bb.387:
	v_mov_b32_e32 v8, 0
	s_clause 0x2
	global_load_b64 v[2:3], v8, s[2:3] offset:40
	global_load_b64 v[12:13], v8, s[2:3] offset:24 scope:SCOPE_SYS
	global_load_b64 v[4:5], v8, s[2:3]
	s_wait_loadcnt 0x2
	v_readfirstlane_b32 s10, v2
	v_readfirstlane_b32 s11, v3
	s_add_nc_u64 s[0:1], s[10:11], 1
	s_delay_alu instid0(SALU_CYCLE_1) | instskip(NEXT) | instid1(SALU_CYCLE_1)
	s_add_nc_u64 s[4:5], s[0:1], s[4:5]
	s_cmp_eq_u64 s[4:5], 0
	s_cselect_b32 s1, s1, s5
	s_cselect_b32 s0, s0, s4
	v_mov_b32_e32 v11, s1
	s_and_b64 s[4:5], s[0:1], s[10:11]
	v_mov_b32_e32 v10, s0
	s_mul_u64 s[4:5], s[4:5], 24
	s_wait_loadcnt 0x0
	v_add_nc_u64_e32 v[6:7], s[4:5], v[4:5]
	global_store_b64 v[6:7], v[12:13], off
	global_wb scope:SCOPE_SYS
	s_wait_storecnt 0x0
	s_wait_xcnt 0x0
	global_atomic_cmpswap_b64 v[4:5], v8, v[10:13], s[2:3] offset:24 th:TH_ATOMIC_RETURN scope:SCOPE_SYS
	s_wait_loadcnt 0x0
	v_cmp_ne_u64_e32 vcc_lo, v[4:5], v[12:13]
	s_and_b32 exec_lo, exec_lo, vcc_lo
	s_cbranch_execz .LBB1_390
; %bb.388:
	s_mov_b32 s4, 0
.LBB1_389:                              ; =>This Inner Loop Header: Depth=1
	v_dual_mov_b32 v2, s0 :: v_dual_mov_b32 v3, s1
	s_sleep 1
	global_store_b64 v[6:7], v[4:5], off
	global_wb scope:SCOPE_SYS
	s_wait_storecnt 0x0
	s_wait_xcnt 0x0
	global_atomic_cmpswap_b64 v[2:3], v8, v[2:5], s[2:3] offset:24 th:TH_ATOMIC_RETURN scope:SCOPE_SYS
	s_wait_loadcnt 0x0
	v_cmp_eq_u64_e32 vcc_lo, v[2:3], v[4:5]
	v_mov_b64_e32 v[4:5], v[2:3]
	s_or_b32 s4, vcc_lo, s4
	s_delay_alu instid0(SALU_CYCLE_1)
	s_and_not1_b32 exec_lo, exec_lo, s4
	s_cbranch_execnz .LBB1_389
.LBB1_390:
	s_or_b32 exec_lo, exec_lo, s7
.LBB1_391:
	s_delay_alu instid0(SALU_CYCLE_1)
	s_or_b32 exec_lo, exec_lo, s6
	s_get_pc_i64 s[0:1]
	s_add_nc_u64 s[0:1], s[0:1], .str.3@rel64+4
	s_get_pc_i64 s[2:3]
	s_add_nc_u64 s[2:3], s[2:3], .str.3@rel64+32
	v_dual_mov_b32 v2, s0 :: v_dual_mov_b32 v3, s1
	s_sub_co_i32 s4, s2, s0
	v_mov_b32_e32 v6, 1
	s_ashr_i32 s5, s4, 31
	s_delay_alu instid0(SALU_CYCLE_1) | instskip(SKIP_2) | instid1(SALU_CYCLE_1)
	v_dual_mov_b32 v4, s4 :: v_dual_mov_b32 v5, s5
	s_get_pc_i64 s[2:3]
	s_add_nc_u64 s[2:3], s[2:3], __ockl_fprintf_append_string_n@rel64+4
	s_swap_pc_i64 s[30:31], s[2:3]
	s_trap 2
.Lfunc_end1:
	.size	__assert_fail, .Lfunc_end1-__assert_fail
                                        ; -- End function
	.set .L__assert_fail.num_vgpr, max(49, .L__ockl_fprintf_append_string_n.num_vgpr)
	.set .L__assert_fail.num_agpr, max(0, .L__ockl_fprintf_append_string_n.num_agpr)
	.set .L__assert_fail.numbered_sgpr, max(34, .L__ockl_fprintf_append_string_n.numbered_sgpr)
	.set .L__assert_fail.num_named_barrier, max(0, .L__ockl_fprintf_append_string_n.num_named_barrier)
	.set .L__assert_fail.private_seg_size, 64+max(.L__ockl_fprintf_append_string_n.private_seg_size)
	.set .L__assert_fail.uses_vcc, or(1, .L__ockl_fprintf_append_string_n.uses_vcc)
	.set .L__assert_fail.uses_flat_scratch, or(1, .L__ockl_fprintf_append_string_n.uses_flat_scratch)
	.set .L__assert_fail.has_dyn_sized_stack, or(0, .L__ockl_fprintf_append_string_n.has_dyn_sized_stack)
	.set .L__assert_fail.has_recursion, or(0, .L__ockl_fprintf_append_string_n.has_recursion)
	.set .L__assert_fail.has_indirect_call, or(0, .L__ockl_fprintf_append_string_n.has_indirect_call)
	.section	.AMDGPU.csdata,"",@progbits
; Function info:
; codeLenInByte = 15740
; TotalNumSgprs: 36
; NumVgprs: 49
; ScratchSize: 64
; MemoryBound: 0
	.text
	.p2align	2                               ; -- Begin function _ZN12_GLOBAL__N_17runRingI14__hip_fp8_e5m28FuncProdIS1_E11ProtoSimpleILi1ELi1ELi0ELi1ELi0ELi0EELi0ELi1ELi0EEEviiP15ncclDevWorkColl
	.type	_ZN12_GLOBAL__N_17runRingI14__hip_fp8_e5m28FuncProdIS1_E11ProtoSimpleILi1ELi1ELi0ELi1ELi0ELi0EELi0ELi1ELi0EEEviiP15ncclDevWorkColl,@function
_ZN12_GLOBAL__N_17runRingI14__hip_fp8_e5m28FuncProdIS1_E11ProtoSimpleILi1ELi1ELi0ELi1ELi0ELi0EELi0ELi1ELi0EEEviiP15ncclDevWorkColl: ; @_ZN12_GLOBAL__N_17runRingI14__hip_fp8_e5m28FuncProdIS1_E11ProtoSimpleILi1ELi1ELi0ELi1ELi0ELi0EELi0ELi1ELi0EEEviiP15ncclDevWorkColl
; %bb.0:
	s_wait_loadcnt_dscnt 0x0
	s_wait_kmcnt 0x0
	s_mov_b32 s45, s33
	s_mov_b32 s33, s32
	s_or_saveexec_b32 s0, -1
	scratch_store_b32 off, v78, s33 offset:88 ; 4-byte Folded Spill
	s_wait_xcnt 0x0
	s_mov_b32 exec_lo, s0
	s_addk_co_i32 s32, 0x60
	s_clause 0x15
	scratch_store_b32 off, v40, s33 offset:84
	; meta instruction
	scratch_store_b32 off, v41, s33 offset:80
	; meta instruction
	;; [unrolled: 2-line block ×21, first 2 shown]
	scratch_store_b32 off, v77, s33
	v_writelane_b32 v78, s30, 0
	v_writelane_b32 v78, s31, 1
	s_trap 2
	ds_load_b64 v[14:15], v0
	ds_load_b32 v9, v0
	flat_load_b64 v[6:7], v[2:3]
                                        ; implicit-def: $vgpr32_vgpr33
                                        ; implicit-def: $vgpr4_vgpr5
                                        ; implicit-def: $vgpr18_vgpr19
	s_wait_dscnt 0x2
	v_readfirstlane_b32 s0, v14
	v_readfirstlane_b32 s1, v15
	flat_load_u16 v17, v[2:3] offset:8
	flat_load_b32 v25, v15, s[0:1] offset:-4 scale_offset
	s_wait_xcnt 0x0
	s_mov_b32 s0, exec_lo
	s_wait_loadcnt_dscnt 0x202
	v_and_b32_e32 v8, 0xff, v6
	v_mov_b32_e32 v16, v7
	s_delay_alu instid0(VALU_DEP_2)
	v_cmpx_ne_u32_e64 v9, v8
	s_xor_b32 s0, exec_lo, s0
	s_cbranch_execz .LBB2_6
; %bb.1:
	v_bfe_u32 v10, v6, 8, 8
	v_not_b32_e32 v8, v8
	s_mov_b32 s1, exec_lo
                                        ; implicit-def: $vgpr32_vgpr33
                                        ; implicit-def: $vgpr4_vgpr5
                                        ; implicit-def: $vgpr18_vgpr19
	s_delay_alu instid0(VALU_DEP_2)
	v_cmpx_ne_u32_e64 v9, v10
	s_xor_b32 s1, exec_lo, s1
	s_cbranch_execz .LBB2_3
; %bb.2:
	s_clause 0x1
	flat_load_b128 v[4:7], v[2:3] offset:72
	flat_load_b64 v[10:11], v[2:3] offset:96
	v_add_nc_u32_e32 v8, v9, v8
	s_wait_loadcnt_dscnt 0x101
	s_delay_alu instid0(VALU_DEP_1) | instskip(SKIP_3) | instid1(VALU_DEP_3)
	v_mad_nc_u64_u32 v[18:19], v6, v8, v[4:5]
	v_ashrrev_i32_e32 v5, 31, v8
	s_wait_loadcnt_dscnt 0x0
	v_lshrrev_b64 v[32:33], 12, v[10:11]
                                        ; implicit-def: $vgpr10
	v_mad_u32 v4, v7, v8, v19
                                        ; implicit-def: $vgpr8
	s_delay_alu instid0(VALU_DEP_1)
	v_mad_u32 v19, v6, v5, v4
	v_mov_b64_e32 v[4:5], v[6:7]
.LBB2_3:
	s_wait_xcnt 0x0
	s_and_not1_saveexec_b32 s1, s1
	s_cbranch_execz .LBB2_5
; %bb.4:
	s_clause 0x1
	flat_load_b128 v[18:21], v[2:3] offset:72
	flat_load_b128 v[4:7], v[2:3] offset:88
	s_wait_loadcnt_dscnt 0x0
	v_dual_add_nc_u32 v6, v10, v8 :: v_dual_lshrrev_b32 v32, 1, v7
	s_delay_alu instid0(VALU_DEP_1) | instskip(NEXT) | instid1(VALU_DEP_1)
	v_mad_nc_u64_u32 v[18:19], v20, v6, v[18:19]
	v_mad_u32 v8, v21, v6, v19
	v_ashrrev_i32_e32 v6, 31, v6
	s_delay_alu instid0(VALU_DEP_1)
	v_mad_u32 v19, v20, v6, v8
.LBB2_5:
	s_wait_xcnt 0x0
	s_or_b32 exec_lo, exec_lo, s1
.LBB2_6:
	s_and_not1_saveexec_b32 s0, s0
	s_cbranch_execz .LBB2_8
; %bb.7:
	s_clause 0x1
	flat_load_b64 v[6:7], v[2:3] offset:96
	flat_load_b64 v[4:5], v[2:3] offset:72
	v_mov_b64_e32 v[18:19], 0
	s_wait_loadcnt_dscnt 0x101
	v_lshlrev_b64_e32 v[32:33], 9, v[6:7]
.LBB2_8:
	s_wait_xcnt 0x0
	s_or_b32 exec_lo, exec_lo, s0
	s_trap 2
	ds_load_b64 v[6:7], v0
	s_mov_b32 s1, 0
	s_mov_b32 s2, exec_lo
	s_wait_dscnt 0x0
	v_cmp_ne_u32_e32 vcc_lo, -1, v6
	v_cndmask_b32_e64 v15, 0, 1, vcc_lo
	v_cmp_ne_u32_e32 vcc_lo, -1, v7
	s_delay_alu instid0(VALU_DEP_2) | instskip(NEXT) | instid1(VALU_DEP_1)
	v_add_co_ci_u32_e64 v6, null, 0, v15, vcc_lo
	v_lshlrev_b32_e32 v7, 1, v6
	s_delay_alu instid0(VALU_DEP_1)
	v_cmpx_le_u32_e64 v7, v1
	s_xor_b32 s14, exec_lo, s2
	s_cbranch_execz .LBB2_3697
; %bb.9:
	s_clause 0x1
	flat_load_b128 v[10:13], v[2:3] offset:16
	flat_load_b64 v[34:35], v[2:3] offset:104
	s_trap 2
	s_load_b32 s0, s[8:9], 0x0
	s_bfe_u32 s2, ttmp6, 0x4000c
	s_and_b32 s3, ttmp6, 15
	s_add_co_i32 s2, s2, 1
	s_getreg_b32 s4, hwreg(HW_REG_IB_STS2, 6, 4)
	s_mul_i32 s2, ttmp9, s2
	v_dual_mov_b32 v2, 0 :: v_dual_mov_b32 v56, 4
	s_add_co_i32 s3, s3, s2
	s_cmp_eq_u32 s4, 0
	s_cselect_b32 s2, ttmp9, s3
	s_wait_kmcnt 0x0
	s_cmp_lt_u32 s2, s0
	s_cselect_b32 s0, 12, 18
	s_delay_alu instid0(SALU_CYCLE_1)
	s_add_nc_u64 s[0:1], s[8:9], s[0:1]
	global_load_u16 v30, v2, s[0:1]
	s_wait_xcnt 0x0
	ds_load_b32 v2, v0
	s_mov_b32 s1, exec_lo
	s_wait_dscnt 0x0
	v_readfirstlane_b32 s15, v2
	v_cmpx_ge_i32_e64 v0, v15
	s_cbranch_execz .LBB2_19
; %bb.10:
	v_cmp_ge_u32_e64 s0, v0, v6
                                        ; implicit-def: $vgpr56
	s_and_saveexec_b32 s2, s0
	s_delay_alu instid0(SALU_CYCLE_1)
	s_xor_b32 s0, exec_lo, s2
	s_cbranch_execz .LBB2_16
; %bb.11:
	v_cndmask_b32_e64 v2, 0, 1, vcc_lo
	s_mov_b32 s2, exec_lo
	s_delay_alu instid0(VALU_DEP_1) | instskip(NEXT) | instid1(VALU_DEP_1)
	v_sub_nc_u32_e32 v2, v1, v2
	v_cmpx_ge_u32_e64 v0, v2
	s_xor_b32 s2, exec_lo, s2
; %bb.12:
                                        ; implicit-def: $vgpr6
; %bb.13:
	s_delay_alu instid0(SALU_CYCLE_1)
	s_or_saveexec_b32 s2, s2
	v_mov_b32_e32 v56, 16
	s_xor_b32 exec_lo, exec_lo, s2
; %bb.14:
	v_sub_nc_u32_e32 v2, v1, v6
	s_delay_alu instid0(VALU_DEP_1)
	v_cmp_lt_i32_e32 vcc_lo, v0, v2
	v_cndmask_b32_e64 v56, 32, 0, vcc_lo
; %bb.15:
	s_or_b32 exec_lo, exec_lo, s2
.LBB2_16:
	s_and_not1_saveexec_b32 s0, s0
; %bb.17:
	v_mov_b32_e32 v56, 8
; %bb.18:
	s_or_b32 exec_lo, exec_lo, s0
.LBB2_19:
	s_delay_alu instid0(SALU_CYCLE_1) | instskip(NEXT) | instid1(VALU_DEP_1)
	s_or_b32 exec_lo, exec_lo, s1
	v_dual_mov_b32 v33, -1 :: v_dual_bitop2_b32 v2, 36, v56 bitop3:0x40
	s_delay_alu instid0(VALU_DEP_1)
	v_cmp_ne_u32_e32 vcc_lo, 0, v2
	s_and_saveexec_b32 s0, vcc_lo
	s_cbranch_execz .LBB2_21
; %bb.20:
	s_trap 2
	ds_load_b32 v33, v0
.LBB2_21:
	s_or_b32 exec_lo, exec_lo, s0
	v_and_b32_e32 v2, 24, v56
	s_mov_b32 s1, exec_lo
	s_delay_alu instid0(VALU_DEP_1)
	v_cmpx_ne_u32_e32 0, v2
	s_cbranch_execz .LBB2_23
; %bb.22:
	s_trap 2
	s_wait_dscnt 0x0
	ds_load_b32 v33, v0
.LBB2_23:
	s_or_b32 exec_lo, exec_lo, s1
	s_wait_loadcnt 0x4
	v_lshrrev_b64 v[2:3], 31, v[16:17]
	v_mov_b64_e32 v[20:21], 0
	v_mov_b64_e32 v[6:7], 0
                                        ; implicit-def: $vgpr24
                                        ; implicit-def: $vgpr28_vgpr29
                                        ; implicit-def: $vgpr26_vgpr27
                                        ; implicit-def: $vgpr22_vgpr23
	s_delay_alu instid0(VALU_DEP_3) | instskip(NEXT) | instid1(VALU_DEP_1)
	v_and_b32_e32 v2, 3, v2
	v_and_b32_e32 v17, 0xffff, v2
                                        ; implicit-def: $vgpr2_vgpr3
	s_and_saveexec_b32 s0, vcc_lo
	s_cbranch_execz .LBB2_33
; %bb.24:
	s_trap 2
	ds_load_b64 v[2:3], v0
	s_wait_dscnt 0x0
	v_readfirstlane_b32 s2, v2
	v_readfirstlane_b32 s3, v3
	flat_load_b64 v[2:3], v33, s[2:3] scale_offset
	s_wait_loadcnt_dscnt 0x0
	v_mad_nc_u64_u32 v[36:37], 0xa8, v17, v[2:3]
	flat_load_b32 v2, v[36:37] offset:640
	s_wait_loadcnt_dscnt 0x0
	v_cmp_eq_u32_e32 vcc_lo, 1, v2
                                        ; implicit-def: $vgpr2_vgpr3
	s_wait_xcnt 0x0
	s_and_saveexec_b32 s1, vcc_lo
	s_cbranch_execz .LBB2_26
; %bb.25:
	flat_load_b64 v[2:3], v[36:37] offset:648
	v_or_b32_e32 v56, 0x2000, v56
	s_wait_loadcnt_dscnt 0x0
	flat_load_b64 v[6:7], v[2:3]
	s_trap 2
	s_wait_loadcnt_dscnt 0x0
	ds_store_b64 v0, v[6:7]
	flat_load_b64 v[6:7], v[2:3] offset:8
	s_wait_loadcnt_dscnt 0x0
	ds_store_b64 v0, v[6:7]
	flat_load_b64 v[6:7], v[2:3] offset:16
	s_wait_loadcnt_dscnt 0x0
	ds_store_b64 v0, v[6:7]
.LBB2_26:
	s_wait_xcnt 0x0
	s_or_b32 exec_lo, exec_lo, s1
	flat_load_b64 v[8:9], v[36:37] offset:608
	v_and_b32_e32 v6, 32, v56
	s_mov_b32 s1, exec_lo
                                        ; implicit-def: $vgpr22_vgpr23
	s_wait_xcnt 0x0
	s_delay_alu instid0(VALU_DEP_1)
	v_cmpx_ne_u32_e32 0, v6
	s_cbranch_execz .LBB2_28
; %bb.27:
	flat_load_b64 v[22:23], v[36:37] offset:560
	global_wb scope:SCOPE_SYS
	s_wait_storecnt 0x0
	s_wait_xcnt 0x0
	s_wait_loadcnt_dscnt 0x0
	flat_store_b64 v[22:23], v[8:9] scope:SCOPE_SYS
.LBB2_28:
	s_wait_xcnt 0x0
	s_or_b32 exec_lo, exec_lo, s1
	v_and_b32_e32 v24, 4, v56
	v_add_nc_u64_e32 v[20:21], 0x1f8, v[36:37]
	v_mov_b64_e32 v[6:7], 0
                                        ; implicit-def: $vgpr28_vgpr29
                                        ; implicit-def: $vgpr26_vgpr27
	s_delay_alu instid0(VALU_DEP_3)
	v_cmp_ne_u32_e32 vcc_lo, 0, v24
                                        ; implicit-def: $vgpr24
	s_and_saveexec_b32 s1, vcc_lo
	s_cbranch_execz .LBB2_32
; %bb.29:
	v_and_b32_e32 v6, 0x800, v56
	s_mov_b32 s2, exec_lo
	s_delay_alu instid0(VALU_DEP_1)
	v_cmpx_eq_u32_e32 0, v6
	s_cbranch_execz .LBB2_31
; %bb.30:
	s_trap 2
	ds_store_b64 v0, v[20:21]
.LBB2_31:
	s_or_b32 exec_lo, exec_lo, s2
	flat_load_b64 v[22:23], v[36:37] offset:552
	s_wait_loadcnt_dscnt 0x0
	flat_load_b64 v[28:29], v[22:23] scope:SCOPE_SYS
	s_clause 0x2
	flat_load_b64 v[6:7], v[36:37] offset:600
	flat_load_b32 v24, v[36:37] offset:576
	flat_load_b64 v[26:27], v[36:37] offset:520
	s_wait_xcnt 0x0
	v_or_b32_e32 v36, 0x100, v56
	s_wait_loadcnt_dscnt 0x202
	v_cmp_eq_u64_e32 vcc_lo, 0, v[6:7]
	s_delay_alu instid0(VALU_DEP_2)
	v_cndmask_b32_e32 v56, v36, v56, vcc_lo
.LBB2_32:
	s_or_b32 exec_lo, exec_lo, s1
.LBB2_33:
	s_delay_alu instid0(SALU_CYCLE_1) | instskip(NEXT) | instid1(VALU_DEP_1)
	s_or_b32 exec_lo, exec_lo, s0
	v_and_b32_e32 v36, 24, v56
	s_delay_alu instid0(VALU_DEP_1)
	v_cmp_ne_u32_e32 vcc_lo, 0, v36
                                        ; implicit-def: $vgpr36_vgpr37
	s_and_saveexec_b32 s0, vcc_lo
	s_cbranch_execz .LBB2_41
; %bb.34:
	s_trap 2
	ds_load_b64 v[6:7], v0
	s_mov_b32 s1, exec_lo
                                        ; implicit-def: $vgpr36_vgpr37
	s_wait_dscnt 0x0
	v_readfirstlane_b32 s2, v6
	v_readfirstlane_b32 s3, v7
	flat_load_b64 v[6:7], v33, s[2:3] scale_offset
	s_wait_loadcnt_dscnt 0x0
	v_mad_nc_u64_u32 v[20:21], 0xa8, v17, v[6:7]
	v_or_b32_e32 v17, 0x100, v56
	flat_load_b128 v[6:9], v[20:21] offset:96
	s_wait_loadcnt_dscnt 0x0
	v_cmp_eq_u64_e32 vcc_lo, 0, v[6:7]
	v_cndmask_b32_e32 v56, v17, v56, vcc_lo
	s_delay_alu instid0(VALU_DEP_1) | instskip(SKIP_1) | instid1(VALU_DEP_1)
	v_and_b32_e32 v17, 16, v56
	s_wait_xcnt 0x0
	v_cmpx_ne_u32_e32 0, v17
	s_cbranch_execz .LBB2_36
; %bb.35:
	s_clause 0x2
	flat_load_b64 v[22:23], v[20:21] offset:48
	flat_load_b64 v[36:37], v[20:21] offset:120
	;; [unrolled: 1-line block ×3, first 2 shown]
.LBB2_36:
	s_wait_xcnt 0x0
	s_or_b32 exec_lo, exec_lo, s1
	v_and_b32_e32 v17, 8, v56
	s_mov_b32 s1, exec_lo
	s_delay_alu instid0(VALU_DEP_1)
	v_cmpx_ne_u32_e32 0, v17
	s_cbranch_execz .LBB2_40
; %bb.37:
	v_and_b32_e32 v17, 0x800, v56
	s_mov_b32 s2, exec_lo
	s_delay_alu instid0(VALU_DEP_1)
	v_cmpx_eq_u32_e32 0, v17
	s_cbranch_execz .LBB2_39
; %bb.38:
	s_trap 2
	ds_store_b64 v0, v[20:21]
.LBB2_39:
	s_or_b32 exec_lo, exec_lo, s2
	s_wait_loadcnt_dscnt 0x202
	flat_load_b64 v[22:23], v[20:21] offset:56
	s_wait_loadcnt_dscnt 0x0
	flat_load_b64 v[28:29], v[22:23] scope:SCOPE_SYS
	s_clause 0x1
	flat_load_b32 v24, v[20:21] offset:72
	flat_load_b64 v[26:27], v[20:21] offset:16
.LBB2_40:
	s_wait_xcnt 0x0
	s_or_b32 exec_lo, exec_lo, s1
.LBB2_41:
	s_delay_alu instid0(SALU_CYCLE_1)
	s_or_b32 exec_lo, exec_lo, s0
	v_cmp_eq_u32_e64 s0, 0, v0
	s_and_saveexec_b32 s1, s0
	s_cbranch_execz .LBB2_43
; %bb.42:
	v_mov_b64_e32 v[38:39], 0
	s_wait_loadcnt 0x2
	ds_store_2addr_b64 v0, v[12:13], v[10:11] offset1:1
	s_trap 2
	ds_store_b64 v0, v[38:39]
	s_wait_loadcnt 0x1
	ds_store_b64 v0, v[34:35]
.LBB2_43:
	s_or_b32 exec_lo, exec_lo, s1
	s_wait_loadcnt 0x2
	v_bfe_u32 v10, v16, 1, 30
	s_wait_loadcnt 0x1
	v_and_b32_e32 v34, 0x3ffffe00, v32
	v_mov_b32_e32 v35, 0
	s_wait_loadcnt 0x0
	v_and_b32_e32 v57, 0xffff, v30
                                        ; implicit-def: $vgpr32_vgpr33
	s_mov_b32 s1, exec_lo
	v_cmpx_ne_u32_e64 v25, v10
	s_xor_b32 s16, exec_lo, s1
	s_cbranch_execz .LBB2_3489
; %bb.44:
                                        ; implicit-def: $vgpr32_vgpr33
	s_mov_b32 s1, exec_lo
	v_cmpx_ne_u32_e64 v14, v10
	s_xor_b32 s17, exec_lo, s1
	s_cbranch_execz .LBB2_1772
; %bb.45:
	s_wait_dscnt 0x0
	v_mov_b64_e32 v[32:33], 0
	s_mov_b32 s18, exec_lo
	v_cmpx_ne_u64_e32 0, v[4:5]
	s_cbranch_execz .LBB2_1771
; %bb.46:
	v_dual_ashrrev_i32 v10, 31, v0 :: v_dual_bitop2_b32 v11, 31, v31 bitop3:0x40
	v_dual_ashrrev_i32 v25, 31, v24 :: v_dual_mov_b32 v49, 0
	s_delay_alu instid0(VALU_DEP_2)
	v_dual_lshlrev_b32 v50, 4, v0 :: v_dual_lshrrev_b32 v10, 27, v10
	s_ashr_i32 s4, s15, 31
	v_cmp_eq_u32_e32 vcc_lo, 32, v1
	s_lshr_b32 s4, s4, 24
	v_mov_b64_e32 v[66:67], 0
	v_dual_add_nc_u32 v10, v0, v10 :: v_dual_lshrrev_b32 v38, 5, v1
	v_mov_b32_e32 v39, v49
	v_cmp_eq_u64_e64 s7, 0, v[36:37]
	v_mov_b64_e32 v[68:69], 0
	s_delay_alu instid0(VALU_DEP_4)
	v_and_b32_e32 v12, 0xffffffe0, v10
	v_ashrrev_i32_e32 v10, 5, v10
	v_mov_b64_e32 v[32:33], 0
	v_cmp_ge_i32_e64 s1, v0, v1
	v_cmp_ne_u32_e64 s2, 32, v1
	v_dual_sub_nc_u32 v58, v0, v12 :: v_dual_ashrrev_i32 v51, 31, v50
	v_cmp_ne_u32_e64 s3, v1, v57
	s_add_co_i32 s10, s15, s4
	v_cmp_eq_u32_e64 s4, 0, v11
	v_dual_mov_b32 v53, v49 :: v_dual_lshlrev_b32 v52, 9, v38
	v_dual_sub_nc_u32 v59, 0, v10 :: v_dual_mov_b32 v55, v49
	v_cmp_le_i32_e64 s5, v58, v15
	v_cmp_lt_i32_e64 s6, v58, v15
	v_dual_mov_b32 v65, v49 :: v_dual_lshlrev_b32 v54, 8, v38
	v_and_b32_e32 v64, 0x1fe0, v1
	v_dual_mov_b32 v60, 1 :: v_dual_mov_b32 v61, 0x90
	v_mov_b32_e32 v62, 0x7f800000
	v_mov_b32_e32 v63, 0x7c
	s_mov_b64 s[12:13], 0xffffffffffffff
	s_ashr_i32 s20, s10, 8
	s_mov_b32 s19, 0
	s_xor_b32 s21, vcc_lo, -1
	s_trap 2
	s_branch .LBB2_49
.LBB2_47:                               ;   in Loop: Header=BB2_49 Depth=1
	s_wait_xcnt 0x0
	s_or_b32 exec_lo, exec_lo, s10
.LBB2_48:                               ;   in Loop: Header=BB2_49 Depth=1
	s_delay_alu instid0(SALU_CYCLE_1) | instskip(SKIP_1) | instid1(VALU_DEP_1)
	s_or_b32 exec_lo, exec_lo, s11
	v_add_nc_u64_e32 v[68:69], v[68:69], v[34:35]
	v_cmp_ge_u64_e32 vcc_lo, v[68:69], v[4:5]
	s_or_b32 s19, vcc_lo, s19
	s_delay_alu instid0(SALU_CYCLE_1)
	s_and_not1_b32 exec_lo, exec_lo, s19
	s_cbranch_execz .LBB2_1770
.LBB2_49:                               ; =>This Loop Header: Depth=1
                                        ;     Child Loop BB2_58 Depth 2
                                        ;     Child Loop BB2_86 Depth 2
	;; [unrolled: 1-line block ×10, first 2 shown]
	v_sub_nc_u64_e32 v[10:11], v[4:5], v[68:69]
	s_delay_alu instid0(VALU_DEP_1) | instskip(NEXT) | instid1(VALU_DEP_1)
	v_min_u64 v[70:71], v[34:35], v[10:11]
	v_add_nc_u32_e32 v10, 15, v70
	s_delay_alu instid0(VALU_DEP_2) | instskip(NEXT) | instid1(VALU_DEP_2)
	v_cmp_eq_u64_e32 vcc_lo, 0, v[70:71]
	v_and_b32_e32 v10, 0x7ffffff0, v10
	s_or_b32 s22, s1, vcc_lo
	s_delay_alu instid0(SALU_CYCLE_1) | instskip(NEXT) | instid1(VALU_DEP_1)
	s_xor_b32 s10, s22, -1
	v_dual_mov_b32 v10, v49 :: v_dual_max_i32 v80, s20, v10
	s_and_saveexec_b32 s23, s10
	s_cbranch_execz .LBB2_1718
; %bb.50:                               ;   in Loop: Header=BB2_49 Depth=1
	s_and_saveexec_b32 s10, s0
	s_cbranch_execz .LBB2_52
; %bb.51:                               ;   in Loop: Header=BB2_49 Depth=1
	s_trap 2
	ds_load_b64 v[10:11], v0
	s_wait_dscnt 0x0
	v_add_nc_u64_e32 v[10:11], v[10:11], v[18:19]
	s_delay_alu instid0(VALU_DEP_1)
	v_add_nc_u64_e32 v[10:11], v[10:11], v[68:69]
	ds_store_b64 v0, v[10:11]
	ds_store_b64 v0, v[66:67]
.LBB2_52:                               ;   in Loop: Header=BB2_49 Depth=1
	s_or_b32 exec_lo, exec_lo, s10
	v_and_b32_e32 v10, 12, v56
	v_min_u32_e32 v80, v80, v70
	s_mov_b32 s11, exec_lo
	s_delay_alu instid0(VALU_DEP_2)
	v_cmpx_ne_u32_e32 0, v10
	s_cbranch_execz .LBB2_78
; %bb.53:                               ;   in Loop: Header=BB2_49 Depth=1
	v_and_b32_e32 v48, 8, v56
	v_add_nc_u64_e32 v[10:11], 1, v[8:9]
	s_mov_b32 s24, exec_lo
	s_wait_loadcnt 0x0
	s_delay_alu instid0(VALU_DEP_2) | instskip(NEXT) | instid1(VALU_DEP_1)
	v_add_nc_u64_e32 v[12:13], v[28:29], v[48:49]
	v_cmpx_lt_u64_e64 v[12:13], v[10:11]
	s_cbranch_execz .LBB2_65
; %bb.54:                               ;   in Loop: Header=BB2_49 Depth=1
	v_and_b32_e32 v9, 64, v56
	s_mov_b32 s25, 0
	s_mov_b32 s29, 0
                                        ; implicit-def: $sgpr26
                                        ; implicit-def: $sgpr27
                                        ; implicit-def: $sgpr28
	s_delay_alu instid0(VALU_DEP_1)
	v_cmp_eq_u32_e32 vcc_lo, 0, v9
	s_branch .LBB2_58
.LBB2_55:                               ;   in Loop: Header=BB2_58 Depth=2
	s_wait_loadcnt_dscnt 0x0
	v_add_nc_u64_e32 v[12:13], v[28:29], v[48:49]
	s_or_b32 s42, s42, exec_lo
	s_delay_alu instid0(VALU_DEP_1)
	v_cmp_ge_u64_e64 s10, v[12:13], v[10:11]
	s_or_not1_b32 s41, s10, exec_lo
.LBB2_56:                               ;   in Loop: Header=BB2_58 Depth=2
	s_or_b32 exec_lo, exec_lo, s44
	s_delay_alu instid0(SALU_CYCLE_1)
	s_and_not1_b32 s10, s28, exec_lo
	s_and_b32 s28, s42, exec_lo
	s_and_not1_b32 s27, s27, exec_lo
	s_and_b32 s41, s41, exec_lo
	s_or_b32 s28, s10, s28
	s_or_b32 s27, s27, s41
.LBB2_57:                               ;   in Loop: Header=BB2_58 Depth=2
	s_or_b32 exec_lo, exec_lo, s40
	s_delay_alu instid0(SALU_CYCLE_1) | instskip(NEXT) | instid1(SALU_CYCLE_1)
	s_and_b32 s10, exec_lo, s27
	s_or_b32 s25, s10, s25
	s_and_not1_b32 s10, s26, exec_lo
	s_and_b32 s26, s28, exec_lo
	s_delay_alu instid0(SALU_CYCLE_1)
	s_or_b32 s26, s10, s26
	s_and_not1_b32 exec_lo, exec_lo, s25
	s_cbranch_execz .LBB2_62
.LBB2_58:                               ;   Parent Loop BB2_49 Depth=1
                                        ; =>  This Inner Loop Header: Depth=2
	s_sleep 1
	s_wait_loadcnt_dscnt 0x0
	flat_load_b64 v[28:29], v[22:23] scope:SCOPE_SYS
	s_or_b32 s28, s28, exec_lo
	s_or_b32 s27, s27, exec_lo
                                        ; implicit-def: $vgpr9
	s_wait_xcnt 0x0
	s_and_saveexec_b32 s40, vcc_lo
	s_cbranch_execz .LBB2_57
; %bb.59:                               ;   in Loop: Header=BB2_58 Depth=2
	s_cmp_lt_i32 s29, 0x270f
	s_mov_b32 s41, -1
	s_cselect_b32 s43, -1, 0
	s_cmp_gt_i32 s29, 0x270e
	s_cbranch_scc0 .LBB2_61
; %bb.60:                               ;   in Loop: Header=BB2_58 Depth=2
	s_trap 2
	ds_load_b64 v[12:13], v0
	s_and_not1_b32 s29, s43, exec_lo
	s_mov_b32 s42, 0
	s_wait_storecnt 0x0
	s_wait_loadcnt_dscnt 0x0
	flat_load_b32 v9, v[12:13] scope:SCOPE_SYS
	s_wait_loadcnt_dscnt 0x0
	global_inv scope:SCOPE_SYS
	v_cmp_eq_u32_e64 s10, 0, v9
	s_and_b32 s10, s10, exec_lo
	s_delay_alu instid0(SALU_CYCLE_1)
	s_or_b32 s43, s29, s10
	s_mov_b32 s29, 0
	s_and_saveexec_b32 s44, s43
	s_cbranch_execz .LBB2_56
	s_branch .LBB2_55
.LBB2_61:                               ;   in Loop: Header=BB2_58 Depth=2
	s_add_co_i32 s29, s29, 1
	s_mov_b32 s42, -1
                                        ; implicit-def: $vgpr9
	s_and_saveexec_b32 s44, s43
	s_cbranch_execz .LBB2_56
	s_branch .LBB2_55
.LBB2_62:                               ;   in Loop: Header=BB2_49 Depth=1
	s_or_b32 exec_lo, exec_lo, s25
	s_xor_b32 s10, s26, -1
	s_delay_alu instid0(SALU_CYCLE_1) | instskip(NEXT) | instid1(SALU_CYCLE_1)
	s_and_saveexec_b32 s25, s10
	s_xor_b32 s10, exec_lo, s25
	s_cbranch_execz .LBB2_64
; %bb.63:                               ;   in Loop: Header=BB2_49 Depth=1
	v_or_b32_e32 v56, 64, v56
	s_wait_storecnt 0x0
	s_wait_loadcnt_dscnt 0x0
	ds_store_b32 v0, v9
	s_trap 2
.LBB2_64:                               ;   in Loop: Header=BB2_49 Depth=1
	s_or_b32 exec_lo, exec_lo, s10
.LBB2_65:                               ;   in Loop: Header=BB2_49 Depth=1
	s_delay_alu instid0(SALU_CYCLE_1) | instskip(SKIP_2) | instid1(VALU_DEP_1)
	s_or_b32 exec_lo, exec_lo, s24
	v_and_b32_e32 v9, 0x108, v56
	;;#ASMSTART
	s_wakeup
	;;#ASMEND
	v_cmp_ne_u32_e32 vcc_lo, 0x108, v9
	v_and_b32_e32 v8, 7, v8
	s_and_saveexec_b32 s10, vcc_lo
	s_delay_alu instid0(SALU_CYCLE_1)
	s_xor_b32 s10, exec_lo, s10
; %bb.66:                               ;   in Loop: Header=BB2_49 Depth=1
	v_mov_b32_e32 v9, v49
; %bb.67:                               ;   in Loop: Header=BB2_49 Depth=1
	s_and_not1_saveexec_b32 s10, s10
	s_cbranch_execz .LBB2_69
; %bb.68:                               ;   in Loop: Header=BB2_49 Depth=1
	v_mad_nc_u64_u32 v[12:13], v8, 24, v[6:7]
	v_dual_mov_b32 v81, v49 :: v_dual_mov_b32 v9, v49
	flat_store_b64 v[12:13], v[80:81] offset:8
.LBB2_69:                               ;   in Loop: Header=BB2_49 Depth=1
	s_wait_xcnt 0x0
	s_or_b32 exec_lo, exec_lo, s10
	v_and_b32_e32 v12, 0x100, v56
	s_mov_b32 s10, -1
	s_delay_alu instid0(VALU_DEP_1)
	v_cmp_ne_u32_e32 vcc_lo, 0, v12
                                        ; implicit-def: $vgpr12_vgpr13
	s_and_saveexec_b32 s24, vcc_lo
	s_cbranch_execz .LBB2_73
; %bb.70:                               ;   in Loop: Header=BB2_49 Depth=1
	v_mad_nc_u64_u32 v[14:15], v8, 24, v[6:7]
	s_delay_alu instid0(VALU_DEP_1)
	v_mad_u32 v15, v9, 24, v15
	flat_load_b32 v12, v[14:15]
	s_wait_loadcnt_dscnt 0x0
	v_cmp_eq_u32_e64 s10, 1, v12
	v_cmp_ne_u32_e32 vcc_lo, 1, v12
                                        ; implicit-def: $vgpr12_vgpr13
	s_wait_xcnt 0x0
	s_and_saveexec_b32 s25, s10
	s_cbranch_execz .LBB2_72
; %bb.71:                               ;   in Loop: Header=BB2_49 Depth=1
	flat_load_b32 v12, v[14:15] offset:4 scope:SCOPE_SYS
	s_wait_loadcnt_dscnt 0x0
	v_ashrrev_i32_e32 v13, 31, v12
.LBB2_72:                               ;   in Loop: Header=BB2_49 Depth=1
	s_wait_xcnt 0x0
	s_or_b32 exec_lo, exec_lo, s25
	s_delay_alu instid0(SALU_CYCLE_1)
	s_or_not1_b32 s10, vcc_lo, exec_lo
.LBB2_73:                               ;   in Loop: Header=BB2_49 Depth=1
	s_or_b32 exec_lo, exec_lo, s24
	s_and_saveexec_b32 s24, s10
; %bb.74:                               ;   in Loop: Header=BB2_49 Depth=1
	v_mul_u64_e32 v[12:13], v[8:9], v[24:25]
; %bb.75:                               ;   in Loop: Header=BB2_49 Depth=1
	s_or_b32 exec_lo, exec_lo, s24
	v_cmp_eq_u32_e32 vcc_lo, 0, v48
	s_delay_alu instid0(VALU_DEP_2) | instskip(SKIP_3) | instid1(VALU_DEP_1)
	v_add_nc_u64_e32 v[8:9], v[26:27], v[12:13]
	v_and_b32_e32 v15, 0x2000, v56
	s_mov_b32 s10, exec_lo
	v_cndmask_b32_e32 v14, 0xc8, v61, vcc_lo
	v_add_nc_u32_e32 v12, v0, v14
	ds_store_b64 v12, v[8:9] offset:584
	v_cmpx_ne_u32_e32 0, v15
	s_cbranch_execz .LBB2_77
; %bb.76:                               ;   in Loop: Header=BB2_49 Depth=1
	ds_load_b64 v[8:9], v0 offset:872
	s_wait_dscnt 0x0
	v_add_nc_u64_e32 v[8:9], 1, v[8:9]
	ds_store_b64 v0, v[8:9] offset:872
.LBB2_77:                               ;   in Loop: Header=BB2_49 Depth=1
	s_or_b32 exec_lo, exec_lo, s10
	v_mov_b64_e32 v[8:9], v[10:11]
.LBB2_78:                               ;   in Loop: Header=BB2_49 Depth=1
	s_or_b32 exec_lo, exec_lo, s11
	s_and_saveexec_b32 s10, s2
	s_cbranch_execz .LBB2_97
; %bb.79:                               ;   in Loop: Header=BB2_49 Depth=1
	s_and_saveexec_b32 s11, s3
	s_delay_alu instid0(SALU_CYCLE_1)
	s_xor_b32 s11, exec_lo, s11
	s_cbranch_execz .LBB2_94
; %bb.80:                               ;   in Loop: Header=BB2_49 Depth=1
	s_and_saveexec_b32 s24, s4
	s_cbranch_execz .LBB2_93
; %bb.81:                               ;   in Loop: Header=BB2_49 Depth=1
	s_mov_b32 s26, exec_lo
	s_mov_b32 s25, exec_lo
	v_mbcnt_lo_u32_b32 v10, s26, 0
	global_wb scope:SCOPE_DEV
	s_wait_storecnt 0x0
	s_wait_loadcnt_dscnt 0x0
	global_inv scope:SCOPE_DEV
	v_cmpx_eq_u32_e32 0, v10
	s_cbranch_execz .LBB2_83
; %bb.82:                               ;   in Loop: Header=BB2_49 Depth=1
	s_bcnt1_i32_b32 s26, s26
	s_delay_alu instid0(SALU_CYCLE_1)
	v_mov_b32_e32 v48, s26
	s_wait_loadcnt 0x0
	ds_add_u64 v0, v[48:49]
	s_trap 2
.LBB2_83:                               ;   in Loop: Header=BB2_49 Depth=1
	s_or_b32 exec_lo, exec_lo, s25
	s_trap 2
	ds_load_b64 v[10:11], v0
	s_wait_dscnt 0x0
	v_add_nc_u64_e32 v[32:33], v[32:33], v[38:39]
	s_mov_b32 s25, exec_lo
	s_delay_alu instid0(VALU_DEP_1)
	v_cmpx_lt_u64_e64 v[10:11], v[32:33]
	s_cbranch_execz .LBB2_92
; %bb.84:                               ;   in Loop: Header=BB2_49 Depth=1
	s_mov_b32 s26, 0
	s_mov_b32 s29, 0
                                        ; implicit-def: $sgpr27
                                        ; implicit-def: $sgpr28
	s_branch .LBB2_86
.LBB2_85:                               ;   in Loop: Header=BB2_86 Depth=2
	s_or_b32 exec_lo, exec_lo, s41
	s_delay_alu instid0(SALU_CYCLE_1) | instskip(NEXT) | instid1(SALU_CYCLE_1)
	s_and_b32 s40, exec_lo, s42
	s_or_b32 s26, s40, s26
	s_and_not1_b32 s27, s27, exec_lo
	s_and_b32 s40, s28, exec_lo
	s_delay_alu instid0(SALU_CYCLE_1)
	s_or_b32 s27, s27, s40
	s_and_not1_b32 exec_lo, exec_lo, s26
	s_cbranch_execz .LBB2_90
.LBB2_86:                               ;   Parent Loop BB2_49 Depth=1
                                        ; =>  This Inner Loop Header: Depth=2
	s_add_co_i32 s29, s29, 1
	s_delay_alu instid0(SALU_CYCLE_1) | instskip(SKIP_1) | instid1(SALU_CYCLE_1)
	s_cmp_lg_u32 s29, 0x2710
	s_cselect_b32 s40, -1, 0
	s_and_b32 vcc_lo, exec_lo, s40
	s_cbranch_vccz .LBB2_88
; %bb.87:                               ;   in Loop: Header=BB2_86 Depth=2
	s_mov_b32 s42, -1
	s_or_b32 s28, s28, exec_lo
	s_and_saveexec_b32 s41, s40
	s_cbranch_execz .LBB2_85
	s_branch .LBB2_89
.LBB2_88:                               ;   in Loop: Header=BB2_86 Depth=2
	s_trap 2
	ds_load_b64 v[10:11], v0
	s_and_not1_b32 s40, s40, exec_lo
	s_mov_b32 s29, 0
	s_wait_loadcnt_dscnt 0x0
	flat_load_b32 v10, v[10:11] scope:SCOPE_SYS
	s_wait_loadcnt_dscnt 0x0
	global_inv scope:SCOPE_SYS
	v_cmp_eq_u32_e32 vcc_lo, 0, v10
	s_and_b32 s41, vcc_lo, exec_lo
	s_delay_alu instid0(SALU_CYCLE_1)
	s_or_b32 s40, s40, s41
	s_mov_b32 s42, -1
	s_or_b32 s28, s28, exec_lo
	s_and_saveexec_b32 s41, s40
	s_cbranch_execz .LBB2_85
.LBB2_89:                               ;   in Loop: Header=BB2_86 Depth=2
	s_sleep 1
	s_trap 2
	ds_load_b64 v[10:11], v0
	s_wait_dscnt 0x0
	s_and_not1_b32 s28, s28, exec_lo
	v_cmp_ge_u64_e32 vcc_lo, v[10:11], v[32:33]
	s_or_not1_b32 s42, vcc_lo, exec_lo
	s_branch .LBB2_85
.LBB2_90:                               ;   in Loop: Header=BB2_49 Depth=1
	s_or_b32 exec_lo, exec_lo, s26
	s_and_saveexec_b32 s26, s27
	s_delay_alu instid0(SALU_CYCLE_1)
	s_xor_b32 s26, exec_lo, s26
	s_cbranch_execz .LBB2_92
; %bb.91:                               ;   in Loop: Header=BB2_49 Depth=1
	ds_store_b32 v0, v60
	s_trap 2
.LBB2_92:                               ;   in Loop: Header=BB2_49 Depth=1
	s_or_b32 exec_lo, exec_lo, s25
	;;#ASMSTART
	s_wakeup
	;;#ASMEND
.LBB2_93:                               ;   in Loop: Header=BB2_49 Depth=1
	s_or_b32 exec_lo, exec_lo, s24
.LBB2_94:                               ;   in Loop: Header=BB2_49 Depth=1
	s_and_not1_saveexec_b32 s11, s11
	s_cbranch_execz .LBB2_96
; %bb.95:                               ;   in Loop: Header=BB2_49 Depth=1
	global_wb scope:SCOPE_DEV
	s_wait_storecnt 0x0
	s_wait_loadcnt_dscnt 0x0
	global_inv scope:SCOPE_DEV
	s_barrier_signal -1
	s_barrier_wait -1
.LBB2_96:                               ;   in Loop: Header=BB2_49 Depth=1
	s_or_b32 exec_lo, exec_lo, s11
.LBB2_97:                               ;   in Loop: Header=BB2_49 Depth=1
	s_delay_alu instid0(SALU_CYCLE_1) | instskip(SKIP_3) | instid1(VALU_DEP_1)
	s_or_b32 exec_lo, exec_lo, s10
	s_trap 2
	ds_load_b32 v10, v0
	v_and_b32_e32 v11, 0x4000, v56
	v_cmp_ne_u32_e32 vcc_lo, 0, v11
	s_and_b32 s11, s21, vcc_lo
	s_delay_alu instid0(SALU_CYCLE_1)
	s_and_saveexec_b32 s10, s11
	s_cbranch_execz .LBB2_116
; %bb.98:                               ;   in Loop: Header=BB2_49 Depth=1
	s_and_saveexec_b32 s11, s3
	s_delay_alu instid0(SALU_CYCLE_1)
	s_xor_b32 s11, exec_lo, s11
	s_cbranch_execz .LBB2_113
; %bb.99:                               ;   in Loop: Header=BB2_49 Depth=1
	s_and_saveexec_b32 s24, s4
	s_cbranch_execz .LBB2_112
; %bb.100:                              ;   in Loop: Header=BB2_49 Depth=1
	s_mov_b32 s26, exec_lo
	s_mov_b32 s25, exec_lo
	v_mbcnt_lo_u32_b32 v11, s26, 0
	global_wb scope:SCOPE_DEV
	s_wait_storecnt 0x0
	s_wait_loadcnt_dscnt 0x0
	global_inv scope:SCOPE_DEV
	v_cmpx_eq_u32_e32 0, v11
	s_cbranch_execz .LBB2_102
; %bb.101:                              ;   in Loop: Header=BB2_49 Depth=1
	s_bcnt1_i32_b32 s26, s26
	s_delay_alu instid0(SALU_CYCLE_1)
	v_mov_b32_e32 v48, s26
	s_wait_loadcnt 0x0
	ds_add_u64 v0, v[48:49]
	s_trap 2
.LBB2_102:                              ;   in Loop: Header=BB2_49 Depth=1
	s_or_b32 exec_lo, exec_lo, s25
	s_trap 2
	ds_load_b64 v[12:13], v0
	s_wait_dscnt 0x0
	v_add_nc_u64_e32 v[32:33], v[32:33], v[38:39]
	s_mov_b32 s25, exec_lo
	s_delay_alu instid0(VALU_DEP_1)
	v_cmpx_lt_u64_e64 v[12:13], v[32:33]
	s_cbranch_execz .LBB2_111
; %bb.103:                              ;   in Loop: Header=BB2_49 Depth=1
	s_mov_b32 s26, 0
	s_mov_b32 s29, 0
                                        ; implicit-def: $sgpr27
                                        ; implicit-def: $sgpr28
	s_branch .LBB2_105
.LBB2_104:                              ;   in Loop: Header=BB2_105 Depth=2
	s_or_b32 exec_lo, exec_lo, s41
	s_delay_alu instid0(SALU_CYCLE_1) | instskip(NEXT) | instid1(SALU_CYCLE_1)
	s_and_b32 s40, exec_lo, s42
	s_or_b32 s26, s40, s26
	s_and_not1_b32 s27, s27, exec_lo
	s_and_b32 s40, s28, exec_lo
	s_delay_alu instid0(SALU_CYCLE_1)
	s_or_b32 s27, s27, s40
	s_and_not1_b32 exec_lo, exec_lo, s26
	s_cbranch_execz .LBB2_109
.LBB2_105:                              ;   Parent Loop BB2_49 Depth=1
                                        ; =>  This Inner Loop Header: Depth=2
	s_add_co_i32 s29, s29, 1
	s_delay_alu instid0(SALU_CYCLE_1) | instskip(SKIP_1) | instid1(SALU_CYCLE_1)
	s_cmp_lg_u32 s29, 0x2710
	s_cselect_b32 s40, -1, 0
	s_and_b32 vcc_lo, exec_lo, s40
	s_cbranch_vccz .LBB2_107
; %bb.106:                              ;   in Loop: Header=BB2_105 Depth=2
	s_mov_b32 s42, -1
	s_or_b32 s28, s28, exec_lo
	s_and_saveexec_b32 s41, s40
	s_cbranch_execz .LBB2_104
	s_branch .LBB2_108
.LBB2_107:                              ;   in Loop: Header=BB2_105 Depth=2
	s_trap 2
	ds_load_b64 v[12:13], v0
	s_and_not1_b32 s40, s40, exec_lo
	s_mov_b32 s29, 0
	s_wait_loadcnt_dscnt 0x0
	flat_load_b32 v11, v[12:13] scope:SCOPE_SYS
	s_wait_loadcnt_dscnt 0x0
	global_inv scope:SCOPE_SYS
	v_cmp_eq_u32_e32 vcc_lo, 0, v11
	s_and_b32 s41, vcc_lo, exec_lo
	s_delay_alu instid0(SALU_CYCLE_1)
	s_or_b32 s40, s40, s41
	s_mov_b32 s42, -1
	s_or_b32 s28, s28, exec_lo
	s_and_saveexec_b32 s41, s40
	s_cbranch_execz .LBB2_104
.LBB2_108:                              ;   in Loop: Header=BB2_105 Depth=2
	s_sleep 1
	s_trap 2
	ds_load_b64 v[12:13], v0
	s_wait_dscnt 0x0
	s_and_not1_b32 s28, s28, exec_lo
	v_cmp_ge_u64_e32 vcc_lo, v[12:13], v[32:33]
	s_or_not1_b32 s42, vcc_lo, exec_lo
	s_branch .LBB2_104
.LBB2_109:                              ;   in Loop: Header=BB2_49 Depth=1
	s_or_b32 exec_lo, exec_lo, s26
	s_and_saveexec_b32 s26, s27
	s_delay_alu instid0(SALU_CYCLE_1)
	s_xor_b32 s26, exec_lo, s26
	s_cbranch_execz .LBB2_111
; %bb.110:                              ;   in Loop: Header=BB2_49 Depth=1
	ds_store_b32 v0, v60
	s_trap 2
.LBB2_111:                              ;   in Loop: Header=BB2_49 Depth=1
	s_or_b32 exec_lo, exec_lo, s25
	;;#ASMSTART
	s_wakeup
	;;#ASMEND
.LBB2_112:                              ;   in Loop: Header=BB2_49 Depth=1
	s_or_b32 exec_lo, exec_lo, s24
.LBB2_113:                              ;   in Loop: Header=BB2_49 Depth=1
	s_and_not1_saveexec_b32 s11, s11
	s_cbranch_execz .LBB2_115
; %bb.114:                              ;   in Loop: Header=BB2_49 Depth=1
	global_wb scope:SCOPE_DEV
	s_wait_storecnt 0x0
	s_wait_loadcnt_dscnt 0x0
	global_inv scope:SCOPE_DEV
	s_barrier_signal -1
	s_barrier_wait -1
.LBB2_115:                              ;   in Loop: Header=BB2_49 Depth=1
	s_or_b32 exec_lo, exec_lo, s11
.LBB2_116:                              ;   in Loop: Header=BB2_49 Depth=1
	s_delay_alu instid0(SALU_CYCLE_1)
	s_or_b32 exec_lo, exec_lo, s10
	s_trap 2
	ds_load_b64 v[82:83], v0
	s_wait_dscnt 0x0
	v_cmp_eq_u64_e32 vcc_lo, 0, v[82:83]
	s_cbranch_vccnz .LBB2_124
; %bb.117:                              ;   in Loop: Header=BB2_49 Depth=1
	s_trap 2
	ds_load_b64 v[84:85], v0
	s_wait_dscnt 0x0
	v_cmp_eq_u64_e32 vcc_lo, 0, v[84:85]
	s_cbranch_vccnz .LBB2_124
; %bb.118:                              ;   in Loop: Header=BB2_49 Depth=1
	s_mov_b32 s10, -1
	s_and_saveexec_b32 s11, s5
	s_cbranch_execz .LBB2_120
; %bb.119:                              ;   in Loop: Header=BB2_49 Depth=1
	ds_load_b32 v11, v0 offset:720
	s_wait_dscnt 0x0
	v_and_b32_e32 v11, 15, v11
	s_delay_alu instid0(VALU_DEP_1)
	v_cmp_eq_u32_e32 vcc_lo, 0, v11
	s_or_not1_b32 s10, vcc_lo, exec_lo
.LBB2_120:                              ;   in Loop: Header=BB2_49 Depth=1
	s_or_b32 exec_lo, exec_lo, s11
	s_and_saveexec_b32 s11, s6
	s_cbranch_execz .LBB2_122
; %bb.121:                              ;   in Loop: Header=BB2_49 Depth=1
	ds_load_b32 v11, v0 offset:784
	s_wait_dscnt 0x0
	v_and_b32_e32 v11, 15, v11
	s_delay_alu instid0(VALU_DEP_1) | instskip(SKIP_3) | instid1(SALU_CYCLE_1)
	v_cmp_eq_u32_e32 vcc_lo, 0, v11
	s_and_b32 s24, s10, vcc_lo
	s_and_not1_b32 s10, s10, exec_lo
	s_and_b32 s24, s24, exec_lo
	s_or_b32 s10, s10, s24
.LBB2_122:                              ;   in Loop: Header=BB2_49 Depth=1
	s_or_b32 exec_lo, exec_lo, s11
	v_cmp_eq_u32_e32 vcc_lo, 0, v10
	s_xor_b32 s10, s10, -1
	s_mov_b32 s24, -1
	v_cndmask_b32_e64 v11, 0, 1, s10
	v_dual_mov_b32 v81, 0 :: v_dual_cndmask_b32 v71, 0, v80, vcc_lo
	v_mov_b32_e32 v30, v0
	s_delay_alu instid0(VALU_DEP_3) | instskip(NEXT) | instid1(VALU_DEP_3)
	v_cmp_ne_u32_e32 vcc_lo, 0, v11
	v_mov_b32_e32 v72, v71
	s_cbranch_vccz .LBB2_125
; %bb.123:                              ;   in Loop: Header=BB2_49 Depth=1
	s_and_saveexec_b32 s11, s24
	s_cbranch_execnz .LBB2_1288
	s_branch .LBB2_1692
.LBB2_124:                              ;   in Loop: Header=BB2_49 Depth=1
	s_mov_b32 s10, 0
	s_and_saveexec_b32 s11, s2
	s_cbranch_execnz .LBB2_1693
	s_branch .LBB2_1711
.LBB2_125:                              ;   in Loop: Header=BB2_49 Depth=1
	v_and_b32_e32 v81, 0x1ff, v71
	v_dual_lshrrev_b32 v10, 9, v71 :: v_dual_sub_nc_u32 v115, v71, v50
	s_mov_b32 s24, exec_lo
	s_delay_alu instid0(VALU_DEP_2) | instskip(NEXT) | instid1(VALU_DEP_2)
	v_cmp_lt_u32_e32 vcc_lo, 15, v81
	v_add_co_ci_u32_e64 v114, null, v10, v59, vcc_lo
	s_delay_alu instid0(VALU_DEP_3)
	v_cmpx_lt_i32_e32 15, v115
	s_cbranch_execz .LBB2_705
; %bb.126:                              ;   in Loop: Header=BB2_49 Depth=1
	s_trap 2
	ds_load_b64 v[10:11], v0
	v_add_nc_u64_e32 v[86:87], v[82:83], v[50:51]
	v_add_nc_u64_e32 v[98:99], v[84:85], v[50:51]
	s_mov_b32 s25, 0
	s_wait_dscnt 0x0
	v_add_nc_u64_e32 v[96:97], v[10:11], v[50:51]
	s_branch .LBB2_129
.LBB2_127:                              ;   in Loop: Header=BB2_129 Depth=2
	s_or_b32 exec_lo, exec_lo, s26
.LBB2_128:                              ;   in Loop: Header=BB2_129 Depth=2
	s_delay_alu instid0(SALU_CYCLE_1)
	s_or_b32 exec_lo, exec_lo, s11
	v_lshl_or_b32 v11, v113, 8, v112
	v_dual_lshlrev_b32 v12, 16, v102 :: v_dual_lshlrev_b32 v17, 24, v119
	v_dual_lshlrev_b32 v13, 24, v30 :: v_dual_lshlrev_b32 v48, 16, v41
	v_lshl_or_b32 v15, v117, 8, v116
	v_dual_lshlrev_b32 v16, 16, v118 :: v_dual_sub_nc_u32 v115, v115, v52
	v_lshl_or_b32 v30, v40, 8, v103
	v_lshlrev_b32_e32 v102, 24, v42
	v_lshlrev_b32_e32 v103, 24, v10
	;; [unrolled: 1-line block ×3, first 2 shown]
	v_lshl_or_b32 v100, v101, 8, v100
	v_or3_b32 v11, v11, v12, v13
	v_or3_b32 v10, v15, v16, v17
	;; [unrolled: 1-line block ×3, first 2 shown]
	v_add_nc_u64_e32 v[86:87], v[86:87], v[52:53]
	v_or3_b32 v13, v100, v14, v103
	v_add_nc_u64_e32 v[96:97], v[96:97], v[52:53]
	v_cmp_gt_i32_e64 s10, 16, v115
	v_sub_nc_u32_e32 v114, v114, v38
	global_store_b128 v[98:99], v[10:13], off th:TH_STORE_NT
	s_wait_xcnt 0x0
	v_add_nc_u64_e32 v[98:99], v[98:99], v[52:53]
	s_or_b32 s25, s10, s25
	s_delay_alu instid0(SALU_CYCLE_1)
	s_and_not1_b32 exec_lo, exec_lo, s25
	s_cbranch_execz .LBB2_704
.LBB2_129:                              ;   Parent Loop BB2_49 Depth=1
                                        ; =>  This Inner Loop Header: Depth=2
	global_load_b128 v[14:17], v[86:87], off th:TH_LOAD_NT
	global_load_b128 v[10:13], v[96:97], off th:TH_LOAD_NT
	s_wait_loadcnt 0x1
	v_and_b32_e32 v30, 0xff, v14
	s_delay_alu instid0(VALU_DEP_1)
	v_cmp_ne_u16_e64 s10, 0, v30
	v_mov_b32_e32 v30, 0
	s_wait_xcnt 0x0
	s_and_saveexec_b32 s11, s10
	s_cbranch_execz .LBB2_139
; %bb.130:                              ;   in Loop: Header=BB2_129 Depth=2
	v_bfe_i32 v100, v14, 0, 8
	v_bfrev_b32_e32 v30, 1
	s_mov_b32 s26, exec_lo
	s_delay_alu instid0(VALU_DEP_2)
	v_cmpx_ne_u16_e32 0xff80, v100
	s_cbranch_execz .LBB2_138
; %bb.131:                              ;   in Loop: Header=BB2_129 Depth=2
	v_and_b32_e32 v30, 0x7c, v14
	v_and_b32_e32 v48, 3, v14
	s_delay_alu instid0(VALU_DEP_2) | instskip(SKIP_1) | instid1(SALU_CYCLE_1)
	v_cmp_ne_u32_e64 s10, 0x7c, v30
                                        ; implicit-def: $vgpr30
	s_and_saveexec_b32 s27, s10
	s_xor_b32 s27, exec_lo, s27
	s_cbranch_execz .LBB2_135
; %bb.132:                              ;   in Loop: Header=BB2_129 Depth=2
	v_bfe_u32 v30, v14, 2, 5
	s_mov_b32 s28, exec_lo
	s_delay_alu instid0(VALU_DEP_1)
	v_cmpx_eq_u32_e32 0, v30
; %bb.133:                              ;   in Loop: Header=BB2_129 Depth=2
	v_clz_i32_u32_e32 v30, v48
	s_delay_alu instid0(VALU_DEP_1) | instskip(NEXT) | instid1(VALU_DEP_1)
	v_min_u32_e32 v30, 32, v30
	v_subrev_nc_u32_e32 v48, 29, v30
	s_delay_alu instid0(VALU_DEP_1) | instskip(NEXT) | instid1(VALU_DEP_1)
	v_lshlrev_b64_e32 v[100:101], v48, v[14:15]
	v_dual_sub_nc_u32 v30, 30, v30 :: v_dual_bitop2_b32 v48, 3, v100 bitop3:0x40
; %bb.134:                              ;   in Loop: Header=BB2_129 Depth=2
	s_or_b32 exec_lo, exec_lo, s28
	v_lshlrev_b32_e32 v100, 24, v14
	s_delay_alu instid0(VALU_DEP_1) | instskip(NEXT) | instid1(VALU_DEP_1)
	v_and_b32_e32 v100, 0x80000000, v100
	v_lshl_add_u32 v30, v30, 23, v100
                                        ; implicit-def: $vgpr100
	s_delay_alu instid0(VALU_DEP_1) | instskip(NEXT) | instid1(VALU_DEP_1)
	v_lshl_or_b32 v30, v48, 21, v30
                                        ; implicit-def: $vgpr48
	v_add_nc_u32_e32 v30, 0x38000000, v30
.LBB2_135:                              ;   in Loop: Header=BB2_129 Depth=2
	s_and_not1_saveexec_b32 s27, s27
; %bb.136:                              ;   in Loop: Header=BB2_129 Depth=2
	v_cmp_lt_i16_e64 s10, -1, v100
	s_delay_alu instid0(VALU_DEP_1) | instskip(SKIP_1) | instid1(VALU_DEP_1)
	v_cndmask_b32_e64 v30, 0xff800000, v62, s10
	v_cmp_eq_u32_e64 s10, 0, v48
	v_cndmask_b32_e64 v30, 0x7f800001, v30, s10
; %bb.137:                              ;   in Loop: Header=BB2_129 Depth=2
	s_or_b32 exec_lo, exec_lo, s27
.LBB2_138:                              ;   in Loop: Header=BB2_129 Depth=2
	s_delay_alu instid0(SALU_CYCLE_1)
	s_or_b32 exec_lo, exec_lo, s26
.LBB2_139:                              ;   in Loop: Header=BB2_129 Depth=2
	s_delay_alu instid0(SALU_CYCLE_1) | instskip(SKIP_4) | instid1(VALU_DEP_1)
	s_or_b32 exec_lo, exec_lo, s11
	s_wait_loadcnt 0x0
	v_and_b32_e32 v100, 0xff, v10
	s_mov_b32 s26, 0
	s_mov_b32 s11, exec_lo
	v_cmpx_lt_i16_e32 0x7f, v100
	s_xor_b32 s11, exec_lo, s11
	s_cbranch_execz .LBB2_680
; %bb.140:                              ;   in Loop: Header=BB2_129 Depth=2
	s_mov_b32 s26, -1
	s_mov_b32 s27, exec_lo
	v_cmpx_eq_u16_e32 0x80, v100
; %bb.141:                              ;   in Loop: Header=BB2_129 Depth=2
	s_xor_b32 s26, exec_lo, -1
; %bb.142:                              ;   in Loop: Header=BB2_129 Depth=2
	s_or_b32 exec_lo, exec_lo, s27
	s_delay_alu instid0(SALU_CYCLE_1)
	s_and_b32 s26, s26, exec_lo
                                        ; implicit-def: $vgpr100
	s_or_saveexec_b32 s11, s11
	v_bfrev_b32_e32 v48, 1
	s_xor_b32 exec_lo, exec_lo, s11
	s_cbranch_execnz .LBB2_681
.LBB2_143:                              ;   in Loop: Header=BB2_129 Depth=2
	s_or_b32 exec_lo, exec_lo, s11
	s_and_saveexec_b32 s11, s26
	s_cbranch_execz .LBB2_145
.LBB2_144:                              ;   in Loop: Header=BB2_129 Depth=2
	v_and_b32_e32 v48, 3, v10
	v_bfe_u32 v103, v10, 2, 5
	s_delay_alu instid0(VALU_DEP_2) | instskip(NEXT) | instid1(VALU_DEP_2)
	v_clz_i32_u32_e32 v100, v48
	v_cmp_eq_u32_e64 s10, 0, v103
	s_delay_alu instid0(VALU_DEP_2) | instskip(NEXT) | instid1(VALU_DEP_1)
	v_min_u32_e32 v102, 32, v100
	v_subrev_nc_u32_e32 v100, 29, v102
	s_delay_alu instid0(VALU_DEP_1) | instskip(SKIP_2) | instid1(VALU_DEP_2)
	v_lshlrev_b64_e32 v[100:101], v100, v[10:11]
	v_lshlrev_b32_e32 v101, 24, v10
	v_sub_nc_u32_e32 v102, 30, v102
	v_and_b32_e32 v101, 0x80000000, v101
	s_delay_alu instid0(VALU_DEP_2) | instskip(SKIP_1) | instid1(VALU_DEP_2)
	v_dual_cndmask_b32 v102, v103, v102, s10 :: v_dual_bitop2_b32 v100, 3, v100 bitop3:0x40
	v_bfe_i32 v103, v10, 0, 8
	v_cndmask_b32_e64 v100, v48, v100, s10
	s_delay_alu instid0(VALU_DEP_3) | instskip(NEXT) | instid1(VALU_DEP_3)
	v_lshl_add_u32 v101, v102, 23, v101
	v_cmp_lt_i16_e64 s10, -1, v103
	s_delay_alu instid0(VALU_DEP_2) | instskip(NEXT) | instid1(VALU_DEP_2)
	v_lshl_or_b32 v100, v100, 21, v101
	v_cndmask_b32_e64 v102, 0xff800000, v62, s10
	v_and_b32_e32 v101, 0x7c, v10
	v_cmp_eq_u32_e64 s10, 0, v48
	s_delay_alu instid0(VALU_DEP_4) | instskip(NEXT) | instid1(VALU_DEP_2)
	v_add_nc_u32_e32 v100, 0x38000000, v100
	v_cndmask_b32_e64 v48, 0x7f800001, v102, s10
	s_delay_alu instid0(VALU_DEP_4) | instskip(NEXT) | instid1(VALU_DEP_1)
	v_cmp_eq_u32_e64 s10, 0x7c, v101
	v_cndmask_b32_e64 v48, v100, v48, s10
.LBB2_145:                              ;   in Loop: Header=BB2_129 Depth=2
	s_or_b32 exec_lo, exec_lo, s11
	s_delay_alu instid0(VALU_DEP_1) | instskip(SKIP_1) | instid1(VALU_DEP_1)
	v_dual_mul_f32 v100, v30, v48 :: v_dual_mov_b32 v103, v49
                                        ; implicit-def: $vgpr116
	s_mov_b32 s11, exec_lo
	v_and_b32_e32 v102, 0x7f800000, v100
	v_and_b32_e32 v48, 0x7fffff, v100
	v_lshrrev_b32_e32 v30, 24, v100
	s_delay_alu instid0(VALU_DEP_3)
	v_cmpx_ne_u64_e32 0x7f800000, v[102:103]
	s_xor_b32 s26, exec_lo, s11
	s_cbranch_execz .LBB2_159
; %bb.146:                              ;   in Loop: Header=BB2_129 Depth=2
	v_and_b32_e32 v102, 0x7fffffff, v100
	v_mov_b32_e32 v103, v49
	v_and_b32_e32 v30, 0x80, v30
                                        ; implicit-def: $vgpr116
	s_mov_b32 s11, exec_lo
	s_delay_alu instid0(VALU_DEP_2)
	v_cmpx_gt_u64_e32 0x47600001, v[102:103]
	s_xor_b32 s27, exec_lo, s11
	s_cbranch_execz .LBB2_156
; %bb.147:                              ;   in Loop: Header=BB2_129 Depth=2
	v_mov_b32_e32 v116, 0
	s_mov_b32 s28, exec_lo
	v_cmpx_ne_u32_e32 0, v100
	s_cbranch_execz .LBB2_155
; %bb.148:                              ;   in Loop: Header=BB2_129 Depth=2
	v_bfe_u32 v112, v100, 23, 8
	v_or_b32_e32 v102, 0x800000, v48
	s_delay_alu instid0(VALU_DEP_2) | instskip(SKIP_1) | instid1(VALU_DEP_1)
	v_sub_nc_u32_e32 v100, 0x71, v112
	v_cmp_gt_u32_e64 s10, 0x72, v112
	v_cndmask_b32_e64 v100, 0, v100, s10
	v_cmp_eq_u32_e64 s10, 0, v112
	s_delay_alu instid0(VALU_DEP_1) | instskip(NEXT) | instid1(VALU_DEP_1)
	v_cndmask_b32_e64 v113, v100, 0x70, s10
	v_dual_cndmask_b32 v48, v102, v48, s10 :: v_dual_add_nc_u32 v100, 21, v113
	v_add_nc_u32_e32 v103, 20, v113
	s_delay_alu instid0(VALU_DEP_2) | instskip(NEXT) | instid1(VALU_DEP_2)
	v_lshlrev_b64_e64 v[100:101], v100, -1
	v_lshlrev_b64_e64 v[102:103], v103, 1
	s_delay_alu instid0(VALU_DEP_2) | instskip(NEXT) | instid1(VALU_DEP_3)
	v_bfi_b32 v117, v101, 0, 0
	v_bfi_b32 v116, v100, 0, v48
	v_lshrrev_b64 v[100:101], v113, v[48:49]
	s_delay_alu instid0(VALU_DEP_2) | instskip(NEXT) | instid1(VALU_DEP_2)
	v_cmp_eq_u64_e64 s11, v[116:117], v[102:103]
	v_mov_b64_e32 v[102:103], v[100:101]
	s_and_saveexec_b32 s29, s11
; %bb.149:                              ;   in Loop: Header=BB2_129 Depth=2
	v_bfe_u32 v48, v100, 21, 1
	s_delay_alu instid0(VALU_DEP_1) | instskip(NEXT) | instid1(VALU_DEP_1)
	v_add_nc_u64_e32 v[102:103], v[100:101], v[48:49]
	v_add_nc_u64_e32 v[102:103], -1, v[102:103]
; %bb.150:                              ;   in Loop: Header=BB2_129 Depth=2
	s_or_b32 exec_lo, exec_lo, s29
	v_add_nc_u32_e32 v48, 0xffffff81, v112
	v_lshrrev_b32_e32 v101, 23, v100
	s_mov_b32 s11, exec_lo
	s_delay_alu instid0(VALU_DEP_2) | instskip(NEXT) | instid1(VALU_DEP_1)
	v_cndmask_b32_e64 v48, v48, 0xffffff82, s10
	v_add3_u32 v103, v113, v48, v101
	v_and_b32_e32 v48, 0x1fffff, v102
                                        ; implicit-def: $vgpr102
	s_delay_alu instid0(VALU_DEP_1) | instskip(NEXT) | instid1(VALU_DEP_1)
	v_dual_add_nc_u32 v112, 14, v103 :: v_dual_add_nc_u32 v48, v48, v100
                                        ; implicit-def: $vgpr100_vgpr101
	v_cmpx_ne_u32_e32 0, v112
	s_xor_b32 s11, exec_lo, s11
; %bb.151:                              ;   in Loop: Header=BB2_129 Depth=2
	s_delay_alu instid0(VALU_DEP_2) | instskip(SKIP_1) | instid1(VALU_DEP_1)
	v_cmp_lt_u64_e64 s10, 0xffffff, v[48:49]
	v_add_nc_u32_e32 v100, 15, v103
	v_cndmask_b32_e64 v102, v112, v100, s10
	v_cndmask_b32_e64 v100, 0, 1, s10
	s_delay_alu instid0(VALU_DEP_1)
	v_lshrrev_b64 v[100:101], v100, v[48:49]
; %bb.152:                              ;   in Loop: Header=BB2_129 Depth=2
	s_and_not1_saveexec_b32 s10, s11
; %bb.153:                              ;   in Loop: Header=BB2_129 Depth=2
	v_mov_b64_e32 v[100:101], v[48:49]
	v_bfe_u32 v102, v48, 23, 1
; %bb.154:                              ;   in Loop: Header=BB2_129 Depth=2
	s_or_b32 exec_lo, exec_lo, s10
	s_delay_alu instid0(VALU_DEP_2) | instskip(NEXT) | instid1(VALU_DEP_2)
	v_lshrrev_b64 v[100:101], 21, v[100:101]
	v_cmp_gt_i32_e64 s10, 32, v102
	v_min_i32_e32 v48, 31, v102
	v_cmp_eq_u32_e64 s11, 0, v102
	s_delay_alu instid0(VALU_DEP_2) | instskip(SKIP_1) | instid1(VALU_DEP_2)
	v_dual_cndmask_b32 v101, 0, v101, s10 :: v_dual_lshlrev_b32 v48, 2, v48
	v_cndmask_b32_e64 v100, 3, v100, s10
	v_and_b32_e32 v48, 0xfc, v48
	s_delay_alu instid0(VALU_DEP_2) | instskip(NEXT) | instid1(VALU_DEP_2)
	v_cmp_eq_u64_e64 s10, 0, v[100:101]
	v_and_or_b32 v48, v100, 3, v48
	s_and_b32 s10, s11, s10
	s_delay_alu instid0(VALU_DEP_1) | instid1(SALU_CYCLE_1)
	v_cndmask_b32_e64 v48, v48, 0, s10
	s_delay_alu instid0(VALU_DEP_1)
	v_or_b32_e32 v116, v48, v30
.LBB2_155:                              ;   in Loop: Header=BB2_129 Depth=2
	s_or_b32 exec_lo, exec_lo, s28
                                        ; implicit-def: $vgpr30
.LBB2_156:                              ;   in Loop: Header=BB2_129 Depth=2
	s_and_not1_saveexec_b32 s10, s27
; %bb.157:                              ;   in Loop: Header=BB2_129 Depth=2
	v_or_b32_e32 v116, 0x7b, v30
; %bb.158:                              ;   in Loop: Header=BB2_129 Depth=2
	s_or_b32 exec_lo, exec_lo, s10
                                        ; implicit-def: $vgpr100
                                        ; implicit-def: $vgpr30
.LBB2_159:                              ;   in Loop: Header=BB2_129 Depth=2
	s_and_not1_saveexec_b32 s11, s26
	s_cbranch_execz .LBB2_165
; %bb.160:                              ;   in Loop: Header=BB2_129 Depth=2
	v_cmp_ne_u64_e64 s10, 0, v[48:49]
                                        ; implicit-def: $vgpr116
	s_and_saveexec_b32 s26, s10
	s_delay_alu instid0(SALU_CYCLE_1)
	s_xor_b32 s10, exec_lo, s26
; %bb.161:                              ;   in Loop: Header=BB2_129 Depth=2
	v_or_b32_e32 v116, 0x7f, v30
                                        ; implicit-def: $vgpr100
; %bb.162:                              ;   in Loop: Header=BB2_129 Depth=2
	s_and_not1_saveexec_b32 s26, s10
; %bb.163:                              ;   in Loop: Header=BB2_129 Depth=2
	v_cmp_lt_i32_e64 s10, -1, v100
	s_delay_alu instid0(VALU_DEP_1)
	v_cndmask_b32_e64 v116, 0xfc, v63, s10
; %bb.164:                              ;   in Loop: Header=BB2_129 Depth=2
	s_or_b32 exec_lo, exec_lo, s26
.LBB2_165:                              ;   in Loop: Header=BB2_129 Depth=2
	s_delay_alu instid0(SALU_CYCLE_1) | instskip(SKIP_3) | instid1(VALU_DEP_2)
	s_or_b32 exec_lo, exec_lo, s11
	v_lshrrev_b16 v48, 8, v14
	v_mov_b32_e32 v30, 0
	s_mov_b32 s11, exec_lo
	v_cmpx_ne_u16_e32 0, v48
	s_cbranch_execz .LBB2_175
; %bb.166:                              ;   in Loop: Header=BB2_129 Depth=2
	v_bfrev_b32_e32 v30, 1
	s_mov_b32 s26, exec_lo
	v_cmpx_ne_u16_e32 0x80, v48
	s_cbranch_execz .LBB2_174
; %bb.167:                              ;   in Loop: Header=BB2_129 Depth=2
	v_and_b32_e32 v101, 0xffff, v48
	s_delay_alu instid0(VALU_DEP_1) | instskip(SKIP_1) | instid1(VALU_DEP_2)
	v_and_b32_e32 v30, 0x7c, v101
	v_and_b32_e32 v100, 3, v101
	v_cmp_ne_u32_e64 s10, 0x7c, v30
                                        ; implicit-def: $vgpr30
	s_and_saveexec_b32 s27, s10
	s_delay_alu instid0(SALU_CYCLE_1)
	s_xor_b32 s27, exec_lo, s27
	s_cbranch_execz .LBB2_171
; %bb.168:                              ;   in Loop: Header=BB2_129 Depth=2
	v_bfe_u32 v30, v101, 2, 5
	s_mov_b32 s28, exec_lo
	s_delay_alu instid0(VALU_DEP_1)
	v_cmpx_eq_u32_e32 0, v30
; %bb.169:                              ;   in Loop: Header=BB2_129 Depth=2
	v_clz_i32_u32_e32 v30, v100
	s_delay_alu instid0(VALU_DEP_1) | instskip(NEXT) | instid1(VALU_DEP_1)
	v_min_u32_e32 v30, 32, v30
	v_subrev_nc_u32_e32 v100, 29, v30
	s_delay_alu instid0(VALU_DEP_1) | instskip(NEXT) | instid1(VALU_DEP_1)
	v_lshlrev_b64_e32 v[100:101], v100, v[48:49]
	v_dual_sub_nc_u32 v30, 30, v30 :: v_dual_bitop2_b32 v100, 3, v100 bitop3:0x40
; %bb.170:                              ;   in Loop: Header=BB2_129 Depth=2
	s_or_b32 exec_lo, exec_lo, s28
	v_lshlrev_b32_e32 v48, 16, v14
	s_delay_alu instid0(VALU_DEP_1) | instskip(NEXT) | instid1(VALU_DEP_1)
	v_and_b32_e32 v48, 0x80000000, v48
	v_lshl_add_u32 v30, v30, 23, v48
	s_delay_alu instid0(VALU_DEP_1) | instskip(NEXT) | instid1(VALU_DEP_1)
	v_lshl_or_b32 v30, v100, 21, v30
                                        ; implicit-def: $vgpr100
	v_add_nc_u32_e32 v30, 0x38000000, v30
.LBB2_171:                              ;   in Loop: Header=BB2_129 Depth=2
	s_and_not1_saveexec_b32 s27, s27
; %bb.172:                              ;   in Loop: Header=BB2_129 Depth=2
	v_cmp_lt_i16_e64 s10, -1, v14
	s_delay_alu instid0(VALU_DEP_1) | instskip(SKIP_1) | instid1(VALU_DEP_1)
	v_cndmask_b32_e64 v30, 0xff800000, v62, s10
	v_cmp_eq_u32_e64 s10, 0, v100
	v_cndmask_b32_e64 v30, 0x7f800001, v30, s10
; %bb.173:                              ;   in Loop: Header=BB2_129 Depth=2
	s_or_b32 exec_lo, exec_lo, s27
.LBB2_174:                              ;   in Loop: Header=BB2_129 Depth=2
	s_delay_alu instid0(SALU_CYCLE_1)
	s_or_b32 exec_lo, exec_lo, s26
.LBB2_175:                              ;   in Loop: Header=BB2_129 Depth=2
	s_delay_alu instid0(SALU_CYCLE_1) | instskip(SKIP_3) | instid1(VALU_DEP_1)
	s_or_b32 exec_lo, exec_lo, s11
	v_lshrrev_b16 v48, 8, v10
	s_mov_b32 s26, 0
	s_mov_b32 s11, exec_lo
	v_cmpx_lt_i16_e32 0x7f, v48
	s_xor_b32 s11, exec_lo, s11
	s_cbranch_execz .LBB2_682
; %bb.176:                              ;   in Loop: Header=BB2_129 Depth=2
	s_mov_b32 s26, -1
	s_mov_b32 s27, exec_lo
	v_cmpx_eq_u16_e32 0x80, v48
; %bb.177:                              ;   in Loop: Header=BB2_129 Depth=2
	s_xor_b32 s26, exec_lo, -1
; %bb.178:                              ;   in Loop: Header=BB2_129 Depth=2
	s_or_b32 exec_lo, exec_lo, s27
	s_delay_alu instid0(SALU_CYCLE_1)
	s_and_b32 s26, s26, exec_lo
	s_or_saveexec_b32 s11, s11
	v_bfrev_b32_e32 v100, 1
	s_xor_b32 exec_lo, exec_lo, s11
	s_cbranch_execnz .LBB2_683
.LBB2_179:                              ;   in Loop: Header=BB2_129 Depth=2
	s_or_b32 exec_lo, exec_lo, s11
	s_and_saveexec_b32 s11, s26
	s_cbranch_execz .LBB2_181
.LBB2_180:                              ;   in Loop: Header=BB2_129 Depth=2
	v_and_b32_e32 v102, 0xffff, v48
	s_delay_alu instid0(VALU_DEP_1) | instskip(NEXT) | instid1(VALU_DEP_1)
	v_and_b32_e32 v103, 3, v102
	v_clz_i32_u32_e32 v100, v103
	s_delay_alu instid0(VALU_DEP_1) | instskip(NEXT) | instid1(VALU_DEP_1)
	v_min_u32_e32 v112, 32, v100
	v_subrev_nc_u32_e32 v100, 29, v112
	v_sub_nc_u32_e32 v112, 30, v112
	s_delay_alu instid0(VALU_DEP_2) | instskip(SKIP_2) | instid1(VALU_DEP_2)
	v_lshlrev_b64_e32 v[100:101], v100, v[48:49]
	v_bfe_u32 v101, v102, 2, 5
	v_lshlrev_b32_e32 v48, 24, v48
	v_cmp_eq_u32_e64 s10, 0, v101
	s_delay_alu instid0(VALU_DEP_2) | instskip(SKIP_1) | instid1(VALU_DEP_3)
	v_and_b32_e32 v48, 0x80000000, v48
	v_and_b32_e32 v100, 3, v100
	v_cndmask_b32_e64 v101, v101, v112, s10
	s_delay_alu instid0(VALU_DEP_2) | instskip(SKIP_1) | instid1(VALU_DEP_3)
	v_cndmask_b32_e64 v100, v103, v100, s10
	v_cmp_lt_i16_e64 s10, -1, v10
	v_lshl_add_u32 v48, v101, 23, v48
	s_delay_alu instid0(VALU_DEP_2) | instskip(SKIP_1) | instid1(VALU_DEP_3)
	v_cndmask_b32_e64 v101, 0xff800000, v62, s10
	v_cmp_eq_u32_e64 s10, 0, v103
	v_lshl_or_b32 v48, v100, 21, v48
	v_and_b32_e32 v100, 0x7c, v102
	s_delay_alu instid0(VALU_DEP_3) | instskip(NEXT) | instid1(VALU_DEP_3)
	v_cndmask_b32_e64 v101, 0x7f800001, v101, s10
	v_add_nc_u32_e32 v48, 0x38000000, v48
	s_delay_alu instid0(VALU_DEP_3) | instskip(NEXT) | instid1(VALU_DEP_1)
	v_cmp_eq_u32_e64 s10, 0x7c, v100
	v_cndmask_b32_e64 v100, v48, v101, s10
.LBB2_181:                              ;   in Loop: Header=BB2_129 Depth=2
	s_or_b32 exec_lo, exec_lo, s11
	s_delay_alu instid0(VALU_DEP_1) | instskip(SKIP_1) | instid1(VALU_DEP_1)
	v_dual_mul_f32 v100, v30, v100 :: v_dual_mov_b32 v103, v49
                                        ; implicit-def: $vgpr117
	s_mov_b32 s11, exec_lo
	v_and_b32_e32 v102, 0x7f800000, v100
	v_and_b32_e32 v48, 0x7fffff, v100
	v_lshrrev_b32_e32 v30, 24, v100
	s_delay_alu instid0(VALU_DEP_3)
	v_cmpx_ne_u64_e32 0x7f800000, v[102:103]
	s_xor_b32 s26, exec_lo, s11
	s_cbranch_execz .LBB2_195
; %bb.182:                              ;   in Loop: Header=BB2_129 Depth=2
	v_and_b32_e32 v102, 0x7fffffff, v100
	v_mov_b32_e32 v103, v49
	v_and_b32_e32 v30, 0x80, v30
                                        ; implicit-def: $vgpr117
	s_mov_b32 s11, exec_lo
	s_delay_alu instid0(VALU_DEP_2)
	v_cmpx_gt_u64_e32 0x47600001, v[102:103]
	s_xor_b32 s27, exec_lo, s11
	s_cbranch_execz .LBB2_192
; %bb.183:                              ;   in Loop: Header=BB2_129 Depth=2
	v_mov_b32_e32 v117, 0
	s_mov_b32 s28, exec_lo
	v_cmpx_ne_u32_e32 0, v100
	s_cbranch_execz .LBB2_191
; %bb.184:                              ;   in Loop: Header=BB2_129 Depth=2
	v_bfe_u32 v112, v100, 23, 8
	v_or_b32_e32 v102, 0x800000, v48
	s_delay_alu instid0(VALU_DEP_2) | instskip(SKIP_1) | instid1(VALU_DEP_1)
	v_sub_nc_u32_e32 v100, 0x71, v112
	v_cmp_gt_u32_e64 s10, 0x72, v112
	v_cndmask_b32_e64 v100, 0, v100, s10
	v_cmp_eq_u32_e64 s10, 0, v112
	s_delay_alu instid0(VALU_DEP_1) | instskip(NEXT) | instid1(VALU_DEP_1)
	v_cndmask_b32_e64 v113, v100, 0x70, s10
	v_dual_cndmask_b32 v48, v102, v48, s10 :: v_dual_add_nc_u32 v100, 21, v113
	v_add_nc_u32_e32 v103, 20, v113
	s_delay_alu instid0(VALU_DEP_2) | instskip(NEXT) | instid1(VALU_DEP_2)
	v_lshlrev_b64_e64 v[100:101], v100, -1
	v_lshlrev_b64_e64 v[102:103], v103, 1
	s_delay_alu instid0(VALU_DEP_2) | instskip(NEXT) | instid1(VALU_DEP_3)
	v_bfi_b32 v119, v101, 0, 0
	v_bfi_b32 v118, v100, 0, v48
	v_lshrrev_b64 v[100:101], v113, v[48:49]
	s_delay_alu instid0(VALU_DEP_2) | instskip(NEXT) | instid1(VALU_DEP_2)
	v_cmp_eq_u64_e64 s11, v[118:119], v[102:103]
	v_mov_b64_e32 v[102:103], v[100:101]
	s_and_saveexec_b32 s29, s11
; %bb.185:                              ;   in Loop: Header=BB2_129 Depth=2
	v_bfe_u32 v48, v100, 21, 1
	s_delay_alu instid0(VALU_DEP_1) | instskip(NEXT) | instid1(VALU_DEP_1)
	v_add_nc_u64_e32 v[102:103], v[100:101], v[48:49]
	v_add_nc_u64_e32 v[102:103], -1, v[102:103]
; %bb.186:                              ;   in Loop: Header=BB2_129 Depth=2
	s_or_b32 exec_lo, exec_lo, s29
	v_add_nc_u32_e32 v48, 0xffffff81, v112
	v_lshrrev_b32_e32 v101, 23, v100
	s_mov_b32 s11, exec_lo
	s_delay_alu instid0(VALU_DEP_2) | instskip(NEXT) | instid1(VALU_DEP_1)
	v_cndmask_b32_e64 v48, v48, 0xffffff82, s10
	v_add3_u32 v103, v113, v48, v101
	v_and_b32_e32 v48, 0x1fffff, v102
                                        ; implicit-def: $vgpr102
	s_delay_alu instid0(VALU_DEP_1) | instskip(NEXT) | instid1(VALU_DEP_1)
	v_dual_add_nc_u32 v112, 14, v103 :: v_dual_add_nc_u32 v48, v48, v100
                                        ; implicit-def: $vgpr100_vgpr101
	v_cmpx_ne_u32_e32 0, v112
	s_xor_b32 s11, exec_lo, s11
; %bb.187:                              ;   in Loop: Header=BB2_129 Depth=2
	s_delay_alu instid0(VALU_DEP_2) | instskip(SKIP_1) | instid1(VALU_DEP_1)
	v_cmp_lt_u64_e64 s10, 0xffffff, v[48:49]
	v_add_nc_u32_e32 v100, 15, v103
	v_cndmask_b32_e64 v102, v112, v100, s10
	v_cndmask_b32_e64 v100, 0, 1, s10
	s_delay_alu instid0(VALU_DEP_1)
	v_lshrrev_b64 v[100:101], v100, v[48:49]
; %bb.188:                              ;   in Loop: Header=BB2_129 Depth=2
	s_and_not1_saveexec_b32 s10, s11
; %bb.189:                              ;   in Loop: Header=BB2_129 Depth=2
	v_mov_b64_e32 v[100:101], v[48:49]
	v_bfe_u32 v102, v48, 23, 1
; %bb.190:                              ;   in Loop: Header=BB2_129 Depth=2
	s_or_b32 exec_lo, exec_lo, s10
	s_delay_alu instid0(VALU_DEP_2) | instskip(NEXT) | instid1(VALU_DEP_2)
	v_lshrrev_b64 v[100:101], 21, v[100:101]
	v_cmp_gt_i32_e64 s10, 32, v102
	v_min_i32_e32 v48, 31, v102
	v_cmp_eq_u32_e64 s11, 0, v102
	s_delay_alu instid0(VALU_DEP_2) | instskip(SKIP_1) | instid1(VALU_DEP_2)
	v_dual_cndmask_b32 v101, 0, v101, s10 :: v_dual_lshlrev_b32 v48, 2, v48
	v_cndmask_b32_e64 v100, 3, v100, s10
	v_and_b32_e32 v48, 0xfc, v48
	s_delay_alu instid0(VALU_DEP_2) | instskip(NEXT) | instid1(VALU_DEP_2)
	v_cmp_eq_u64_e64 s10, 0, v[100:101]
	v_and_or_b32 v48, v100, 3, v48
	s_and_b32 s10, s11, s10
	s_delay_alu instid0(VALU_DEP_1) | instid1(SALU_CYCLE_1)
	v_cndmask_b32_e64 v48, v48, 0, s10
	s_delay_alu instid0(VALU_DEP_1)
	v_or_b32_e32 v117, v48, v30
.LBB2_191:                              ;   in Loop: Header=BB2_129 Depth=2
	s_or_b32 exec_lo, exec_lo, s28
                                        ; implicit-def: $vgpr30
.LBB2_192:                              ;   in Loop: Header=BB2_129 Depth=2
	s_and_not1_saveexec_b32 s10, s27
; %bb.193:                              ;   in Loop: Header=BB2_129 Depth=2
	v_or_b32_e32 v117, 0x7b, v30
; %bb.194:                              ;   in Loop: Header=BB2_129 Depth=2
	s_or_b32 exec_lo, exec_lo, s10
                                        ; implicit-def: $vgpr100
                                        ; implicit-def: $vgpr30
.LBB2_195:                              ;   in Loop: Header=BB2_129 Depth=2
	s_and_not1_saveexec_b32 s11, s26
	s_cbranch_execz .LBB2_201
; %bb.196:                              ;   in Loop: Header=BB2_129 Depth=2
	v_cmp_ne_u64_e64 s10, 0, v[48:49]
                                        ; implicit-def: $vgpr117
	s_and_saveexec_b32 s26, s10
	s_delay_alu instid0(SALU_CYCLE_1)
	s_xor_b32 s10, exec_lo, s26
; %bb.197:                              ;   in Loop: Header=BB2_129 Depth=2
	v_or_b32_e32 v117, 0x7f, v30
                                        ; implicit-def: $vgpr100
; %bb.198:                              ;   in Loop: Header=BB2_129 Depth=2
	s_and_not1_saveexec_b32 s26, s10
; %bb.199:                              ;   in Loop: Header=BB2_129 Depth=2
	v_cmp_lt_i32_e64 s10, -1, v100
	s_delay_alu instid0(VALU_DEP_1)
	v_cndmask_b32_e64 v117, 0xfc, v63, s10
; %bb.200:                              ;   in Loop: Header=BB2_129 Depth=2
	s_or_b32 exec_lo, exec_lo, s26
.LBB2_201:                              ;   in Loop: Header=BB2_129 Depth=2
	s_delay_alu instid0(SALU_CYCLE_1) | instskip(SKIP_2) | instid1(VALU_DEP_1)
	s_or_b32 exec_lo, exec_lo, s11
	v_dual_lshrrev_b32 v30, 16, v14 :: v_dual_mov_b32 v48, 0
	s_mov_b32 s11, exec_lo
	v_and_b32_e32 v100, 0xff, v30
	s_delay_alu instid0(VALU_DEP_1)
	v_cmpx_ne_u16_e32 0, v100
	s_cbranch_execz .LBB2_211
; %bb.202:                              ;   in Loop: Header=BB2_129 Depth=2
	v_bfrev_b32_e32 v48, 1
	s_mov_b32 s26, exec_lo
	v_cmpx_ne_u16_e32 0x80, v100
	s_cbranch_execz .LBB2_210
; %bb.203:                              ;   in Loop: Header=BB2_129 Depth=2
	v_and_b32_e32 v48, 0x7c0000, v14
	v_bfe_u32 v100, v14, 16, 2
	s_delay_alu instid0(VALU_DEP_2) | instskip(SKIP_1) | instid1(SALU_CYCLE_1)
	v_cmp_ne_u32_e64 s10, 0x7c0000, v48
                                        ; implicit-def: $vgpr48
	s_and_saveexec_b32 s27, s10
	s_xor_b32 s27, exec_lo, s27
	s_cbranch_execz .LBB2_207
; %bb.204:                              ;   in Loop: Header=BB2_129 Depth=2
	v_bfe_u32 v48, v14, 18, 5
	s_mov_b32 s28, exec_lo
	s_delay_alu instid0(VALU_DEP_1)
	v_cmpx_eq_u32_e32 0, v48
; %bb.205:                              ;   in Loop: Header=BB2_129 Depth=2
	v_clz_i32_u32_e32 v48, v100
	s_delay_alu instid0(VALU_DEP_1) | instskip(NEXT) | instid1(VALU_DEP_1)
	v_min_u32_e32 v48, 32, v48
	v_subrev_nc_u32_e32 v100, 29, v48
	v_sub_nc_u32_e32 v48, 30, v48
	s_delay_alu instid0(VALU_DEP_2) | instskip(NEXT) | instid1(VALU_DEP_1)
	v_lshlrev_b64_e32 v[100:101], v100, v[30:31]
	v_and_b32_e32 v100, 3, v100
; %bb.206:                              ;   in Loop: Header=BB2_129 Depth=2
	s_or_b32 exec_lo, exec_lo, s28
	v_lshlrev_b32_e32 v30, 24, v30
	s_delay_alu instid0(VALU_DEP_1) | instskip(NEXT) | instid1(VALU_DEP_1)
	v_and_b32_e32 v30, 0x80000000, v30
	v_lshl_add_u32 v30, v48, 23, v30
	s_delay_alu instid0(VALU_DEP_1) | instskip(NEXT) | instid1(VALU_DEP_1)
	v_lshl_or_b32 v30, v100, 21, v30
                                        ; implicit-def: $vgpr100
	v_add_nc_u32_e32 v48, 0x38000000, v30
                                        ; implicit-def: $vgpr30
.LBB2_207:                              ;   in Loop: Header=BB2_129 Depth=2
	s_and_not1_saveexec_b32 s27, s27
; %bb.208:                              ;   in Loop: Header=BB2_129 Depth=2
	v_bfe_i32 v30, v30, 0, 8
	s_delay_alu instid0(VALU_DEP_1) | instskip(NEXT) | instid1(VALU_DEP_1)
	v_cmp_lt_i16_e64 s10, -1, v30
	v_cndmask_b32_e64 v30, 0xff800000, v62, s10
	v_cmp_eq_u32_e64 s10, 0, v100
	s_delay_alu instid0(VALU_DEP_1)
	v_cndmask_b32_e64 v48, 0x7f800001, v30, s10
; %bb.209:                              ;   in Loop: Header=BB2_129 Depth=2
	s_or_b32 exec_lo, exec_lo, s27
.LBB2_210:                              ;   in Loop: Header=BB2_129 Depth=2
	s_delay_alu instid0(SALU_CYCLE_1)
	s_or_b32 exec_lo, exec_lo, s26
.LBB2_211:                              ;   in Loop: Header=BB2_129 Depth=2
	s_delay_alu instid0(SALU_CYCLE_1) | instskip(SKIP_3) | instid1(VALU_DEP_1)
	s_or_b32 exec_lo, exec_lo, s11
	v_lshrrev_b32_e32 v30, 16, v10
	s_mov_b32 s26, 0
	s_mov_b32 s11, exec_lo
	v_and_b32_e32 v101, 0xff, v30
	s_delay_alu instid0(VALU_DEP_1)
	v_cmpx_lt_i16_e32 0x7f, v101
	s_xor_b32 s11, exec_lo, s11
	s_cbranch_execz .LBB2_684
; %bb.212:                              ;   in Loop: Header=BB2_129 Depth=2
	s_mov_b32 s26, -1
	s_mov_b32 s27, exec_lo
	v_cmpx_eq_u16_e32 0x80, v101
; %bb.213:                              ;   in Loop: Header=BB2_129 Depth=2
	s_xor_b32 s26, exec_lo, -1
; %bb.214:                              ;   in Loop: Header=BB2_129 Depth=2
	s_or_b32 exec_lo, exec_lo, s27
	s_delay_alu instid0(SALU_CYCLE_1)
	s_and_b32 s26, s26, exec_lo
                                        ; implicit-def: $vgpr101
	s_or_saveexec_b32 s11, s11
	v_bfrev_b32_e32 v100, 1
	s_xor_b32 exec_lo, exec_lo, s11
	s_cbranch_execnz .LBB2_685
.LBB2_215:                              ;   in Loop: Header=BB2_129 Depth=2
	s_or_b32 exec_lo, exec_lo, s11
	s_and_saveexec_b32 s11, s26
	s_cbranch_execz .LBB2_217
.LBB2_216:                              ;   in Loop: Header=BB2_129 Depth=2
	v_and_b32_e32 v102, 3, v30
	v_bfe_u32 v112, v10, 18, 5
	s_delay_alu instid0(VALU_DEP_2) | instskip(NEXT) | instid1(VALU_DEP_2)
	v_clz_i32_u32_e32 v100, v102
	v_cmp_eq_u32_e64 s10, 0, v112
	s_delay_alu instid0(VALU_DEP_2) | instskip(NEXT) | instid1(VALU_DEP_1)
	v_min_u32_e32 v103, 32, v100
	v_subrev_nc_u32_e32 v100, 29, v103
	s_delay_alu instid0(VALU_DEP_1) | instskip(SKIP_2) | instid1(VALU_DEP_2)
	v_lshlrev_b64_e32 v[100:101], v100, v[30:31]
	v_dual_lshlrev_b32 v101, 24, v30 :: v_dual_sub_nc_u32 v103, 30, v103
	v_bfe_i32 v30, v30, 0, 8
	v_and_b32_e32 v101, 0x80000000, v101
	s_delay_alu instid0(VALU_DEP_3) | instskip(NEXT) | instid1(VALU_DEP_1)
	v_dual_cndmask_b32 v103, v112, v103, s10 :: v_dual_bitop2_b32 v100, 3, v100 bitop3:0x40
	v_cndmask_b32_e64 v100, v102, v100, s10
	s_delay_alu instid0(VALU_DEP_2) | instskip(SKIP_1) | instid1(VALU_DEP_2)
	v_lshl_add_u32 v101, v103, 23, v101
	v_cmp_lt_i16_e64 s10, -1, v30
	v_lshl_or_b32 v100, v100, 21, v101
	s_delay_alu instid0(VALU_DEP_2) | instskip(SKIP_2) | instid1(VALU_DEP_4)
	v_cndmask_b32_e64 v30, 0xff800000, v62, s10
	v_and_b32_e32 v101, 0x7c0000, v10
	v_cmp_eq_u32_e64 s10, 0, v102
	v_add_nc_u32_e32 v100, 0x38000000, v100
	s_delay_alu instid0(VALU_DEP_2) | instskip(NEXT) | instid1(VALU_DEP_4)
	v_cndmask_b32_e64 v30, 0x7f800001, v30, s10
	v_cmp_eq_u32_e64 s10, 0x7c0000, v101
	s_delay_alu instid0(VALU_DEP_1)
	v_cndmask_b32_e64 v100, v100, v30, s10
.LBB2_217:                              ;   in Loop: Header=BB2_129 Depth=2
	s_or_b32 exec_lo, exec_lo, s11
	s_delay_alu instid0(VALU_DEP_1) | instskip(SKIP_1) | instid1(VALU_DEP_1)
	v_dual_mul_f32 v100, v48, v100 :: v_dual_mov_b32 v103, v49
                                        ; implicit-def: $vgpr118
	s_mov_b32 s11, exec_lo
	v_and_b32_e32 v102, 0x7f800000, v100
	v_and_b32_e32 v48, 0x7fffff, v100
	v_lshrrev_b32_e32 v30, 24, v100
	s_delay_alu instid0(VALU_DEP_3)
	v_cmpx_ne_u64_e32 0x7f800000, v[102:103]
	s_xor_b32 s26, exec_lo, s11
	s_cbranch_execz .LBB2_231
; %bb.218:                              ;   in Loop: Header=BB2_129 Depth=2
	v_and_b32_e32 v102, 0x7fffffff, v100
	v_mov_b32_e32 v103, v49
	v_and_b32_e32 v30, 0x80, v30
                                        ; implicit-def: $vgpr118
	s_mov_b32 s11, exec_lo
	s_delay_alu instid0(VALU_DEP_2)
	v_cmpx_gt_u64_e32 0x47600001, v[102:103]
	s_xor_b32 s27, exec_lo, s11
	s_cbranch_execz .LBB2_228
; %bb.219:                              ;   in Loop: Header=BB2_129 Depth=2
	v_mov_b32_e32 v118, 0
	s_mov_b32 s28, exec_lo
	v_cmpx_ne_u32_e32 0, v100
	s_cbranch_execz .LBB2_227
; %bb.220:                              ;   in Loop: Header=BB2_129 Depth=2
	v_bfe_u32 v112, v100, 23, 8
	v_or_b32_e32 v102, 0x800000, v48
	s_delay_alu instid0(VALU_DEP_2) | instskip(SKIP_1) | instid1(VALU_DEP_1)
	v_sub_nc_u32_e32 v100, 0x71, v112
	v_cmp_gt_u32_e64 s10, 0x72, v112
	v_cndmask_b32_e64 v100, 0, v100, s10
	v_cmp_eq_u32_e64 s10, 0, v112
	s_delay_alu instid0(VALU_DEP_1) | instskip(NEXT) | instid1(VALU_DEP_1)
	v_cndmask_b32_e64 v113, v100, 0x70, s10
	v_dual_cndmask_b32 v48, v102, v48, s10 :: v_dual_add_nc_u32 v100, 21, v113
	v_add_nc_u32_e32 v103, 20, v113
	s_delay_alu instid0(VALU_DEP_2) | instskip(NEXT) | instid1(VALU_DEP_2)
	v_lshlrev_b64_e64 v[100:101], v100, -1
	v_lshlrev_b64_e64 v[102:103], v103, 1
	s_delay_alu instid0(VALU_DEP_2) | instskip(NEXT) | instid1(VALU_DEP_3)
	v_bfi_b32 v119, v101, 0, 0
	v_bfi_b32 v118, v100, 0, v48
	v_lshrrev_b64 v[100:101], v113, v[48:49]
	s_delay_alu instid0(VALU_DEP_2) | instskip(NEXT) | instid1(VALU_DEP_2)
	v_cmp_eq_u64_e64 s11, v[118:119], v[102:103]
	v_mov_b64_e32 v[102:103], v[100:101]
	s_and_saveexec_b32 s29, s11
; %bb.221:                              ;   in Loop: Header=BB2_129 Depth=2
	v_bfe_u32 v48, v100, 21, 1
	s_delay_alu instid0(VALU_DEP_1) | instskip(NEXT) | instid1(VALU_DEP_1)
	v_add_nc_u64_e32 v[102:103], v[100:101], v[48:49]
	v_add_nc_u64_e32 v[102:103], -1, v[102:103]
; %bb.222:                              ;   in Loop: Header=BB2_129 Depth=2
	s_or_b32 exec_lo, exec_lo, s29
	v_add_nc_u32_e32 v48, 0xffffff81, v112
	v_lshrrev_b32_e32 v101, 23, v100
	s_mov_b32 s11, exec_lo
	s_delay_alu instid0(VALU_DEP_2) | instskip(NEXT) | instid1(VALU_DEP_1)
	v_cndmask_b32_e64 v48, v48, 0xffffff82, s10
	v_add3_u32 v103, v113, v48, v101
	v_and_b32_e32 v48, 0x1fffff, v102
                                        ; implicit-def: $vgpr102
	s_delay_alu instid0(VALU_DEP_1) | instskip(NEXT) | instid1(VALU_DEP_1)
	v_dual_add_nc_u32 v112, 14, v103 :: v_dual_add_nc_u32 v48, v48, v100
                                        ; implicit-def: $vgpr100_vgpr101
	v_cmpx_ne_u32_e32 0, v112
	s_xor_b32 s11, exec_lo, s11
; %bb.223:                              ;   in Loop: Header=BB2_129 Depth=2
	s_delay_alu instid0(VALU_DEP_2) | instskip(SKIP_1) | instid1(VALU_DEP_1)
	v_cmp_lt_u64_e64 s10, 0xffffff, v[48:49]
	v_add_nc_u32_e32 v100, 15, v103
	v_cndmask_b32_e64 v102, v112, v100, s10
	v_cndmask_b32_e64 v100, 0, 1, s10
	s_delay_alu instid0(VALU_DEP_1)
	v_lshrrev_b64 v[100:101], v100, v[48:49]
; %bb.224:                              ;   in Loop: Header=BB2_129 Depth=2
	s_and_not1_saveexec_b32 s10, s11
; %bb.225:                              ;   in Loop: Header=BB2_129 Depth=2
	v_mov_b64_e32 v[100:101], v[48:49]
	v_bfe_u32 v102, v48, 23, 1
; %bb.226:                              ;   in Loop: Header=BB2_129 Depth=2
	s_or_b32 exec_lo, exec_lo, s10
	s_delay_alu instid0(VALU_DEP_2) | instskip(NEXT) | instid1(VALU_DEP_2)
	v_lshrrev_b64 v[100:101], 21, v[100:101]
	v_cmp_gt_i32_e64 s10, 32, v102
	v_min_i32_e32 v48, 31, v102
	v_cmp_eq_u32_e64 s11, 0, v102
	s_delay_alu instid0(VALU_DEP_2) | instskip(SKIP_1) | instid1(VALU_DEP_2)
	v_dual_cndmask_b32 v101, 0, v101, s10 :: v_dual_lshlrev_b32 v48, 2, v48
	v_cndmask_b32_e64 v100, 3, v100, s10
	v_and_b32_e32 v48, 0xfc, v48
	s_delay_alu instid0(VALU_DEP_2) | instskip(NEXT) | instid1(VALU_DEP_2)
	v_cmp_eq_u64_e64 s10, 0, v[100:101]
	v_and_or_b32 v48, v100, 3, v48
	s_and_b32 s10, s11, s10
	s_delay_alu instid0(VALU_DEP_1) | instid1(SALU_CYCLE_1)
	v_cndmask_b32_e64 v48, v48, 0, s10
	s_delay_alu instid0(VALU_DEP_1)
	v_or_b32_e32 v118, v48, v30
.LBB2_227:                              ;   in Loop: Header=BB2_129 Depth=2
	s_or_b32 exec_lo, exec_lo, s28
                                        ; implicit-def: $vgpr30
.LBB2_228:                              ;   in Loop: Header=BB2_129 Depth=2
	s_and_not1_saveexec_b32 s10, s27
; %bb.229:                              ;   in Loop: Header=BB2_129 Depth=2
	v_or_b32_e32 v118, 0x7b, v30
; %bb.230:                              ;   in Loop: Header=BB2_129 Depth=2
	s_or_b32 exec_lo, exec_lo, s10
                                        ; implicit-def: $vgpr100
                                        ; implicit-def: $vgpr30
.LBB2_231:                              ;   in Loop: Header=BB2_129 Depth=2
	s_and_not1_saveexec_b32 s11, s26
	s_cbranch_execz .LBB2_237
; %bb.232:                              ;   in Loop: Header=BB2_129 Depth=2
	v_cmp_ne_u64_e64 s10, 0, v[48:49]
                                        ; implicit-def: $vgpr118
	s_and_saveexec_b32 s26, s10
	s_delay_alu instid0(SALU_CYCLE_1)
	s_xor_b32 s10, exec_lo, s26
; %bb.233:                              ;   in Loop: Header=BB2_129 Depth=2
	v_or_b32_e32 v118, 0x7f, v30
                                        ; implicit-def: $vgpr100
; %bb.234:                              ;   in Loop: Header=BB2_129 Depth=2
	s_and_not1_saveexec_b32 s26, s10
; %bb.235:                              ;   in Loop: Header=BB2_129 Depth=2
	v_cmp_lt_i32_e64 s10, -1, v100
	s_delay_alu instid0(VALU_DEP_1)
	v_cndmask_b32_e64 v118, 0xfc, v63, s10
; %bb.236:                              ;   in Loop: Header=BB2_129 Depth=2
	s_or_b32 exec_lo, exec_lo, s26
.LBB2_237:                              ;   in Loop: Header=BB2_129 Depth=2
	s_delay_alu instid0(SALU_CYCLE_1)
	s_or_b32 exec_lo, exec_lo, s11
	v_mov_b32_e32 v48, 0
	s_mov_b32 s11, exec_lo
	v_cmpx_lt_u32_e32 0xffffff, v14
	s_cbranch_execz .LBB2_247
; %bb.238:                              ;   in Loop: Header=BB2_129 Depth=2
	v_lshrrev_b32_e32 v30, 24, v14
	v_bfrev_b32_e32 v48, 1
	s_mov_b32 s26, exec_lo
	s_delay_alu instid0(VALU_DEP_2)
	v_cmpx_ne_u32_e32 0x80, v30
	s_cbranch_execz .LBB2_246
; %bb.239:                              ;   in Loop: Header=BB2_129 Depth=2
	v_and_b32_e32 v48, 0x7c000000, v14
	v_bfe_u32 v100, v14, 24, 2
	s_delay_alu instid0(VALU_DEP_2) | instskip(SKIP_1) | instid1(SALU_CYCLE_1)
	v_cmp_ne_u32_e64 s10, 0x7c000000, v48
                                        ; implicit-def: $vgpr48
	s_and_saveexec_b32 s27, s10
	s_xor_b32 s27, exec_lo, s27
	s_cbranch_execz .LBB2_243
; %bb.240:                              ;   in Loop: Header=BB2_129 Depth=2
	v_bfe_u32 v48, v14, 26, 5
	s_mov_b32 s28, exec_lo
	s_delay_alu instid0(VALU_DEP_1)
	v_cmpx_eq_u32_e32 0, v48
; %bb.241:                              ;   in Loop: Header=BB2_129 Depth=2
	v_clz_i32_u32_e32 v48, v100
	s_delay_alu instid0(VALU_DEP_1) | instskip(NEXT) | instid1(VALU_DEP_1)
	v_min_u32_e32 v48, 32, v48
	v_subrev_nc_u32_e32 v100, 29, v48
	v_sub_nc_u32_e32 v48, 30, v48
	s_delay_alu instid0(VALU_DEP_2) | instskip(NEXT) | instid1(VALU_DEP_1)
	v_lshlrev_b64_e32 v[100:101], v100, v[30:31]
	v_and_b32_e32 v100, 3, v100
; %bb.242:                              ;   in Loop: Header=BB2_129 Depth=2
	s_or_b32 exec_lo, exec_lo, s28
	v_and_b32_e32 v30, 0x80000000, v14
	s_delay_alu instid0(VALU_DEP_1) | instskip(NEXT) | instid1(VALU_DEP_1)
	v_lshl_add_u32 v30, v48, 23, v30
	v_lshl_or_b32 v30, v100, 21, v30
                                        ; implicit-def: $vgpr100
	s_delay_alu instid0(VALU_DEP_1)
	v_add_nc_u32_e32 v48, 0x38000000, v30
.LBB2_243:                              ;   in Loop: Header=BB2_129 Depth=2
	s_and_not1_saveexec_b32 s27, s27
; %bb.244:                              ;   in Loop: Header=BB2_129 Depth=2
	v_cmp_lt_i32_e64 s10, -1, v14
	s_delay_alu instid0(VALU_DEP_1) | instskip(SKIP_1) | instid1(VALU_DEP_1)
	v_cndmask_b32_e64 v30, 0xff800000, v62, s10
	v_cmp_eq_u32_e64 s10, 0, v100
	v_cndmask_b32_e64 v48, 0x7f800001, v30, s10
; %bb.245:                              ;   in Loop: Header=BB2_129 Depth=2
	s_or_b32 exec_lo, exec_lo, s27
.LBB2_246:                              ;   in Loop: Header=BB2_129 Depth=2
	s_delay_alu instid0(SALU_CYCLE_1)
	s_or_b32 exec_lo, exec_lo, s26
.LBB2_247:                              ;   in Loop: Header=BB2_129 Depth=2
	s_delay_alu instid0(SALU_CYCLE_1) | instskip(SKIP_3) | instid1(VALU_DEP_2)
	s_or_b32 exec_lo, exec_lo, s11
	v_bfe_u32 v102, v10, 24, 2
	v_bfe_u32 v112, v10, 26, 5
                                        ; implicit-def: $vgpr119
	s_mov_b32 s11, exec_lo
	v_clz_i32_u32_e32 v30, v102
	s_delay_alu instid0(VALU_DEP_2) | instskip(NEXT) | instid1(VALU_DEP_2)
	v_cmp_eq_u32_e64 s10, 0, v112
	v_min_u32_e32 v103, 32, v30
	v_lshrrev_b32_e32 v30, 24, v10
	s_delay_alu instid0(VALU_DEP_2) | instskip(NEXT) | instid1(VALU_DEP_1)
	v_subrev_nc_u32_e32 v100, 29, v103
	v_lshlrev_b64_e32 v[100:101], v100, v[30:31]
	v_sub_nc_u32_e32 v101, 30, v103
	v_and_b32_e32 v103, 0x80000000, v10
	s_delay_alu instid0(VALU_DEP_2) | instskip(NEXT) | instid1(VALU_DEP_1)
	v_dual_cndmask_b32 v101, v112, v101, s10 :: v_dual_bitop2_b32 v100, 3, v100 bitop3:0x40
	v_lshl_add_u32 v101, v101, 23, v103
	s_delay_alu instid0(VALU_DEP_2) | instskip(SKIP_1) | instid1(VALU_DEP_2)
	v_cndmask_b32_e64 v100, v102, v100, s10
	v_cmp_lt_i32_e64 s10, -1, v10
	v_lshl_or_b32 v100, v100, 21, v101
	s_delay_alu instid0(VALU_DEP_2) | instskip(SKIP_2) | instid1(VALU_DEP_4)
	v_cndmask_b32_e64 v103, 0xff800000, v62, s10
	v_and_b32_e32 v101, 0x7c000000, v10
	v_cmp_eq_u32_e64 s10, 0, v102
	v_add_nc_u32_e32 v100, 0x38000000, v100
	s_delay_alu instid0(VALU_DEP_2) | instskip(NEXT) | instid1(VALU_DEP_4)
	v_cndmask_b32_e64 v102, 0x7f800001, v103, s10
	v_cmp_eq_u32_e64 s10, 0x7c000000, v101
	s_delay_alu instid0(VALU_DEP_1) | instskip(SKIP_1) | instid1(VALU_DEP_1)
	v_dual_mov_b32 v103, v49 :: v_dual_cndmask_b32 v100, v100, v102, s10
	v_cmp_ne_u32_e64 s10, 0x80, v30
	v_cndmask_b32_e64 v30, 0x80000000, v100, s10
	v_cmp_lt_u32_e64 s10, 0xffffff, v10
	s_delay_alu instid0(VALU_DEP_1) | instskip(NEXT) | instid1(VALU_DEP_1)
	v_cndmask_b32_e64 v30, 0, v30, s10
	v_mul_f32_e32 v100, v30, v48
	s_delay_alu instid0(VALU_DEP_1) | instskip(SKIP_2) | instid1(VALU_DEP_3)
	v_and_b32_e32 v102, 0x7f800000, v100
	v_and_b32_e32 v48, 0x7fffff, v100
	v_lshrrev_b32_e32 v30, 24, v100
	v_cmpx_ne_u64_e32 0x7f800000, v[102:103]
	s_xor_b32 s26, exec_lo, s11
	s_cbranch_execz .LBB2_261
; %bb.248:                              ;   in Loop: Header=BB2_129 Depth=2
	v_and_b32_e32 v102, 0x7fffffff, v100
	v_mov_b32_e32 v103, v49
	v_and_b32_e32 v30, 0x80, v30
                                        ; implicit-def: $vgpr119
	s_mov_b32 s11, exec_lo
	s_delay_alu instid0(VALU_DEP_2)
	v_cmpx_gt_u64_e32 0x47600001, v[102:103]
	s_xor_b32 s27, exec_lo, s11
	s_cbranch_execz .LBB2_258
; %bb.249:                              ;   in Loop: Header=BB2_129 Depth=2
	v_mov_b32_e32 v119, 0
	s_mov_b32 s28, exec_lo
	v_cmpx_ne_u32_e32 0, v100
	s_cbranch_execz .LBB2_257
; %bb.250:                              ;   in Loop: Header=BB2_129 Depth=2
	v_bfe_u32 v112, v100, 23, 8
	v_or_b32_e32 v102, 0x800000, v48
	s_delay_alu instid0(VALU_DEP_2) | instskip(SKIP_1) | instid1(VALU_DEP_1)
	v_sub_nc_u32_e32 v100, 0x71, v112
	v_cmp_gt_u32_e64 s10, 0x72, v112
	v_cndmask_b32_e64 v100, 0, v100, s10
	v_cmp_eq_u32_e64 s10, 0, v112
	s_delay_alu instid0(VALU_DEP_1) | instskip(NEXT) | instid1(VALU_DEP_1)
	v_cndmask_b32_e64 v113, v100, 0x70, s10
	v_dual_cndmask_b32 v48, v102, v48, s10 :: v_dual_add_nc_u32 v100, 21, v113
	v_add_nc_u32_e32 v103, 20, v113
	s_delay_alu instid0(VALU_DEP_2) | instskip(NEXT) | instid1(VALU_DEP_2)
	v_lshlrev_b64_e64 v[100:101], v100, -1
	v_lshlrev_b64_e64 v[102:103], v103, 1
	s_delay_alu instid0(VALU_DEP_2) | instskip(NEXT) | instid1(VALU_DEP_3)
	v_bfi_b32 v41, v101, 0, 0
	v_bfi_b32 v40, v100, 0, v48
	v_lshrrev_b64 v[100:101], v113, v[48:49]
	s_delay_alu instid0(VALU_DEP_2) | instskip(NEXT) | instid1(VALU_DEP_2)
	v_cmp_eq_u64_e64 s11, v[40:41], v[102:103]
	v_mov_b64_e32 v[102:103], v[100:101]
	s_and_saveexec_b32 s29, s11
; %bb.251:                              ;   in Loop: Header=BB2_129 Depth=2
	v_bfe_u32 v48, v100, 21, 1
	s_delay_alu instid0(VALU_DEP_1) | instskip(NEXT) | instid1(VALU_DEP_1)
	v_add_nc_u64_e32 v[102:103], v[100:101], v[48:49]
	v_add_nc_u64_e32 v[102:103], -1, v[102:103]
; %bb.252:                              ;   in Loop: Header=BB2_129 Depth=2
	s_or_b32 exec_lo, exec_lo, s29
	v_add_nc_u32_e32 v48, 0xffffff81, v112
	v_lshrrev_b32_e32 v101, 23, v100
	s_mov_b32 s11, exec_lo
	s_delay_alu instid0(VALU_DEP_2) | instskip(NEXT) | instid1(VALU_DEP_1)
	v_cndmask_b32_e64 v48, v48, 0xffffff82, s10
	v_add3_u32 v103, v113, v48, v101
	v_and_b32_e32 v48, 0x1fffff, v102
                                        ; implicit-def: $vgpr102
	s_delay_alu instid0(VALU_DEP_1) | instskip(NEXT) | instid1(VALU_DEP_1)
	v_dual_add_nc_u32 v112, 14, v103 :: v_dual_add_nc_u32 v48, v48, v100
                                        ; implicit-def: $vgpr100_vgpr101
	v_cmpx_ne_u32_e32 0, v112
	s_xor_b32 s11, exec_lo, s11
; %bb.253:                              ;   in Loop: Header=BB2_129 Depth=2
	s_delay_alu instid0(VALU_DEP_2) | instskip(SKIP_1) | instid1(VALU_DEP_1)
	v_cmp_lt_u64_e64 s10, 0xffffff, v[48:49]
	v_add_nc_u32_e32 v100, 15, v103
	v_cndmask_b32_e64 v102, v112, v100, s10
	v_cndmask_b32_e64 v100, 0, 1, s10
	s_delay_alu instid0(VALU_DEP_1)
	v_lshrrev_b64 v[100:101], v100, v[48:49]
; %bb.254:                              ;   in Loop: Header=BB2_129 Depth=2
	s_and_not1_saveexec_b32 s10, s11
; %bb.255:                              ;   in Loop: Header=BB2_129 Depth=2
	v_mov_b64_e32 v[100:101], v[48:49]
	v_bfe_u32 v102, v48, 23, 1
; %bb.256:                              ;   in Loop: Header=BB2_129 Depth=2
	s_or_b32 exec_lo, exec_lo, s10
	s_delay_alu instid0(VALU_DEP_2) | instskip(NEXT) | instid1(VALU_DEP_2)
	v_lshrrev_b64 v[100:101], 21, v[100:101]
	v_cmp_gt_i32_e64 s10, 32, v102
	v_min_i32_e32 v48, 31, v102
	v_cmp_eq_u32_e64 s11, 0, v102
	s_delay_alu instid0(VALU_DEP_2) | instskip(SKIP_1) | instid1(VALU_DEP_2)
	v_dual_cndmask_b32 v101, 0, v101, s10 :: v_dual_lshlrev_b32 v48, 2, v48
	v_cndmask_b32_e64 v100, 3, v100, s10
	v_and_b32_e32 v48, 0xfc, v48
	s_delay_alu instid0(VALU_DEP_2) | instskip(NEXT) | instid1(VALU_DEP_2)
	v_cmp_eq_u64_e64 s10, 0, v[100:101]
	v_and_or_b32 v48, v100, 3, v48
	s_and_b32 s10, s11, s10
	s_delay_alu instid0(VALU_DEP_1) | instid1(SALU_CYCLE_1)
	v_cndmask_b32_e64 v48, v48, 0, s10
	s_delay_alu instid0(VALU_DEP_1)
	v_or_b32_e32 v119, v48, v30
.LBB2_257:                              ;   in Loop: Header=BB2_129 Depth=2
	s_or_b32 exec_lo, exec_lo, s28
                                        ; implicit-def: $vgpr30
.LBB2_258:                              ;   in Loop: Header=BB2_129 Depth=2
	s_and_not1_saveexec_b32 s10, s27
; %bb.259:                              ;   in Loop: Header=BB2_129 Depth=2
	v_or_b32_e32 v119, 0x7b, v30
; %bb.260:                              ;   in Loop: Header=BB2_129 Depth=2
	s_or_b32 exec_lo, exec_lo, s10
                                        ; implicit-def: $vgpr100
                                        ; implicit-def: $vgpr30
.LBB2_261:                              ;   in Loop: Header=BB2_129 Depth=2
	s_and_not1_saveexec_b32 s11, s26
	s_cbranch_execz .LBB2_267
; %bb.262:                              ;   in Loop: Header=BB2_129 Depth=2
	v_cmp_ne_u64_e64 s10, 0, v[48:49]
                                        ; implicit-def: $vgpr119
	s_and_saveexec_b32 s26, s10
	s_delay_alu instid0(SALU_CYCLE_1)
	s_xor_b32 s10, exec_lo, s26
; %bb.263:                              ;   in Loop: Header=BB2_129 Depth=2
	v_or_b32_e32 v119, 0x7f, v30
                                        ; implicit-def: $vgpr100
; %bb.264:                              ;   in Loop: Header=BB2_129 Depth=2
	s_and_not1_saveexec_b32 s26, s10
; %bb.265:                              ;   in Loop: Header=BB2_129 Depth=2
	v_cmp_lt_i32_e64 s10, -1, v100
	s_delay_alu instid0(VALU_DEP_1)
	v_cndmask_b32_e64 v119, 0xfc, v63, s10
; %bb.266:                              ;   in Loop: Header=BB2_129 Depth=2
	s_or_b32 exec_lo, exec_lo, s26
.LBB2_267:                              ;   in Loop: Header=BB2_129 Depth=2
	s_delay_alu instid0(SALU_CYCLE_1) | instskip(SKIP_3) | instid1(VALU_DEP_2)
	s_or_b32 exec_lo, exec_lo, s11
	v_and_b32_e32 v100, 0xff, v15
	v_dual_mov_b32 v48, v15 :: v_dual_mov_b32 v30, 0
	s_mov_b32 s11, exec_lo
	v_cmpx_ne_u16_e32 0, v100
	s_cbranch_execz .LBB2_277
; %bb.268:                              ;   in Loop: Header=BB2_129 Depth=2
	v_bfrev_b32_e32 v30, 1
	s_mov_b32 s26, exec_lo
	v_cmpx_ne_u16_e32 0x80, v100
	s_cbranch_execz .LBB2_276
; %bb.269:                              ;   in Loop: Header=BB2_129 Depth=2
	v_and_b32_e32 v30, 0x7c, v15
	v_and_b32_e32 v100, 3, v15
	s_delay_alu instid0(VALU_DEP_2) | instskip(SKIP_1) | instid1(SALU_CYCLE_1)
	v_cmp_ne_u32_e64 s10, 0x7c, v30
                                        ; implicit-def: $vgpr30
	s_and_saveexec_b32 s27, s10
	s_xor_b32 s27, exec_lo, s27
	s_cbranch_execz .LBB2_273
; %bb.270:                              ;   in Loop: Header=BB2_129 Depth=2
	v_bfe_u32 v30, v15, 2, 5
	s_mov_b32 s28, exec_lo
	s_delay_alu instid0(VALU_DEP_1)
	v_cmpx_eq_u32_e32 0, v30
; %bb.271:                              ;   in Loop: Header=BB2_129 Depth=2
	v_clz_i32_u32_e32 v30, v100
	s_delay_alu instid0(VALU_DEP_1) | instskip(NEXT) | instid1(VALU_DEP_1)
	v_min_u32_e32 v30, 32, v30
	v_subrev_nc_u32_e32 v100, 29, v30
	s_delay_alu instid0(VALU_DEP_1) | instskip(NEXT) | instid1(VALU_DEP_1)
	v_lshlrev_b64_e32 v[100:101], v100, v[48:49]
	v_dual_sub_nc_u32 v30, 30, v30 :: v_dual_bitop2_b32 v100, 3, v100 bitop3:0x40
; %bb.272:                              ;   in Loop: Header=BB2_129 Depth=2
	s_or_b32 exec_lo, exec_lo, s28
	v_lshlrev_b32_e32 v101, 24, v15
	s_delay_alu instid0(VALU_DEP_1) | instskip(NEXT) | instid1(VALU_DEP_1)
	v_and_b32_e32 v101, 0x80000000, v101
	v_lshl_add_u32 v30, v30, 23, v101
	s_delay_alu instid0(VALU_DEP_1) | instskip(NEXT) | instid1(VALU_DEP_1)
	v_lshl_or_b32 v30, v100, 21, v30
                                        ; implicit-def: $vgpr100
	v_add_nc_u32_e32 v30, 0x38000000, v30
.LBB2_273:                              ;   in Loop: Header=BB2_129 Depth=2
	s_and_not1_saveexec_b32 s27, s27
; %bb.274:                              ;   in Loop: Header=BB2_129 Depth=2
	v_bfe_i32 v30, v15, 0, 8
	s_delay_alu instid0(VALU_DEP_1) | instskip(NEXT) | instid1(VALU_DEP_1)
	v_cmp_lt_i16_e64 s10, -1, v30
	v_cndmask_b32_e64 v30, 0xff800000, v62, s10
	v_cmp_eq_u32_e64 s10, 0, v100
	s_delay_alu instid0(VALU_DEP_1)
	v_cndmask_b32_e64 v30, 0x7f800001, v30, s10
; %bb.275:                              ;   in Loop: Header=BB2_129 Depth=2
	s_or_b32 exec_lo, exec_lo, s27
.LBB2_276:                              ;   in Loop: Header=BB2_129 Depth=2
	s_delay_alu instid0(SALU_CYCLE_1)
	s_or_b32 exec_lo, exec_lo, s26
.LBB2_277:                              ;   in Loop: Header=BB2_129 Depth=2
	s_delay_alu instid0(SALU_CYCLE_1) | instskip(SKIP_4) | instid1(VALU_DEP_2)
	s_or_b32 exec_lo, exec_lo, s11
	v_and_b32_e32 v101, 0xff, v11
	v_mov_b32_e32 v100, v11
	s_mov_b32 s26, 0
	s_mov_b32 s11, exec_lo
	v_cmpx_lt_i16_e32 0x7f, v101
	s_xor_b32 s11, exec_lo, s11
	s_cbranch_execz .LBB2_686
; %bb.278:                              ;   in Loop: Header=BB2_129 Depth=2
	s_mov_b32 s26, -1
	s_mov_b32 s27, exec_lo
	v_cmpx_eq_u16_e32 0x80, v101
; %bb.279:                              ;   in Loop: Header=BB2_129 Depth=2
	s_xor_b32 s26, exec_lo, -1
; %bb.280:                              ;   in Loop: Header=BB2_129 Depth=2
	s_or_b32 exec_lo, exec_lo, s27
	s_delay_alu instid0(SALU_CYCLE_1)
	s_and_b32 s26, s26, exec_lo
                                        ; implicit-def: $vgpr101
	s_or_saveexec_b32 s11, s11
	v_bfrev_b32_e32 v102, 1
	s_xor_b32 exec_lo, exec_lo, s11
	s_cbranch_execnz .LBB2_687
.LBB2_281:                              ;   in Loop: Header=BB2_129 Depth=2
	s_or_b32 exec_lo, exec_lo, s11
	v_mov_b32_e32 v101, v49
	s_and_saveexec_b32 s11, s26
	s_cbranch_execz .LBB2_283
.LBB2_282:                              ;   in Loop: Header=BB2_129 Depth=2
	v_and_b32_e32 v112, 3, v11
	s_delay_alu instid0(VALU_DEP_1) | instskip(NEXT) | instid1(VALU_DEP_1)
	v_clz_i32_u32_e32 v102, v112
	v_min_u32_e32 v113, 32, v102
	s_delay_alu instid0(VALU_DEP_1) | instskip(NEXT) | instid1(VALU_DEP_1)
	v_subrev_nc_u32_e32 v102, 29, v113
	v_lshlrev_b64_e32 v[102:103], v102, v[100:101]
	v_bfe_u32 v103, v11, 2, 5
	v_dual_lshlrev_b32 v101, 24, v11 :: v_dual_sub_nc_u32 v113, 30, v113
	s_delay_alu instid0(VALU_DEP_2) | instskip(NEXT) | instid1(VALU_DEP_2)
	v_cmp_eq_u32_e64 s10, 0, v103
	v_and_b32_e32 v101, 0x80000000, v101
	s_delay_alu instid0(VALU_DEP_2) | instskip(SKIP_1) | instid1(VALU_DEP_2)
	v_dual_cndmask_b32 v103, v103, v113, s10 :: v_dual_bitop2_b32 v102, 3, v102 bitop3:0x40
	v_bfe_i32 v113, v11, 0, 8
	v_cndmask_b32_e64 v102, v112, v102, s10
	s_delay_alu instid0(VALU_DEP_3) | instskip(NEXT) | instid1(VALU_DEP_3)
	v_lshl_add_u32 v101, v103, 23, v101
	v_cmp_lt_i16_e64 s10, -1, v113
	s_delay_alu instid0(VALU_DEP_2) | instskip(NEXT) | instid1(VALU_DEP_2)
	v_lshl_or_b32 v101, v102, 21, v101
	v_cndmask_b32_e64 v103, 0xff800000, v62, s10
	v_and_b32_e32 v102, 0x7c, v11
	v_cmp_eq_u32_e64 s10, 0, v112
	s_delay_alu instid0(VALU_DEP_4) | instskip(NEXT) | instid1(VALU_DEP_2)
	v_add_nc_u32_e32 v101, 0x38000000, v101
	v_cndmask_b32_e64 v103, 0x7f800001, v103, s10
	s_delay_alu instid0(VALU_DEP_4) | instskip(NEXT) | instid1(VALU_DEP_1)
	v_cmp_eq_u32_e64 s10, 0x7c, v102
	v_cndmask_b32_e64 v102, v101, v103, s10
.LBB2_283:                              ;   in Loop: Header=BB2_129 Depth=2
	s_or_b32 exec_lo, exec_lo, s11
	s_delay_alu instid0(VALU_DEP_1) | instskip(NEXT) | instid1(VALU_DEP_1)
	v_dual_mul_f32 v101, v30, v102 :: v_dual_mov_b32 v113, v49
	v_dual_mov_b32 v103, v49 :: v_dual_lshrrev_b32 v30, 24, v101
	v_and_b32_e32 v112, 0x7f800000, v101
	v_and_b32_e32 v102, 0x7fffff, v101
	s_delay_alu instid0(VALU_DEP_2) | instskip(SKIP_1) | instid1(SALU_CYCLE_1)
	v_cmp_ne_u64_e64 s10, 0x7f800000, v[112:113]
                                        ; implicit-def: $vgpr112
	s_and_saveexec_b32 s11, s10
	s_xor_b32 s26, exec_lo, s11
	s_cbranch_execz .LBB2_297
; %bb.284:                              ;   in Loop: Header=BB2_129 Depth=2
	v_and_b32_e32 v112, 0x7fffffff, v101
	v_mov_b32_e32 v113, v49
	v_and_b32_e32 v30, 0x80, v30
	s_delay_alu instid0(VALU_DEP_2) | instskip(SKIP_1) | instid1(SALU_CYCLE_1)
	v_cmp_gt_u64_e64 s10, 0x47600001, v[112:113]
                                        ; implicit-def: $vgpr112
	s_and_saveexec_b32 s11, s10
	s_xor_b32 s27, exec_lo, s11
	s_cbranch_execz .LBB2_294
; %bb.285:                              ;   in Loop: Header=BB2_129 Depth=2
	v_mov_b32_e32 v112, 0
	s_mov_b32 s28, exec_lo
	v_cmpx_ne_u32_e32 0, v101
	s_cbranch_execz .LBB2_293
; %bb.286:                              ;   in Loop: Header=BB2_129 Depth=2
	v_bfe_u32 v101, v101, 23, 8
	v_or_b32_e32 v41, 0x800000, v102
	s_delay_alu instid0(VALU_DEP_2) | instskip(SKIP_1) | instid1(VALU_DEP_1)
	v_sub_nc_u32_e32 v112, 0x71, v101
	v_cmp_gt_u32_e64 s10, 0x72, v101
	v_cndmask_b32_e64 v112, 0, v112, s10
	v_cmp_eq_u32_e64 s10, 0, v101
	s_delay_alu instid0(VALU_DEP_1) | instskip(NEXT) | instid1(VALU_DEP_3)
	v_cndmask_b32_e64 v102, v41, v102, s10
	v_cndmask_b32_e64 v40, v112, 0x70, s10
	s_delay_alu instid0(VALU_DEP_1) | instskip(NEXT) | instid1(VALU_DEP_1)
	v_dual_add_nc_u32 v112, 21, v40 :: v_dual_add_nc_u32 v42, 20, v40
	v_lshlrev_b64_e64 v[112:113], v112, -1
	s_delay_alu instid0(VALU_DEP_2) | instskip(NEXT) | instid1(VALU_DEP_2)
	v_lshlrev_b64_e64 v[42:43], v42, 1
	v_bfi_b32 v112, v112, 0, v102
	v_lshrrev_b64 v[102:103], v40, v[102:103]
	s_delay_alu instid0(VALU_DEP_4) | instskip(NEXT) | instid1(VALU_DEP_1)
	v_bfi_b32 v113, v113, 0, 0
	v_cmp_eq_u64_e64 s11, v[112:113], v[42:43]
	s_delay_alu instid0(VALU_DEP_3)
	v_mov_b64_e32 v[112:113], v[102:103]
	s_and_saveexec_b32 s29, s11
; %bb.287:                              ;   in Loop: Header=BB2_129 Depth=2
	v_bfe_u32 v112, v102, 21, 1
	v_mov_b32_e32 v113, v49
	s_delay_alu instid0(VALU_DEP_1) | instskip(NEXT) | instid1(VALU_DEP_1)
	v_add_nc_u64_e32 v[112:113], v[102:103], v[112:113]
	v_add_nc_u64_e32 v[112:113], -1, v[112:113]
; %bb.288:                              ;   in Loop: Header=BB2_129 Depth=2
	s_or_b32 exec_lo, exec_lo, s29
	v_add_nc_u32_e32 v101, 0xffffff81, v101
	v_lshrrev_b32_e32 v103, 23, v102
	s_mov_b32 s11, exec_lo
	s_delay_alu instid0(VALU_DEP_2) | instskip(NEXT) | instid1(VALU_DEP_1)
	v_cndmask_b32_e64 v101, v101, 0xffffff82, s10
	v_add3_u32 v113, v40, v101, v103
	v_and_b32_e32 v101, 0x1fffff, v112
	s_delay_alu instid0(VALU_DEP_2) | instskip(NEXT) | instid1(VALU_DEP_2)
	v_dual_mov_b32 v103, v49 :: v_dual_add_nc_u32 v112, 14, v113
	v_add_nc_u32_e32 v102, v101, v102
                                        ; implicit-def: $vgpr101
	s_delay_alu instid0(VALU_DEP_2)
	v_cmpx_ne_u32_e32 0, v112
	s_xor_b32 s11, exec_lo, s11
; %bb.289:                              ;   in Loop: Header=BB2_129 Depth=2
	s_delay_alu instid0(VALU_DEP_2) | instskip(SKIP_1) | instid1(VALU_DEP_1)
	v_cmp_lt_u64_e64 s10, 0xffffff, v[102:103]
	v_add_nc_u32_e32 v101, 15, v113
	v_cndmask_b32_e64 v101, v112, v101, s10
	v_cndmask_b32_e64 v112, 0, 1, s10
	s_delay_alu instid0(VALU_DEP_1)
	v_lshrrev_b64 v[102:103], v112, v[102:103]
; %bb.290:                              ;   in Loop: Header=BB2_129 Depth=2
	s_and_not1_saveexec_b32 s10, s11
; %bb.291:                              ;   in Loop: Header=BB2_129 Depth=2
	s_delay_alu instid0(VALU_DEP_1)
	v_bfe_u32 v101, v102, 23, 1
; %bb.292:                              ;   in Loop: Header=BB2_129 Depth=2
	s_or_b32 exec_lo, exec_lo, s10
	s_delay_alu instid0(VALU_DEP_2) | instskip(NEXT) | instid1(VALU_DEP_2)
	v_lshrrev_b64 v[102:103], 21, v[102:103]
	v_cmp_gt_i32_e64 s10, 32, v101
	v_min_i32_e32 v112, 31, v101
	v_cmp_eq_u32_e64 s11, 0, v101
	s_delay_alu instid0(VALU_DEP_2) | instskip(SKIP_1) | instid1(VALU_DEP_2)
	v_dual_cndmask_b32 v103, 0, v103, s10 :: v_dual_lshlrev_b32 v112, 2, v112
	v_cndmask_b32_e64 v102, 3, v102, s10
	v_and_b32_e32 v112, 0xfc, v112
	s_delay_alu instid0(VALU_DEP_2) | instskip(NEXT) | instid1(VALU_DEP_2)
	v_cmp_eq_u64_e64 s10, 0, v[102:103]
	v_and_or_b32 v101, v102, 3, v112
	s_and_b32 s10, s11, s10
	s_delay_alu instid0(VALU_DEP_1) | instid1(SALU_CYCLE_1)
	v_cndmask_b32_e64 v101, v101, 0, s10
	s_delay_alu instid0(VALU_DEP_1)
	v_or_b32_e32 v112, v101, v30
.LBB2_293:                              ;   in Loop: Header=BB2_129 Depth=2
	s_or_b32 exec_lo, exec_lo, s28
                                        ; implicit-def: $vgpr30
.LBB2_294:                              ;   in Loop: Header=BB2_129 Depth=2
	s_and_not1_saveexec_b32 s10, s27
; %bb.295:                              ;   in Loop: Header=BB2_129 Depth=2
	v_or_b32_e32 v112, 0x7b, v30
; %bb.296:                              ;   in Loop: Header=BB2_129 Depth=2
	s_or_b32 exec_lo, exec_lo, s10
                                        ; implicit-def: $vgpr101
                                        ; implicit-def: $vgpr102_vgpr103
                                        ; implicit-def: $vgpr30
.LBB2_297:                              ;   in Loop: Header=BB2_129 Depth=2
	s_and_not1_saveexec_b32 s11, s26
	s_cbranch_execz .LBB2_303
; %bb.298:                              ;   in Loop: Header=BB2_129 Depth=2
	v_cmp_ne_u64_e64 s10, 0, v[102:103]
                                        ; implicit-def: $vgpr112
	s_and_saveexec_b32 s26, s10
	s_delay_alu instid0(SALU_CYCLE_1)
	s_xor_b32 s10, exec_lo, s26
; %bb.299:                              ;   in Loop: Header=BB2_129 Depth=2
	v_or_b32_e32 v112, 0x7f, v30
                                        ; implicit-def: $vgpr101
; %bb.300:                              ;   in Loop: Header=BB2_129 Depth=2
	s_and_not1_saveexec_b32 s26, s10
; %bb.301:                              ;   in Loop: Header=BB2_129 Depth=2
	v_cmp_lt_i32_e64 s10, -1, v101
	s_delay_alu instid0(VALU_DEP_1)
	v_cndmask_b32_e64 v112, 0xfc, v63, s10
; %bb.302:                              ;   in Loop: Header=BB2_129 Depth=2
	s_or_b32 exec_lo, exec_lo, s26
.LBB2_303:                              ;   in Loop: Header=BB2_129 Depth=2
	s_delay_alu instid0(SALU_CYCLE_1) | instskip(SKIP_3) | instid1(VALU_DEP_2)
	s_or_b32 exec_lo, exec_lo, s11
	v_lshrrev_b16 v102, 8, v48
	v_mov_b32_e32 v30, 0
	s_mov_b32 s11, exec_lo
	v_cmpx_ne_u16_e32 0, v102
	s_cbranch_execz .LBB2_313
; %bb.304:                              ;   in Loop: Header=BB2_129 Depth=2
	v_bfrev_b32_e32 v30, 1
	s_mov_b32 s26, exec_lo
	v_cmpx_ne_u16_e32 0x80, v102
	s_cbranch_execz .LBB2_312
; %bb.305:                              ;   in Loop: Header=BB2_129 Depth=2
	v_and_b32_e32 v103, 0xffff, v102
	s_delay_alu instid0(VALU_DEP_1) | instskip(SKIP_1) | instid1(VALU_DEP_2)
	v_and_b32_e32 v30, 0x7c, v103
	v_and_b32_e32 v101, 3, v103
	v_cmp_ne_u32_e64 s10, 0x7c, v30
                                        ; implicit-def: $vgpr30
	s_and_saveexec_b32 s27, s10
	s_delay_alu instid0(SALU_CYCLE_1)
	s_xor_b32 s27, exec_lo, s27
	s_cbranch_execz .LBB2_309
; %bb.306:                              ;   in Loop: Header=BB2_129 Depth=2
	v_bfe_u32 v30, v103, 2, 5
	s_mov_b32 s28, exec_lo
	s_delay_alu instid0(VALU_DEP_1)
	v_cmpx_eq_u32_e32 0, v30
	s_cbranch_execz .LBB2_308
; %bb.307:                              ;   in Loop: Header=BB2_129 Depth=2
	v_clz_i32_u32_e32 v30, v101
	s_delay_alu instid0(VALU_DEP_1) | instskip(SKIP_1) | instid1(VALU_DEP_2)
	v_min_u32_e32 v30, 32, v30
	v_mov_b32_e32 v103, v49
	v_subrev_nc_u32_e32 v101, 29, v30
	v_sub_nc_u32_e32 v30, 30, v30
	s_delay_alu instid0(VALU_DEP_2) | instskip(NEXT) | instid1(VALU_DEP_1)
	v_lshlrev_b64_e32 v[102:103], v101, v[102:103]
	v_and_b32_e32 v101, 3, v102
.LBB2_308:                              ;   in Loop: Header=BB2_129 Depth=2
	s_or_b32 exec_lo, exec_lo, s28
	v_lshlrev_b32_e32 v48, 16, v48
	s_delay_alu instid0(VALU_DEP_1) | instskip(NEXT) | instid1(VALU_DEP_1)
	v_and_b32_e32 v48, 0x80000000, v48
	v_lshl_add_u32 v30, v30, 23, v48
	s_delay_alu instid0(VALU_DEP_1) | instskip(NEXT) | instid1(VALU_DEP_1)
	v_lshl_or_b32 v30, v101, 21, v30
                                        ; implicit-def: $vgpr101
	v_add_nc_u32_e32 v30, 0x38000000, v30
.LBB2_309:                              ;   in Loop: Header=BB2_129 Depth=2
	s_and_not1_saveexec_b32 s27, s27
; %bb.310:                              ;   in Loop: Header=BB2_129 Depth=2
	v_cmp_lt_i16_e64 s10, -1, v48
	s_delay_alu instid0(VALU_DEP_1) | instskip(SKIP_1) | instid1(VALU_DEP_1)
	v_cndmask_b32_e64 v30, 0xff800000, v62, s10
	v_cmp_eq_u32_e64 s10, 0, v101
	v_cndmask_b32_e64 v30, 0x7f800001, v30, s10
; %bb.311:                              ;   in Loop: Header=BB2_129 Depth=2
	s_or_b32 exec_lo, exec_lo, s27
.LBB2_312:                              ;   in Loop: Header=BB2_129 Depth=2
	s_delay_alu instid0(SALU_CYCLE_1)
	s_or_b32 exec_lo, exec_lo, s26
.LBB2_313:                              ;   in Loop: Header=BB2_129 Depth=2
	s_delay_alu instid0(SALU_CYCLE_1) | instskip(SKIP_3) | instid1(VALU_DEP_1)
	s_or_b32 exec_lo, exec_lo, s11
	v_lshrrev_b16 v48, 8, v100
	s_mov_b32 s26, 0
	s_mov_b32 s11, exec_lo
	v_cmpx_lt_i16_e32 0x7f, v48
	s_xor_b32 s11, exec_lo, s11
	s_cbranch_execz .LBB2_688
; %bb.314:                              ;   in Loop: Header=BB2_129 Depth=2
	s_mov_b32 s26, -1
	s_mov_b32 s27, exec_lo
	v_cmpx_eq_u16_e32 0x80, v48
; %bb.315:                              ;   in Loop: Header=BB2_129 Depth=2
	s_xor_b32 s26, exec_lo, -1
; %bb.316:                              ;   in Loop: Header=BB2_129 Depth=2
	s_or_b32 exec_lo, exec_lo, s27
	s_delay_alu instid0(SALU_CYCLE_1)
	s_and_b32 s26, s26, exec_lo
	s_or_saveexec_b32 s11, s11
	v_bfrev_b32_e32 v101, 1
	s_xor_b32 exec_lo, exec_lo, s11
	s_cbranch_execnz .LBB2_689
.LBB2_317:                              ;   in Loop: Header=BB2_129 Depth=2
	s_or_b32 exec_lo, exec_lo, s11
	s_and_saveexec_b32 s11, s26
	s_cbranch_execz .LBB2_319
.LBB2_318:                              ;   in Loop: Header=BB2_129 Depth=2
	v_and_b32_e32 v101, 0xffff, v48
	s_delay_alu instid0(VALU_DEP_1) | instskip(NEXT) | instid1(VALU_DEP_1)
	v_and_b32_e32 v113, 3, v101
	v_clz_i32_u32_e32 v102, v113
	s_delay_alu instid0(VALU_DEP_1) | instskip(NEXT) | instid1(VALU_DEP_1)
	v_min_u32_e32 v40, 32, v102
	v_subrev_nc_u32_e32 v102, 29, v40
	s_delay_alu instid0(VALU_DEP_1) | instskip(SKIP_4) | instid1(VALU_DEP_4)
	v_lshlrev_b64_e32 v[102:103], v102, v[48:49]
	v_bfe_u32 v103, v101, 2, 5
	v_lshlrev_b32_e32 v48, 24, v48
	v_sub_nc_u32_e32 v40, 30, v40
	v_and_b32_e32 v101, 0x7c, v101
	v_cmp_eq_u32_e64 s10, 0, v103
	s_delay_alu instid0(VALU_DEP_4) | instskip(NEXT) | instid1(VALU_DEP_2)
	v_and_b32_e32 v48, 0x80000000, v48
	v_dual_cndmask_b32 v103, v103, v40, s10 :: v_dual_bitop2_b32 v102, 3, v102 bitop3:0x40
	s_delay_alu instid0(VALU_DEP_1) | instskip(SKIP_1) | instid1(VALU_DEP_3)
	v_cndmask_b32_e64 v102, v113, v102, s10
	v_cmp_lt_i16_e64 s10, -1, v100
	v_lshl_add_u32 v48, v103, 23, v48
	s_delay_alu instid0(VALU_DEP_2) | instskip(SKIP_1) | instid1(VALU_DEP_3)
	v_cndmask_b32_e64 v100, 0xff800000, v62, s10
	v_cmp_eq_u32_e64 s10, 0, v113
	v_lshl_or_b32 v48, v102, 21, v48
	s_delay_alu instid0(VALU_DEP_2) | instskip(NEXT) | instid1(VALU_DEP_2)
	v_cndmask_b32_e64 v100, 0x7f800001, v100, s10
	v_add_nc_u32_e32 v48, 0x38000000, v48
	v_cmp_eq_u32_e64 s10, 0x7c, v101
	s_delay_alu instid0(VALU_DEP_1)
	v_cndmask_b32_e64 v101, v48, v100, s10
.LBB2_319:                              ;   in Loop: Header=BB2_129 Depth=2
	s_or_b32 exec_lo, exec_lo, s11
	s_delay_alu instid0(VALU_DEP_1) | instskip(SKIP_1) | instid1(VALU_DEP_1)
	v_dual_mul_f32 v100, v30, v101 :: v_dual_mov_b32 v103, v49
                                        ; implicit-def: $vgpr113
	s_mov_b32 s11, exec_lo
	v_and_b32_e32 v102, 0x7f800000, v100
	v_and_b32_e32 v48, 0x7fffff, v100
	v_lshrrev_b32_e32 v30, 24, v100
	s_delay_alu instid0(VALU_DEP_3)
	v_cmpx_ne_u64_e32 0x7f800000, v[102:103]
	s_xor_b32 s26, exec_lo, s11
	s_cbranch_execz .LBB2_333
; %bb.320:                              ;   in Loop: Header=BB2_129 Depth=2
	v_and_b32_e32 v102, 0x7fffffff, v100
	v_mov_b32_e32 v103, v49
	v_and_b32_e32 v30, 0x80, v30
                                        ; implicit-def: $vgpr113
	s_mov_b32 s11, exec_lo
	s_delay_alu instid0(VALU_DEP_2)
	v_cmpx_gt_u64_e32 0x47600001, v[102:103]
	s_xor_b32 s27, exec_lo, s11
	s_cbranch_execz .LBB2_330
; %bb.321:                              ;   in Loop: Header=BB2_129 Depth=2
	v_mov_b32_e32 v113, 0
	s_mov_b32 s28, exec_lo
	v_cmpx_ne_u32_e32 0, v100
	s_cbranch_execz .LBB2_329
; %bb.322:                              ;   in Loop: Header=BB2_129 Depth=2
	v_bfe_u32 v113, v100, 23, 8
	v_or_b32_e32 v102, 0x800000, v48
	s_delay_alu instid0(VALU_DEP_2) | instskip(SKIP_1) | instid1(VALU_DEP_1)
	v_sub_nc_u32_e32 v100, 0x71, v113
	v_cmp_gt_u32_e64 s10, 0x72, v113
	v_cndmask_b32_e64 v100, 0, v100, s10
	v_cmp_eq_u32_e64 s10, 0, v113
	s_delay_alu instid0(VALU_DEP_1) | instskip(SKIP_1) | instid1(VALU_DEP_2)
	v_cndmask_b32_e64 v40, v100, 0x70, s10
	v_cndmask_b32_e64 v48, v102, v48, s10
	v_dual_add_nc_u32 v100, 21, v40 :: v_dual_add_nc_u32 v103, 20, v40
	s_delay_alu instid0(VALU_DEP_1) | instskip(NEXT) | instid1(VALU_DEP_2)
	v_lshlrev_b64_e64 v[100:101], v100, -1
	v_lshlrev_b64_e64 v[102:103], v103, 1
	s_delay_alu instid0(VALU_DEP_2) | instskip(NEXT) | instid1(VALU_DEP_3)
	v_bfi_b32 v43, v101, 0, 0
	v_bfi_b32 v42, v100, 0, v48
	v_lshrrev_b64 v[100:101], v40, v[48:49]
	s_delay_alu instid0(VALU_DEP_2) | instskip(NEXT) | instid1(VALU_DEP_2)
	v_cmp_eq_u64_e64 s11, v[42:43], v[102:103]
	v_mov_b64_e32 v[102:103], v[100:101]
	s_and_saveexec_b32 s29, s11
; %bb.323:                              ;   in Loop: Header=BB2_129 Depth=2
	v_bfe_u32 v48, v100, 21, 1
	s_delay_alu instid0(VALU_DEP_1) | instskip(NEXT) | instid1(VALU_DEP_1)
	v_add_nc_u64_e32 v[102:103], v[100:101], v[48:49]
	v_add_nc_u64_e32 v[102:103], -1, v[102:103]
; %bb.324:                              ;   in Loop: Header=BB2_129 Depth=2
	s_or_b32 exec_lo, exec_lo, s29
	v_add_nc_u32_e32 v48, 0xffffff81, v113
	v_lshrrev_b32_e32 v101, 23, v100
	s_mov_b32 s11, exec_lo
	s_delay_alu instid0(VALU_DEP_2) | instskip(NEXT) | instid1(VALU_DEP_1)
	v_cndmask_b32_e64 v48, v48, 0xffffff82, s10
	v_add3_u32 v103, v40, v48, v101
	v_and_b32_e32 v48, 0x1fffff, v102
                                        ; implicit-def: $vgpr102
	s_delay_alu instid0(VALU_DEP_1) | instskip(NEXT) | instid1(VALU_DEP_1)
	v_dual_add_nc_u32 v113, 14, v103 :: v_dual_add_nc_u32 v48, v48, v100
                                        ; implicit-def: $vgpr100_vgpr101
	v_cmpx_ne_u32_e32 0, v113
	s_xor_b32 s11, exec_lo, s11
; %bb.325:                              ;   in Loop: Header=BB2_129 Depth=2
	s_delay_alu instid0(VALU_DEP_2) | instskip(SKIP_1) | instid1(VALU_DEP_1)
	v_cmp_lt_u64_e64 s10, 0xffffff, v[48:49]
	v_add_nc_u32_e32 v100, 15, v103
	v_cndmask_b32_e64 v102, v113, v100, s10
	v_cndmask_b32_e64 v100, 0, 1, s10
	s_delay_alu instid0(VALU_DEP_1)
	v_lshrrev_b64 v[100:101], v100, v[48:49]
; %bb.326:                              ;   in Loop: Header=BB2_129 Depth=2
	s_and_not1_saveexec_b32 s10, s11
; %bb.327:                              ;   in Loop: Header=BB2_129 Depth=2
	v_mov_b64_e32 v[100:101], v[48:49]
	v_bfe_u32 v102, v48, 23, 1
; %bb.328:                              ;   in Loop: Header=BB2_129 Depth=2
	s_or_b32 exec_lo, exec_lo, s10
	s_delay_alu instid0(VALU_DEP_2) | instskip(NEXT) | instid1(VALU_DEP_2)
	v_lshrrev_b64 v[100:101], 21, v[100:101]
	v_cmp_gt_i32_e64 s10, 32, v102
	v_min_i32_e32 v48, 31, v102
	v_cmp_eq_u32_e64 s11, 0, v102
	s_delay_alu instid0(VALU_DEP_2) | instskip(SKIP_1) | instid1(VALU_DEP_2)
	v_dual_cndmask_b32 v101, 0, v101, s10 :: v_dual_lshlrev_b32 v48, 2, v48
	v_cndmask_b32_e64 v100, 3, v100, s10
	v_and_b32_e32 v48, 0xfc, v48
	s_delay_alu instid0(VALU_DEP_2) | instskip(NEXT) | instid1(VALU_DEP_2)
	v_cmp_eq_u64_e64 s10, 0, v[100:101]
	v_and_or_b32 v48, v100, 3, v48
	s_and_b32 s10, s11, s10
	s_delay_alu instid0(VALU_DEP_1) | instid1(SALU_CYCLE_1)
	v_cndmask_b32_e64 v48, v48, 0, s10
	s_delay_alu instid0(VALU_DEP_1)
	v_or_b32_e32 v113, v48, v30
.LBB2_329:                              ;   in Loop: Header=BB2_129 Depth=2
	s_or_b32 exec_lo, exec_lo, s28
                                        ; implicit-def: $vgpr30
.LBB2_330:                              ;   in Loop: Header=BB2_129 Depth=2
	s_and_not1_saveexec_b32 s10, s27
; %bb.331:                              ;   in Loop: Header=BB2_129 Depth=2
	v_or_b32_e32 v113, 0x7b, v30
; %bb.332:                              ;   in Loop: Header=BB2_129 Depth=2
	s_or_b32 exec_lo, exec_lo, s10
                                        ; implicit-def: $vgpr100
                                        ; implicit-def: $vgpr30
.LBB2_333:                              ;   in Loop: Header=BB2_129 Depth=2
	s_and_not1_saveexec_b32 s11, s26
	s_cbranch_execz .LBB2_339
; %bb.334:                              ;   in Loop: Header=BB2_129 Depth=2
	v_cmp_ne_u64_e64 s10, 0, v[48:49]
                                        ; implicit-def: $vgpr113
	s_and_saveexec_b32 s26, s10
	s_delay_alu instid0(SALU_CYCLE_1)
	s_xor_b32 s10, exec_lo, s26
; %bb.335:                              ;   in Loop: Header=BB2_129 Depth=2
	v_or_b32_e32 v113, 0x7f, v30
                                        ; implicit-def: $vgpr100
; %bb.336:                              ;   in Loop: Header=BB2_129 Depth=2
	s_and_not1_saveexec_b32 s26, s10
; %bb.337:                              ;   in Loop: Header=BB2_129 Depth=2
	v_cmp_lt_i32_e64 s10, -1, v100
	s_delay_alu instid0(VALU_DEP_1)
	v_cndmask_b32_e64 v113, 0xfc, v63, s10
; %bb.338:                              ;   in Loop: Header=BB2_129 Depth=2
	s_or_b32 exec_lo, exec_lo, s26
.LBB2_339:                              ;   in Loop: Header=BB2_129 Depth=2
	s_delay_alu instid0(SALU_CYCLE_1) | instskip(SKIP_2) | instid1(VALU_DEP_1)
	s_or_b32 exec_lo, exec_lo, s11
	v_dual_lshrrev_b32 v30, 16, v15 :: v_dual_mov_b32 v48, 0
	s_mov_b32 s11, exec_lo
	v_and_b32_e32 v100, 0xff, v30
	s_delay_alu instid0(VALU_DEP_1)
	v_cmpx_ne_u16_e32 0, v100
	s_cbranch_execz .LBB2_349
; %bb.340:                              ;   in Loop: Header=BB2_129 Depth=2
	v_bfrev_b32_e32 v48, 1
	s_mov_b32 s26, exec_lo
	v_cmpx_ne_u16_e32 0x80, v100
	s_cbranch_execz .LBB2_348
; %bb.341:                              ;   in Loop: Header=BB2_129 Depth=2
	v_and_b32_e32 v48, 0x7c0000, v15
	v_bfe_u32 v100, v15, 16, 2
	s_delay_alu instid0(VALU_DEP_2) | instskip(SKIP_1) | instid1(SALU_CYCLE_1)
	v_cmp_ne_u32_e64 s10, 0x7c0000, v48
                                        ; implicit-def: $vgpr48
	s_and_saveexec_b32 s27, s10
	s_xor_b32 s27, exec_lo, s27
	s_cbranch_execz .LBB2_345
; %bb.342:                              ;   in Loop: Header=BB2_129 Depth=2
	v_bfe_u32 v48, v15, 18, 5
	s_mov_b32 s28, exec_lo
	s_delay_alu instid0(VALU_DEP_1)
	v_cmpx_eq_u32_e32 0, v48
; %bb.343:                              ;   in Loop: Header=BB2_129 Depth=2
	v_clz_i32_u32_e32 v48, v100
	s_delay_alu instid0(VALU_DEP_1) | instskip(NEXT) | instid1(VALU_DEP_1)
	v_min_u32_e32 v48, 32, v48
	v_subrev_nc_u32_e32 v100, 29, v48
	v_sub_nc_u32_e32 v48, 30, v48
	s_delay_alu instid0(VALU_DEP_2) | instskip(NEXT) | instid1(VALU_DEP_1)
	v_lshlrev_b64_e32 v[100:101], v100, v[30:31]
	v_and_b32_e32 v100, 3, v100
; %bb.344:                              ;   in Loop: Header=BB2_129 Depth=2
	s_or_b32 exec_lo, exec_lo, s28
	v_lshlrev_b32_e32 v30, 24, v30
	s_delay_alu instid0(VALU_DEP_1) | instskip(NEXT) | instid1(VALU_DEP_1)
	v_and_b32_e32 v30, 0x80000000, v30
	v_lshl_add_u32 v30, v48, 23, v30
	s_delay_alu instid0(VALU_DEP_1) | instskip(NEXT) | instid1(VALU_DEP_1)
	v_lshl_or_b32 v30, v100, 21, v30
                                        ; implicit-def: $vgpr100
	v_add_nc_u32_e32 v48, 0x38000000, v30
                                        ; implicit-def: $vgpr30
.LBB2_345:                              ;   in Loop: Header=BB2_129 Depth=2
	s_and_not1_saveexec_b32 s27, s27
; %bb.346:                              ;   in Loop: Header=BB2_129 Depth=2
	v_bfe_i32 v30, v30, 0, 8
	s_delay_alu instid0(VALU_DEP_1) | instskip(NEXT) | instid1(VALU_DEP_1)
	v_cmp_lt_i16_e64 s10, -1, v30
	v_cndmask_b32_e64 v30, 0xff800000, v62, s10
	v_cmp_eq_u32_e64 s10, 0, v100
	s_delay_alu instid0(VALU_DEP_1)
	v_cndmask_b32_e64 v48, 0x7f800001, v30, s10
; %bb.347:                              ;   in Loop: Header=BB2_129 Depth=2
	s_or_b32 exec_lo, exec_lo, s27
.LBB2_348:                              ;   in Loop: Header=BB2_129 Depth=2
	s_delay_alu instid0(SALU_CYCLE_1)
	s_or_b32 exec_lo, exec_lo, s26
.LBB2_349:                              ;   in Loop: Header=BB2_129 Depth=2
	s_delay_alu instid0(SALU_CYCLE_1) | instskip(SKIP_3) | instid1(VALU_DEP_1)
	s_or_b32 exec_lo, exec_lo, s11
	v_lshrrev_b32_e32 v30, 16, v11
	s_mov_b32 s26, 0
	s_mov_b32 s11, exec_lo
	v_and_b32_e32 v101, 0xff, v30
	s_delay_alu instid0(VALU_DEP_1)
	v_cmpx_lt_i16_e32 0x7f, v101
	s_xor_b32 s11, exec_lo, s11
	s_cbranch_execz .LBB2_690
; %bb.350:                              ;   in Loop: Header=BB2_129 Depth=2
	s_mov_b32 s26, -1
	s_mov_b32 s27, exec_lo
	v_cmpx_eq_u16_e32 0x80, v101
; %bb.351:                              ;   in Loop: Header=BB2_129 Depth=2
	s_xor_b32 s26, exec_lo, -1
; %bb.352:                              ;   in Loop: Header=BB2_129 Depth=2
	s_or_b32 exec_lo, exec_lo, s27
	s_delay_alu instid0(SALU_CYCLE_1)
	s_and_b32 s26, s26, exec_lo
                                        ; implicit-def: $vgpr101
	s_or_saveexec_b32 s11, s11
	v_bfrev_b32_e32 v100, 1
	s_xor_b32 exec_lo, exec_lo, s11
	s_cbranch_execnz .LBB2_691
.LBB2_353:                              ;   in Loop: Header=BB2_129 Depth=2
	s_or_b32 exec_lo, exec_lo, s11
	s_and_saveexec_b32 s11, s26
	s_cbranch_execz .LBB2_355
.LBB2_354:                              ;   in Loop: Header=BB2_129 Depth=2
	v_and_b32_e32 v102, 3, v30
	v_bfe_u32 v40, v11, 18, 5
	s_delay_alu instid0(VALU_DEP_2) | instskip(NEXT) | instid1(VALU_DEP_2)
	v_clz_i32_u32_e32 v100, v102
	v_cmp_eq_u32_e64 s10, 0, v40
	s_delay_alu instid0(VALU_DEP_2) | instskip(NEXT) | instid1(VALU_DEP_1)
	v_min_u32_e32 v103, 32, v100
	v_subrev_nc_u32_e32 v100, 29, v103
	s_delay_alu instid0(VALU_DEP_1) | instskip(SKIP_2) | instid1(VALU_DEP_2)
	v_lshlrev_b64_e32 v[100:101], v100, v[30:31]
	v_dual_lshlrev_b32 v101, 24, v30 :: v_dual_sub_nc_u32 v103, 30, v103
	v_bfe_i32 v30, v30, 0, 8
	v_and_b32_e32 v101, 0x80000000, v101
	s_delay_alu instid0(VALU_DEP_3) | instskip(NEXT) | instid1(VALU_DEP_1)
	v_dual_cndmask_b32 v103, v40, v103, s10 :: v_dual_bitop2_b32 v100, 3, v100 bitop3:0x40
	v_cndmask_b32_e64 v100, v102, v100, s10
	s_delay_alu instid0(VALU_DEP_2) | instskip(SKIP_1) | instid1(VALU_DEP_2)
	v_lshl_add_u32 v101, v103, 23, v101
	v_cmp_lt_i16_e64 s10, -1, v30
	v_lshl_or_b32 v100, v100, 21, v101
	s_delay_alu instid0(VALU_DEP_2) | instskip(SKIP_2) | instid1(VALU_DEP_4)
	v_cndmask_b32_e64 v30, 0xff800000, v62, s10
	v_and_b32_e32 v101, 0x7c0000, v11
	v_cmp_eq_u32_e64 s10, 0, v102
	v_add_nc_u32_e32 v100, 0x38000000, v100
	s_delay_alu instid0(VALU_DEP_2) | instskip(NEXT) | instid1(VALU_DEP_4)
	v_cndmask_b32_e64 v30, 0x7f800001, v30, s10
	v_cmp_eq_u32_e64 s10, 0x7c0000, v101
	s_delay_alu instid0(VALU_DEP_1)
	v_cndmask_b32_e64 v100, v100, v30, s10
.LBB2_355:                              ;   in Loop: Header=BB2_129 Depth=2
	s_or_b32 exec_lo, exec_lo, s11
	s_delay_alu instid0(VALU_DEP_1) | instskip(NEXT) | instid1(VALU_DEP_1)
	v_dual_mul_f32 v100, v48, v100 :: v_dual_mov_b32 v103, v49
	v_and_b32_e32 v102, 0x7f800000, v100
	v_and_b32_e32 v48, 0x7fffff, v100
	v_lshrrev_b32_e32 v30, 24, v100
	s_delay_alu instid0(VALU_DEP_3) | instskip(SKIP_1) | instid1(SALU_CYCLE_1)
	v_cmp_ne_u64_e64 s10, 0x7f800000, v[102:103]
                                        ; implicit-def: $vgpr102
	s_and_saveexec_b32 s11, s10
	s_xor_b32 s26, exec_lo, s11
	s_cbranch_execz .LBB2_369
; %bb.356:                              ;   in Loop: Header=BB2_129 Depth=2
	v_and_b32_e32 v102, 0x7fffffff, v100
	v_mov_b32_e32 v103, v49
	v_and_b32_e32 v30, 0x80, v30
	s_delay_alu instid0(VALU_DEP_2) | instskip(SKIP_1) | instid1(SALU_CYCLE_1)
	v_cmp_gt_u64_e64 s10, 0x47600001, v[102:103]
                                        ; implicit-def: $vgpr102
	s_and_saveexec_b32 s11, s10
	s_xor_b32 s27, exec_lo, s11
	s_cbranch_execz .LBB2_366
; %bb.357:                              ;   in Loop: Header=BB2_129 Depth=2
	v_mov_b32_e32 v102, 0
	s_mov_b32 s28, exec_lo
	v_cmpx_ne_u32_e32 0, v100
	s_cbranch_execz .LBB2_365
; %bb.358:                              ;   in Loop: Header=BB2_129 Depth=2
	v_bfe_u32 v40, v100, 23, 8
	v_or_b32_e32 v102, 0x800000, v48
	s_delay_alu instid0(VALU_DEP_2) | instskip(SKIP_1) | instid1(VALU_DEP_1)
	v_sub_nc_u32_e32 v100, 0x71, v40
	v_cmp_gt_u32_e64 s10, 0x72, v40
	v_cndmask_b32_e64 v100, 0, v100, s10
	v_cmp_eq_u32_e64 s10, 0, v40
	s_delay_alu instid0(VALU_DEP_1) | instskip(NEXT) | instid1(VALU_DEP_1)
	v_cndmask_b32_e64 v41, v100, 0x70, s10
	v_dual_cndmask_b32 v48, v102, v48, s10 :: v_dual_add_nc_u32 v100, 21, v41
	v_add_nc_u32_e32 v103, 20, v41
	s_delay_alu instid0(VALU_DEP_2) | instskip(NEXT) | instid1(VALU_DEP_2)
	v_lshlrev_b64_e64 v[100:101], v100, -1
	v_lshlrev_b64_e64 v[102:103], v103, 1
	s_delay_alu instid0(VALU_DEP_2) | instskip(NEXT) | instid1(VALU_DEP_3)
	v_bfi_b32 v43, v101, 0, 0
	v_bfi_b32 v42, v100, 0, v48
	v_lshrrev_b64 v[100:101], v41, v[48:49]
	s_delay_alu instid0(VALU_DEP_2) | instskip(NEXT) | instid1(VALU_DEP_2)
	v_cmp_eq_u64_e64 s11, v[42:43], v[102:103]
	v_mov_b64_e32 v[102:103], v[100:101]
	s_and_saveexec_b32 s29, s11
; %bb.359:                              ;   in Loop: Header=BB2_129 Depth=2
	v_bfe_u32 v48, v100, 21, 1
	s_delay_alu instid0(VALU_DEP_1) | instskip(NEXT) | instid1(VALU_DEP_1)
	v_add_nc_u64_e32 v[102:103], v[100:101], v[48:49]
	v_add_nc_u64_e32 v[102:103], -1, v[102:103]
; %bb.360:                              ;   in Loop: Header=BB2_129 Depth=2
	s_or_b32 exec_lo, exec_lo, s29
	v_add_nc_u32_e32 v48, 0xffffff81, v40
	v_lshrrev_b32_e32 v101, 23, v100
	s_mov_b32 s11, exec_lo
	s_delay_alu instid0(VALU_DEP_2) | instskip(NEXT) | instid1(VALU_DEP_1)
	v_cndmask_b32_e64 v48, v48, 0xffffff82, s10
	v_add3_u32 v103, v41, v48, v101
	v_and_b32_e32 v48, 0x1fffff, v102
                                        ; implicit-def: $vgpr102
	s_delay_alu instid0(VALU_DEP_1) | instskip(NEXT) | instid1(VALU_DEP_1)
	v_dual_add_nc_u32 v40, 14, v103 :: v_dual_add_nc_u32 v48, v48, v100
                                        ; implicit-def: $vgpr100_vgpr101
	v_cmpx_ne_u32_e32 0, v40
	s_xor_b32 s11, exec_lo, s11
; %bb.361:                              ;   in Loop: Header=BB2_129 Depth=2
	s_delay_alu instid0(VALU_DEP_2) | instskip(SKIP_1) | instid1(VALU_DEP_1)
	v_cmp_lt_u64_e64 s10, 0xffffff, v[48:49]
	v_add_nc_u32_e32 v100, 15, v103
	v_cndmask_b32_e64 v102, v40, v100, s10
	v_cndmask_b32_e64 v100, 0, 1, s10
	s_delay_alu instid0(VALU_DEP_1)
	v_lshrrev_b64 v[100:101], v100, v[48:49]
; %bb.362:                              ;   in Loop: Header=BB2_129 Depth=2
	s_and_not1_saveexec_b32 s10, s11
; %bb.363:                              ;   in Loop: Header=BB2_129 Depth=2
	v_mov_b64_e32 v[100:101], v[48:49]
	v_bfe_u32 v102, v48, 23, 1
; %bb.364:                              ;   in Loop: Header=BB2_129 Depth=2
	s_or_b32 exec_lo, exec_lo, s10
	s_delay_alu instid0(VALU_DEP_2) | instskip(NEXT) | instid1(VALU_DEP_2)
	v_lshrrev_b64 v[100:101], 21, v[100:101]
	v_cmp_gt_i32_e64 s10, 32, v102
	v_min_i32_e32 v48, 31, v102
	v_cmp_eq_u32_e64 s11, 0, v102
	s_delay_alu instid0(VALU_DEP_2) | instskip(SKIP_1) | instid1(VALU_DEP_2)
	v_dual_cndmask_b32 v101, 0, v101, s10 :: v_dual_lshlrev_b32 v48, 2, v48
	v_cndmask_b32_e64 v100, 3, v100, s10
	v_and_b32_e32 v48, 0xfc, v48
	s_delay_alu instid0(VALU_DEP_2) | instskip(NEXT) | instid1(VALU_DEP_2)
	v_cmp_eq_u64_e64 s10, 0, v[100:101]
	v_and_or_b32 v48, v100, 3, v48
	s_and_b32 s10, s11, s10
	s_delay_alu instid0(VALU_DEP_1) | instid1(SALU_CYCLE_1)
	v_cndmask_b32_e64 v48, v48, 0, s10
	s_delay_alu instid0(VALU_DEP_1)
	v_or_b32_e32 v102, v48, v30
.LBB2_365:                              ;   in Loop: Header=BB2_129 Depth=2
	s_or_b32 exec_lo, exec_lo, s28
                                        ; implicit-def: $vgpr30
.LBB2_366:                              ;   in Loop: Header=BB2_129 Depth=2
	s_and_not1_saveexec_b32 s10, s27
; %bb.367:                              ;   in Loop: Header=BB2_129 Depth=2
	v_or_b32_e32 v102, 0x7b, v30
; %bb.368:                              ;   in Loop: Header=BB2_129 Depth=2
	s_or_b32 exec_lo, exec_lo, s10
                                        ; implicit-def: $vgpr100
                                        ; implicit-def: $vgpr30
.LBB2_369:                              ;   in Loop: Header=BB2_129 Depth=2
	s_and_not1_saveexec_b32 s11, s26
	s_cbranch_execz .LBB2_375
; %bb.370:                              ;   in Loop: Header=BB2_129 Depth=2
	v_cmp_ne_u64_e64 s10, 0, v[48:49]
                                        ; implicit-def: $vgpr102
	s_and_saveexec_b32 s26, s10
	s_delay_alu instid0(SALU_CYCLE_1)
	s_xor_b32 s10, exec_lo, s26
; %bb.371:                              ;   in Loop: Header=BB2_129 Depth=2
	v_or_b32_e32 v102, 0x7f, v30
                                        ; implicit-def: $vgpr100
; %bb.372:                              ;   in Loop: Header=BB2_129 Depth=2
	s_and_not1_saveexec_b32 s26, s10
; %bb.373:                              ;   in Loop: Header=BB2_129 Depth=2
	v_cmp_lt_i32_e64 s10, -1, v100
	s_delay_alu instid0(VALU_DEP_1)
	v_cndmask_b32_e64 v102, 0xfc, v63, s10
; %bb.374:                              ;   in Loop: Header=BB2_129 Depth=2
	s_or_b32 exec_lo, exec_lo, s26
.LBB2_375:                              ;   in Loop: Header=BB2_129 Depth=2
	s_delay_alu instid0(SALU_CYCLE_1)
	s_or_b32 exec_lo, exec_lo, s11
	v_mov_b32_e32 v48, 0
	s_mov_b32 s11, exec_lo
	v_cmpx_lt_u64_e64 s[12:13], v[14:15]
	s_cbranch_execz .LBB2_385
; %bb.376:                              ;   in Loop: Header=BB2_129 Depth=2
	v_lshrrev_b32_e32 v30, 24, v15
	v_bfrev_b32_e32 v48, 1
	s_mov_b32 s26, exec_lo
	s_delay_alu instid0(VALU_DEP_2)
	v_cmpx_ne_u32_e32 0x80, v30
	s_cbranch_execz .LBB2_384
; %bb.377:                              ;   in Loop: Header=BB2_129 Depth=2
	v_and_b32_e32 v48, 0x7c000000, v15
	v_bfe_u32 v100, v15, 24, 2
	s_delay_alu instid0(VALU_DEP_2) | instskip(SKIP_1) | instid1(SALU_CYCLE_1)
	v_cmp_ne_u32_e64 s10, 0x7c000000, v48
                                        ; implicit-def: $vgpr48
	s_and_saveexec_b32 s27, s10
	s_xor_b32 s27, exec_lo, s27
	s_cbranch_execz .LBB2_381
; %bb.378:                              ;   in Loop: Header=BB2_129 Depth=2
	v_bfe_u32 v48, v15, 26, 5
	s_mov_b32 s28, exec_lo
	s_delay_alu instid0(VALU_DEP_1)
	v_cmpx_eq_u32_e32 0, v48
; %bb.379:                              ;   in Loop: Header=BB2_129 Depth=2
	v_clz_i32_u32_e32 v48, v100
	s_delay_alu instid0(VALU_DEP_1) | instskip(NEXT) | instid1(VALU_DEP_1)
	v_min_u32_e32 v48, 32, v48
	v_subrev_nc_u32_e32 v100, 29, v48
	v_sub_nc_u32_e32 v48, 30, v48
	s_delay_alu instid0(VALU_DEP_2) | instskip(NEXT) | instid1(VALU_DEP_1)
	v_lshlrev_b64_e32 v[100:101], v100, v[30:31]
	v_and_b32_e32 v100, 3, v100
; %bb.380:                              ;   in Loop: Header=BB2_129 Depth=2
	s_or_b32 exec_lo, exec_lo, s28
	v_and_b32_e32 v30, 0x80000000, v15
	s_delay_alu instid0(VALU_DEP_1) | instskip(NEXT) | instid1(VALU_DEP_1)
	v_lshl_add_u32 v30, v48, 23, v30
	v_lshl_or_b32 v30, v100, 21, v30
                                        ; implicit-def: $vgpr100
	s_delay_alu instid0(VALU_DEP_1)
	v_add_nc_u32_e32 v48, 0x38000000, v30
.LBB2_381:                              ;   in Loop: Header=BB2_129 Depth=2
	s_and_not1_saveexec_b32 s27, s27
; %bb.382:                              ;   in Loop: Header=BB2_129 Depth=2
	v_cmp_lt_i64_e64 s10, -1, v[14:15]
	s_delay_alu instid0(VALU_DEP_1) | instskip(SKIP_1) | instid1(VALU_DEP_1)
	v_cndmask_b32_e64 v14, 0xff800000, v62, s10
	v_cmp_eq_u32_e64 s10, 0, v100
	v_cndmask_b32_e64 v48, 0x7f800001, v14, s10
; %bb.383:                              ;   in Loop: Header=BB2_129 Depth=2
	s_or_b32 exec_lo, exec_lo, s27
.LBB2_384:                              ;   in Loop: Header=BB2_129 Depth=2
	s_delay_alu instid0(SALU_CYCLE_1)
	s_or_b32 exec_lo, exec_lo, s26
.LBB2_385:                              ;   in Loop: Header=BB2_129 Depth=2
	s_delay_alu instid0(SALU_CYCLE_1) | instskip(SKIP_3) | instid1(VALU_DEP_2)
	s_or_b32 exec_lo, exec_lo, s11
	v_bfe_u32 v15, v11, 24, 2
	v_bfe_u32 v103, v11, 26, 5
	s_mov_b32 s11, exec_lo
	v_clz_i32_u32_e32 v14, v15
	s_delay_alu instid0(VALU_DEP_2) | instskip(NEXT) | instid1(VALU_DEP_2)
	v_cmp_eq_u32_e64 s10, 0, v103
	v_min_u32_e32 v30, 32, v14
	v_lshrrev_b32_e32 v14, 24, v11
	s_delay_alu instid0(VALU_DEP_2) | instskip(SKIP_1) | instid1(VALU_DEP_2)
	v_subrev_nc_u32_e32 v100, 29, v30
	v_sub_nc_u32_e32 v30, 30, v30
	v_lshlrev_b64_e32 v[100:101], v100, v[14:15]
	s_delay_alu instid0(VALU_DEP_2) | instskip(SKIP_1) | instid1(VALU_DEP_3)
	v_cndmask_b32_e64 v30, v103, v30, s10
	v_and_b32_e32 v101, 0x80000000, v11
	v_and_b32_e32 v100, 3, v100
	s_delay_alu instid0(VALU_DEP_2) | instskip(NEXT) | instid1(VALU_DEP_2)
	v_lshl_add_u32 v30, v30, 23, v101
	v_cndmask_b32_e64 v100, v15, v100, s10
	v_cmp_lt_i64_e64 s10, -1, v[10:11]
	s_delay_alu instid0(VALU_DEP_2) | instskip(SKIP_1) | instid1(VALU_DEP_3)
	v_lshl_or_b32 v30, v100, 21, v30
	v_and_b32_e32 v100, 0x7c000000, v11
	v_cndmask_b32_e64 v101, 0xff800000, v62, s10
	v_cmp_eq_u32_e64 s10, 0, v15
	s_delay_alu instid0(VALU_DEP_4) | instskip(NEXT) | instid1(VALU_DEP_2)
	v_add_nc_u32_e32 v30, 0x38000000, v30
	v_cndmask_b32_e64 v15, 0x7f800001, v101, s10
	v_cmp_eq_u32_e64 s10, 0x7c000000, v100
	s_delay_alu instid0(VALU_DEP_1) | instskip(SKIP_1) | instid1(VALU_DEP_1)
	v_cndmask_b32_e64 v15, v30, v15, s10
	v_cmp_ne_u32_e64 s10, 0x80, v14
                                        ; implicit-def: $vgpr30
	v_cndmask_b32_e64 v14, 0x80000000, v15, s10
	v_cmp_lt_u64_e64 s10, s[12:13], v[10:11]
	s_delay_alu instid0(VALU_DEP_1) | instskip(NEXT) | instid1(VALU_DEP_1)
	v_dual_mov_b32 v15, v49 :: v_dual_cndmask_b32 v10, 0, v14, s10
	v_mul_f32_e32 v10, v10, v48
	s_delay_alu instid0(VALU_DEP_1) | instskip(SKIP_2) | instid1(VALU_DEP_3)
	v_and_b32_e32 v14, 0x7f800000, v10
	v_and_b32_e32 v48, 0x7fffff, v10
	v_lshrrev_b32_e32 v11, 24, v10
	v_cmpx_ne_u64_e32 0x7f800000, v[14:15]
	s_xor_b32 s26, exec_lo, s11
	s_cbranch_execz .LBB2_399
; %bb.386:                              ;   in Loop: Header=BB2_129 Depth=2
	v_and_b32_e32 v14, 0x7fffffff, v10
	v_mov_b32_e32 v15, v49
	v_and_b32_e32 v100, 0x80, v11
                                        ; implicit-def: $vgpr30
	s_mov_b32 s11, exec_lo
	s_delay_alu instid0(VALU_DEP_2)
	v_cmpx_gt_u64_e32 0x47600001, v[14:15]
	s_xor_b32 s27, exec_lo, s11
	s_cbranch_execz .LBB2_396
; %bb.387:                              ;   in Loop: Header=BB2_129 Depth=2
	v_mov_b32_e32 v30, 0
	s_mov_b32 s28, exec_lo
	v_cmpx_ne_u32_e32 0, v10
	s_cbranch_execz .LBB2_395
; %bb.388:                              ;   in Loop: Header=BB2_129 Depth=2
	v_bfe_u32 v30, v10, 23, 8
	v_or_b32_e32 v14, 0x800000, v48
	s_delay_alu instid0(VALU_DEP_2) | instskip(SKIP_1) | instid1(VALU_DEP_1)
	v_sub_nc_u32_e32 v10, 0x71, v30
	v_cmp_gt_u32_e64 s10, 0x72, v30
	v_cndmask_b32_e64 v10, 0, v10, s10
	v_cmp_eq_u32_e64 s10, 0, v30
	s_delay_alu instid0(VALU_DEP_1) | instskip(NEXT) | instid1(VALU_DEP_1)
	v_cndmask_b32_e64 v101, v10, 0x70, s10
	v_dual_cndmask_b32 v48, v14, v48, s10 :: v_dual_add_nc_u32 v10, 21, v101
	v_add_nc_u32_e32 v15, 20, v101
	s_delay_alu instid0(VALU_DEP_2) | instskip(NEXT) | instid1(VALU_DEP_2)
	v_lshlrev_b64_e64 v[10:11], v10, -1
	v_lshlrev_b64_e64 v[14:15], v15, 1
	s_delay_alu instid0(VALU_DEP_2) | instskip(NEXT) | instid1(VALU_DEP_3)
	v_bfi_b32 v41, v11, 0, 0
	v_bfi_b32 v40, v10, 0, v48
	v_lshrrev_b64 v[10:11], v101, v[48:49]
	s_delay_alu instid0(VALU_DEP_2) | instskip(NEXT) | instid1(VALU_DEP_2)
	v_cmp_eq_u64_e64 s11, v[40:41], v[14:15]
	v_mov_b64_e32 v[14:15], v[10:11]
	s_and_saveexec_b32 s29, s11
; %bb.389:                              ;   in Loop: Header=BB2_129 Depth=2
	v_bfe_u32 v48, v10, 21, 1
	s_delay_alu instid0(VALU_DEP_1) | instskip(NEXT) | instid1(VALU_DEP_1)
	v_add_nc_u64_e32 v[14:15], v[10:11], v[48:49]
	v_add_nc_u64_e32 v[14:15], -1, v[14:15]
; %bb.390:                              ;   in Loop: Header=BB2_129 Depth=2
	s_or_b32 exec_lo, exec_lo, s29
	v_add_nc_u32_e32 v11, 0xffffff81, v30
	v_lshrrev_b32_e32 v15, 23, v10
	s_mov_b32 s11, exec_lo
	s_delay_alu instid0(VALU_DEP_2) | instskip(NEXT) | instid1(VALU_DEP_1)
	v_cndmask_b32_e64 v11, v11, 0xffffff82, s10
	v_add3_u32 v15, v101, v11, v15
	v_and_b32_e32 v11, 0x1fffff, v14
                                        ; implicit-def: $vgpr14
	s_delay_alu instid0(VALU_DEP_1) | instskip(NEXT) | instid1(VALU_DEP_1)
	v_dual_add_nc_u32 v30, 14, v15 :: v_dual_add_nc_u32 v48, v11, v10
                                        ; implicit-def: $vgpr10_vgpr11
	v_cmpx_ne_u32_e32 0, v30
	s_xor_b32 s11, exec_lo, s11
; %bb.391:                              ;   in Loop: Header=BB2_129 Depth=2
	s_delay_alu instid0(VALU_DEP_2) | instskip(SKIP_1) | instid1(VALU_DEP_1)
	v_cmp_lt_u64_e64 s10, 0xffffff, v[48:49]
	v_add_nc_u32_e32 v10, 15, v15
	v_cndmask_b32_e64 v14, v30, v10, s10
	v_cndmask_b32_e64 v10, 0, 1, s10
	s_delay_alu instid0(VALU_DEP_1)
	v_lshrrev_b64 v[10:11], v10, v[48:49]
; %bb.392:                              ;   in Loop: Header=BB2_129 Depth=2
	s_and_not1_saveexec_b32 s10, s11
; %bb.393:                              ;   in Loop: Header=BB2_129 Depth=2
	v_mov_b64_e32 v[10:11], v[48:49]
	v_bfe_u32 v14, v48, 23, 1
; %bb.394:                              ;   in Loop: Header=BB2_129 Depth=2
	s_or_b32 exec_lo, exec_lo, s10
	s_delay_alu instid0(VALU_DEP_2) | instskip(NEXT) | instid1(VALU_DEP_2)
	v_lshrrev_b64 v[10:11], 21, v[10:11]
	v_cmp_gt_i32_e64 s10, 32, v14
	v_min_i32_e32 v15, 31, v14
	v_cmp_eq_u32_e64 s11, 0, v14
	s_delay_alu instid0(VALU_DEP_3) | instskip(NEXT) | instid1(VALU_DEP_3)
	v_cndmask_b32_e64 v11, 0, v11, s10
	v_dual_lshlrev_b32 v15, 2, v15 :: v_dual_cndmask_b32 v10, 3, v10, s10
	s_delay_alu instid0(VALU_DEP_1) | instskip(NEXT) | instid1(VALU_DEP_2)
	v_and_b32_e32 v15, 0xfc, v15
	v_cmp_eq_u64_e64 s10, 0, v[10:11]
	s_delay_alu instid0(VALU_DEP_2)
	v_and_or_b32 v10, v10, 3, v15
	s_and_b32 s10, s11, s10
	s_delay_alu instid0(VALU_DEP_1) | instid1(SALU_CYCLE_1)
	v_cndmask_b32_e64 v10, v10, 0, s10
	s_delay_alu instid0(VALU_DEP_1)
	v_or_b32_e32 v30, v10, v100
.LBB2_395:                              ;   in Loop: Header=BB2_129 Depth=2
	s_or_b32 exec_lo, exec_lo, s28
                                        ; implicit-def: $vgpr100
.LBB2_396:                              ;   in Loop: Header=BB2_129 Depth=2
	s_and_not1_saveexec_b32 s10, s27
; %bb.397:                              ;   in Loop: Header=BB2_129 Depth=2
	v_or_b32_e32 v30, 0x7b, v100
; %bb.398:                              ;   in Loop: Header=BB2_129 Depth=2
	s_or_b32 exec_lo, exec_lo, s10
                                        ; implicit-def: $vgpr10
                                        ; implicit-def: $vgpr11
.LBB2_399:                              ;   in Loop: Header=BB2_129 Depth=2
	s_and_not1_saveexec_b32 s11, s26
	s_cbranch_execz .LBB2_405
; %bb.400:                              ;   in Loop: Header=BB2_129 Depth=2
	v_cmp_ne_u64_e64 s10, 0, v[48:49]
                                        ; implicit-def: $vgpr30
	s_and_saveexec_b32 s26, s10
	s_delay_alu instid0(SALU_CYCLE_1)
	s_xor_b32 s10, exec_lo, s26
; %bb.401:                              ;   in Loop: Header=BB2_129 Depth=2
	v_or_b32_e32 v30, 0x7f, v11
                                        ; implicit-def: $vgpr10
; %bb.402:                              ;   in Loop: Header=BB2_129 Depth=2
	s_and_not1_saveexec_b32 s26, s10
; %bb.403:                              ;   in Loop: Header=BB2_129 Depth=2
	v_cmp_lt_i32_e64 s10, -1, v10
	s_delay_alu instid0(VALU_DEP_1)
	v_cndmask_b32_e64 v30, 0xfc, v63, s10
; %bb.404:                              ;   in Loop: Header=BB2_129 Depth=2
	s_or_b32 exec_lo, exec_lo, s26
.LBB2_405:                              ;   in Loop: Header=BB2_129 Depth=2
	s_delay_alu instid0(SALU_CYCLE_1) | instskip(SKIP_1) | instid1(VALU_DEP_1)
	s_or_b32 exec_lo, exec_lo, s11
	v_and_b32_e32 v10, 0xff, v16
	v_cmp_ne_u16_e64 s10, 0, v10
	v_mov_b32_e32 v10, 0
	s_and_saveexec_b32 s11, s10
	s_cbranch_execz .LBB2_415
; %bb.406:                              ;   in Loop: Header=BB2_129 Depth=2
	v_bfe_i32 v14, v16, 0, 8
	v_bfrev_b32_e32 v10, 1
	s_mov_b32 s26, exec_lo
	s_delay_alu instid0(VALU_DEP_2)
	v_cmpx_ne_u16_e32 0xff80, v14
	s_cbranch_execz .LBB2_414
; %bb.407:                              ;   in Loop: Header=BB2_129 Depth=2
	v_and_b32_e32 v10, 0x7c, v16
	v_and_b32_e32 v11, 3, v16
	s_delay_alu instid0(VALU_DEP_2) | instskip(SKIP_1) | instid1(SALU_CYCLE_1)
	v_cmp_ne_u32_e64 s10, 0x7c, v10
                                        ; implicit-def: $vgpr10
	s_and_saveexec_b32 s27, s10
	s_xor_b32 s27, exec_lo, s27
	s_cbranch_execz .LBB2_411
; %bb.408:                              ;   in Loop: Header=BB2_129 Depth=2
	v_bfe_u32 v10, v16, 2, 5
	s_mov_b32 s28, exec_lo
	s_delay_alu instid0(VALU_DEP_1)
	v_cmpx_eq_u32_e32 0, v10
; %bb.409:                              ;   in Loop: Header=BB2_129 Depth=2
	v_clz_i32_u32_e32 v10, v11
	s_delay_alu instid0(VALU_DEP_1) | instskip(NEXT) | instid1(VALU_DEP_1)
	v_min_u32_e32 v10, 32, v10
	v_subrev_nc_u32_e32 v11, 29, v10
	v_sub_nc_u32_e32 v10, 30, v10
	s_delay_alu instid0(VALU_DEP_2) | instskip(NEXT) | instid1(VALU_DEP_1)
	v_lshlrev_b64_e32 v[14:15], v11, v[16:17]
	v_and_b32_e32 v11, 3, v14
; %bb.410:                              ;   in Loop: Header=BB2_129 Depth=2
	s_or_b32 exec_lo, exec_lo, s28
	v_lshlrev_b32_e32 v14, 24, v16
	s_delay_alu instid0(VALU_DEP_1) | instskip(NEXT) | instid1(VALU_DEP_1)
	v_and_b32_e32 v14, 0x80000000, v14
	v_lshl_add_u32 v10, v10, 23, v14
                                        ; implicit-def: $vgpr14
	s_delay_alu instid0(VALU_DEP_1) | instskip(NEXT) | instid1(VALU_DEP_1)
	v_lshl_or_b32 v10, v11, 21, v10
                                        ; implicit-def: $vgpr11
	v_add_nc_u32_e32 v10, 0x38000000, v10
.LBB2_411:                              ;   in Loop: Header=BB2_129 Depth=2
	s_and_not1_saveexec_b32 s27, s27
; %bb.412:                              ;   in Loop: Header=BB2_129 Depth=2
	v_cmp_lt_i16_e64 s10, -1, v14
	s_delay_alu instid0(VALU_DEP_1) | instskip(SKIP_1) | instid1(VALU_DEP_1)
	v_cndmask_b32_e64 v10, 0xff800000, v62, s10
	v_cmp_eq_u32_e64 s10, 0, v11
	v_cndmask_b32_e64 v10, 0x7f800001, v10, s10
; %bb.413:                              ;   in Loop: Header=BB2_129 Depth=2
	s_or_b32 exec_lo, exec_lo, s27
.LBB2_414:                              ;   in Loop: Header=BB2_129 Depth=2
	s_delay_alu instid0(SALU_CYCLE_1)
	s_or_b32 exec_lo, exec_lo, s26
.LBB2_415:                              ;   in Loop: Header=BB2_129 Depth=2
	s_delay_alu instid0(SALU_CYCLE_1) | instskip(SKIP_3) | instid1(VALU_DEP_1)
	s_or_b32 exec_lo, exec_lo, s11
	v_and_b32_e32 v14, 0xff, v12
	s_mov_b32 s26, 0
	s_mov_b32 s11, exec_lo
	v_cmpx_lt_i16_e32 0x7f, v14
	s_xor_b32 s11, exec_lo, s11
	s_cbranch_execz .LBB2_692
; %bb.416:                              ;   in Loop: Header=BB2_129 Depth=2
	s_mov_b32 s26, -1
	s_mov_b32 s27, exec_lo
	v_cmpx_eq_u16_e32 0x80, v14
; %bb.417:                              ;   in Loop: Header=BB2_129 Depth=2
	s_xor_b32 s26, exec_lo, -1
; %bb.418:                              ;   in Loop: Header=BB2_129 Depth=2
	s_or_b32 exec_lo, exec_lo, s27
	s_delay_alu instid0(SALU_CYCLE_1)
	s_and_b32 s26, s26, exec_lo
                                        ; implicit-def: $vgpr14
	s_or_saveexec_b32 s11, s11
	v_bfrev_b32_e32 v11, 1
	s_xor_b32 exec_lo, exec_lo, s11
	s_cbranch_execnz .LBB2_693
.LBB2_419:                              ;   in Loop: Header=BB2_129 Depth=2
	s_or_b32 exec_lo, exec_lo, s11
	s_and_saveexec_b32 s11, s26
	s_cbranch_execz .LBB2_421
.LBB2_420:                              ;   in Loop: Header=BB2_129 Depth=2
	v_and_b32_e32 v11, 3, v12
	v_bfe_u32 v100, v12, 2, 5
	s_delay_alu instid0(VALU_DEP_2) | instskip(NEXT) | instid1(VALU_DEP_2)
	v_clz_i32_u32_e32 v14, v11
	v_cmp_eq_u32_e64 s10, 0, v100
	s_delay_alu instid0(VALU_DEP_2) | instskip(NEXT) | instid1(VALU_DEP_1)
	v_min_u32_e32 v48, 32, v14
	v_subrev_nc_u32_e32 v14, 29, v48
	s_delay_alu instid0(VALU_DEP_1) | instskip(SKIP_2) | instid1(VALU_DEP_2)
	v_lshlrev_b64_e32 v[14:15], v14, v[12:13]
	v_lshlrev_b32_e32 v15, 24, v12
	v_sub_nc_u32_e32 v48, 30, v48
	v_and_b32_e32 v15, 0x80000000, v15
	s_delay_alu instid0(VALU_DEP_2) | instskip(SKIP_1) | instid1(VALU_DEP_2)
	v_dual_cndmask_b32 v48, v100, v48, s10 :: v_dual_bitop2_b32 v14, 3, v14 bitop3:0x40
	v_bfe_i32 v100, v12, 0, 8
	v_cndmask_b32_e64 v14, v11, v14, s10
	s_delay_alu instid0(VALU_DEP_3) | instskip(NEXT) | instid1(VALU_DEP_3)
	v_lshl_add_u32 v15, v48, 23, v15
	v_cmp_lt_i16_e64 s10, -1, v100
	s_delay_alu instid0(VALU_DEP_2) | instskip(NEXT) | instid1(VALU_DEP_2)
	v_lshl_or_b32 v14, v14, 21, v15
	v_cndmask_b32_e64 v48, 0xff800000, v62, s10
	v_and_b32_e32 v15, 0x7c, v12
	v_cmp_eq_u32_e64 s10, 0, v11
	s_delay_alu instid0(VALU_DEP_4) | instskip(NEXT) | instid1(VALU_DEP_2)
	v_add_nc_u32_e32 v14, 0x38000000, v14
	v_cndmask_b32_e64 v11, 0x7f800001, v48, s10
	s_delay_alu instid0(VALU_DEP_4) | instskip(NEXT) | instid1(VALU_DEP_1)
	v_cmp_eq_u32_e64 s10, 0x7c, v15
	v_cndmask_b32_e64 v11, v14, v11, s10
.LBB2_421:                              ;   in Loop: Header=BB2_129 Depth=2
	s_or_b32 exec_lo, exec_lo, s11
	s_delay_alu instid0(VALU_DEP_1) | instskip(SKIP_1) | instid1(VALU_DEP_1)
	v_dual_mul_f32 v10, v10, v11 :: v_dual_mov_b32 v15, v49
                                        ; implicit-def: $vgpr103
	s_mov_b32 s11, exec_lo
	v_and_b32_e32 v14, 0x7f800000, v10
	v_and_b32_e32 v48, 0x7fffff, v10
	v_lshrrev_b32_e32 v11, 24, v10
	s_delay_alu instid0(VALU_DEP_3)
	v_cmpx_ne_u64_e32 0x7f800000, v[14:15]
	s_xor_b32 s26, exec_lo, s11
	s_cbranch_execz .LBB2_435
; %bb.422:                              ;   in Loop: Header=BB2_129 Depth=2
	v_and_b32_e32 v14, 0x7fffffff, v10
	v_mov_b32_e32 v15, v49
	v_and_b32_e32 v100, 0x80, v11
                                        ; implicit-def: $vgpr103
	s_mov_b32 s11, exec_lo
	s_delay_alu instid0(VALU_DEP_2)
	v_cmpx_gt_u64_e32 0x47600001, v[14:15]
	s_xor_b32 s27, exec_lo, s11
	s_cbranch_execz .LBB2_432
; %bb.423:                              ;   in Loop: Header=BB2_129 Depth=2
	v_mov_b32_e32 v103, 0
	s_mov_b32 s28, exec_lo
	v_cmpx_ne_u32_e32 0, v10
	s_cbranch_execz .LBB2_431
; %bb.424:                              ;   in Loop: Header=BB2_129 Depth=2
	v_bfe_u32 v101, v10, 23, 8
	v_or_b32_e32 v14, 0x800000, v48
	s_delay_alu instid0(VALU_DEP_2) | instskip(SKIP_1) | instid1(VALU_DEP_1)
	v_sub_nc_u32_e32 v10, 0x71, v101
	v_cmp_gt_u32_e64 s10, 0x72, v101
	v_cndmask_b32_e64 v10, 0, v10, s10
	v_cmp_eq_u32_e64 s10, 0, v101
	s_delay_alu instid0(VALU_DEP_1) | instskip(NEXT) | instid1(VALU_DEP_1)
	v_cndmask_b32_e64 v103, v10, 0x70, s10
	v_dual_cndmask_b32 v48, v14, v48, s10 :: v_dual_add_nc_u32 v10, 21, v103
	v_add_nc_u32_e32 v15, 20, v103
	s_delay_alu instid0(VALU_DEP_2) | instskip(NEXT) | instid1(VALU_DEP_2)
	v_lshlrev_b64_e64 v[10:11], v10, -1
	v_lshlrev_b64_e64 v[14:15], v15, 1
	s_delay_alu instid0(VALU_DEP_2) | instskip(NEXT) | instid1(VALU_DEP_3)
	v_bfi_b32 v41, v11, 0, 0
	v_bfi_b32 v40, v10, 0, v48
	v_lshrrev_b64 v[10:11], v103, v[48:49]
	s_delay_alu instid0(VALU_DEP_2) | instskip(NEXT) | instid1(VALU_DEP_2)
	v_cmp_eq_u64_e64 s11, v[40:41], v[14:15]
	v_mov_b64_e32 v[14:15], v[10:11]
	s_and_saveexec_b32 s29, s11
; %bb.425:                              ;   in Loop: Header=BB2_129 Depth=2
	v_bfe_u32 v48, v10, 21, 1
	s_delay_alu instid0(VALU_DEP_1) | instskip(NEXT) | instid1(VALU_DEP_1)
	v_add_nc_u64_e32 v[14:15], v[10:11], v[48:49]
	v_add_nc_u64_e32 v[14:15], -1, v[14:15]
; %bb.426:                              ;   in Loop: Header=BB2_129 Depth=2
	s_or_b32 exec_lo, exec_lo, s29
	v_add_nc_u32_e32 v11, 0xffffff81, v101
	v_lshrrev_b32_e32 v15, 23, v10
	s_mov_b32 s11, exec_lo
	s_delay_alu instid0(VALU_DEP_2) | instskip(NEXT) | instid1(VALU_DEP_1)
	v_cndmask_b32_e64 v11, v11, 0xffffff82, s10
	v_add3_u32 v15, v103, v11, v15
	v_and_b32_e32 v11, 0x1fffff, v14
                                        ; implicit-def: $vgpr14
	s_delay_alu instid0(VALU_DEP_1) | instskip(NEXT) | instid1(VALU_DEP_1)
	v_dual_add_nc_u32 v101, 14, v15 :: v_dual_add_nc_u32 v48, v11, v10
                                        ; implicit-def: $vgpr10_vgpr11
	v_cmpx_ne_u32_e32 0, v101
	s_xor_b32 s11, exec_lo, s11
; %bb.427:                              ;   in Loop: Header=BB2_129 Depth=2
	s_delay_alu instid0(VALU_DEP_2) | instskip(SKIP_1) | instid1(VALU_DEP_1)
	v_cmp_lt_u64_e64 s10, 0xffffff, v[48:49]
	v_add_nc_u32_e32 v10, 15, v15
	v_cndmask_b32_e64 v14, v101, v10, s10
	v_cndmask_b32_e64 v10, 0, 1, s10
	s_delay_alu instid0(VALU_DEP_1)
	v_lshrrev_b64 v[10:11], v10, v[48:49]
; %bb.428:                              ;   in Loop: Header=BB2_129 Depth=2
	s_and_not1_saveexec_b32 s10, s11
; %bb.429:                              ;   in Loop: Header=BB2_129 Depth=2
	v_mov_b64_e32 v[10:11], v[48:49]
	v_bfe_u32 v14, v48, 23, 1
; %bb.430:                              ;   in Loop: Header=BB2_129 Depth=2
	s_or_b32 exec_lo, exec_lo, s10
	s_delay_alu instid0(VALU_DEP_2) | instskip(NEXT) | instid1(VALU_DEP_2)
	v_lshrrev_b64 v[10:11], 21, v[10:11]
	v_cmp_gt_i32_e64 s10, 32, v14
	v_min_i32_e32 v15, 31, v14
	v_cmp_eq_u32_e64 s11, 0, v14
	s_delay_alu instid0(VALU_DEP_3) | instskip(NEXT) | instid1(VALU_DEP_3)
	v_cndmask_b32_e64 v11, 0, v11, s10
	v_dual_lshlrev_b32 v15, 2, v15 :: v_dual_cndmask_b32 v10, 3, v10, s10
	s_delay_alu instid0(VALU_DEP_1) | instskip(NEXT) | instid1(VALU_DEP_2)
	v_and_b32_e32 v15, 0xfc, v15
	v_cmp_eq_u64_e64 s10, 0, v[10:11]
	s_delay_alu instid0(VALU_DEP_2)
	v_and_or_b32 v10, v10, 3, v15
	s_and_b32 s10, s11, s10
	s_delay_alu instid0(VALU_DEP_1) | instid1(SALU_CYCLE_1)
	v_cndmask_b32_e64 v10, v10, 0, s10
	s_delay_alu instid0(VALU_DEP_1)
	v_or_b32_e32 v103, v10, v100
.LBB2_431:                              ;   in Loop: Header=BB2_129 Depth=2
	s_or_b32 exec_lo, exec_lo, s28
                                        ; implicit-def: $vgpr100
.LBB2_432:                              ;   in Loop: Header=BB2_129 Depth=2
	s_and_not1_saveexec_b32 s10, s27
; %bb.433:                              ;   in Loop: Header=BB2_129 Depth=2
	v_or_b32_e32 v103, 0x7b, v100
; %bb.434:                              ;   in Loop: Header=BB2_129 Depth=2
	s_or_b32 exec_lo, exec_lo, s10
                                        ; implicit-def: $vgpr10
                                        ; implicit-def: $vgpr11
.LBB2_435:                              ;   in Loop: Header=BB2_129 Depth=2
	s_and_not1_saveexec_b32 s11, s26
	s_cbranch_execz .LBB2_441
; %bb.436:                              ;   in Loop: Header=BB2_129 Depth=2
	v_cmp_ne_u64_e64 s10, 0, v[48:49]
                                        ; implicit-def: $vgpr103
	s_and_saveexec_b32 s26, s10
	s_delay_alu instid0(SALU_CYCLE_1)
	s_xor_b32 s10, exec_lo, s26
; %bb.437:                              ;   in Loop: Header=BB2_129 Depth=2
	v_or_b32_e32 v103, 0x7f, v11
                                        ; implicit-def: $vgpr10
; %bb.438:                              ;   in Loop: Header=BB2_129 Depth=2
	s_and_not1_saveexec_b32 s26, s10
; %bb.439:                              ;   in Loop: Header=BB2_129 Depth=2
	v_cmp_lt_i32_e64 s10, -1, v10
	s_delay_alu instid0(VALU_DEP_1)
	v_cndmask_b32_e64 v103, 0xfc, v63, s10
; %bb.440:                              ;   in Loop: Header=BB2_129 Depth=2
	s_or_b32 exec_lo, exec_lo, s26
.LBB2_441:                              ;   in Loop: Header=BB2_129 Depth=2
	s_delay_alu instid0(SALU_CYCLE_1) | instskip(SKIP_3) | instid1(VALU_DEP_2)
	s_or_b32 exec_lo, exec_lo, s11
	v_lshrrev_b16 v48, 8, v16
	v_mov_b32_e32 v10, 0
	s_mov_b32 s11, exec_lo
	v_cmpx_ne_u16_e32 0, v48
	s_cbranch_execz .LBB2_451
; %bb.442:                              ;   in Loop: Header=BB2_129 Depth=2
	v_bfrev_b32_e32 v10, 1
	s_mov_b32 s26, exec_lo
	v_cmpx_ne_u16_e32 0x80, v48
	s_cbranch_execz .LBB2_450
; %bb.443:                              ;   in Loop: Header=BB2_129 Depth=2
	v_and_b32_e32 v14, 0xffff, v48
	s_delay_alu instid0(VALU_DEP_1) | instskip(SKIP_1) | instid1(VALU_DEP_2)
	v_and_b32_e32 v10, 0x7c, v14
	v_and_b32_e32 v11, 3, v14
	v_cmp_ne_u32_e64 s10, 0x7c, v10
                                        ; implicit-def: $vgpr10
	s_and_saveexec_b32 s27, s10
	s_delay_alu instid0(SALU_CYCLE_1)
	s_xor_b32 s27, exec_lo, s27
	s_cbranch_execz .LBB2_447
; %bb.444:                              ;   in Loop: Header=BB2_129 Depth=2
	v_bfe_u32 v10, v14, 2, 5
	s_mov_b32 s28, exec_lo
	s_delay_alu instid0(VALU_DEP_1)
	v_cmpx_eq_u32_e32 0, v10
; %bb.445:                              ;   in Loop: Header=BB2_129 Depth=2
	v_clz_i32_u32_e32 v10, v11
	s_delay_alu instid0(VALU_DEP_1) | instskip(NEXT) | instid1(VALU_DEP_1)
	v_min_u32_e32 v10, 32, v10
	v_subrev_nc_u32_e32 v11, 29, v10
	v_sub_nc_u32_e32 v10, 30, v10
	s_delay_alu instid0(VALU_DEP_2) | instskip(NEXT) | instid1(VALU_DEP_1)
	v_lshlrev_b64_e32 v[14:15], v11, v[48:49]
	v_and_b32_e32 v11, 3, v14
; %bb.446:                              ;   in Loop: Header=BB2_129 Depth=2
	s_or_b32 exec_lo, exec_lo, s28
	v_lshlrev_b32_e32 v14, 16, v16
	s_delay_alu instid0(VALU_DEP_1) | instskip(NEXT) | instid1(VALU_DEP_1)
	v_and_b32_e32 v14, 0x80000000, v14
	v_lshl_add_u32 v10, v10, 23, v14
	s_delay_alu instid0(VALU_DEP_1) | instskip(NEXT) | instid1(VALU_DEP_1)
	v_lshl_or_b32 v10, v11, 21, v10
                                        ; implicit-def: $vgpr11
	v_add_nc_u32_e32 v10, 0x38000000, v10
.LBB2_447:                              ;   in Loop: Header=BB2_129 Depth=2
	s_and_not1_saveexec_b32 s27, s27
; %bb.448:                              ;   in Loop: Header=BB2_129 Depth=2
	v_cmp_lt_i16_e64 s10, -1, v16
	s_delay_alu instid0(VALU_DEP_1) | instskip(SKIP_1) | instid1(VALU_DEP_1)
	v_cndmask_b32_e64 v10, 0xff800000, v62, s10
	v_cmp_eq_u32_e64 s10, 0, v11
	v_cndmask_b32_e64 v10, 0x7f800001, v10, s10
; %bb.449:                              ;   in Loop: Header=BB2_129 Depth=2
	s_or_b32 exec_lo, exec_lo, s27
.LBB2_450:                              ;   in Loop: Header=BB2_129 Depth=2
	s_delay_alu instid0(SALU_CYCLE_1)
	s_or_b32 exec_lo, exec_lo, s26
.LBB2_451:                              ;   in Loop: Header=BB2_129 Depth=2
	s_delay_alu instid0(SALU_CYCLE_1) | instskip(SKIP_3) | instid1(VALU_DEP_1)
	s_or_b32 exec_lo, exec_lo, s11
	v_lshrrev_b16 v48, 8, v12
	s_mov_b32 s26, 0
	s_mov_b32 s11, exec_lo
	v_cmpx_lt_i16_e32 0x7f, v48
	s_xor_b32 s11, exec_lo, s11
	s_cbranch_execz .LBB2_694
; %bb.452:                              ;   in Loop: Header=BB2_129 Depth=2
	s_mov_b32 s26, -1
	s_mov_b32 s27, exec_lo
	v_cmpx_eq_u16_e32 0x80, v48
; %bb.453:                              ;   in Loop: Header=BB2_129 Depth=2
	s_xor_b32 s26, exec_lo, -1
; %bb.454:                              ;   in Loop: Header=BB2_129 Depth=2
	s_or_b32 exec_lo, exec_lo, s27
	s_delay_alu instid0(SALU_CYCLE_1)
	s_and_b32 s26, s26, exec_lo
	s_or_saveexec_b32 s11, s11
	v_bfrev_b32_e32 v11, 1
	s_xor_b32 exec_lo, exec_lo, s11
	s_cbranch_execnz .LBB2_695
.LBB2_455:                              ;   in Loop: Header=BB2_129 Depth=2
	s_or_b32 exec_lo, exec_lo, s11
	s_and_saveexec_b32 s11, s26
	s_cbranch_execz .LBB2_457
.LBB2_456:                              ;   in Loop: Header=BB2_129 Depth=2
	v_and_b32_e32 v11, 0xffff, v48
	s_delay_alu instid0(VALU_DEP_1) | instskip(NEXT) | instid1(VALU_DEP_1)
	v_and_b32_e32 v100, 3, v11
	v_clz_i32_u32_e32 v14, v100
	s_delay_alu instid0(VALU_DEP_1) | instskip(NEXT) | instid1(VALU_DEP_1)
	v_min_u32_e32 v101, 32, v14
	v_subrev_nc_u32_e32 v14, 29, v101
	s_delay_alu instid0(VALU_DEP_1) | instskip(SKIP_4) | instid1(VALU_DEP_4)
	v_lshlrev_b64_e32 v[14:15], v14, v[48:49]
	v_lshlrev_b32_e32 v15, 24, v48
	v_bfe_u32 v48, v11, 2, 5
	v_sub_nc_u32_e32 v101, 30, v101
	v_and_b32_e32 v11, 0x7c, v11
	v_and_b32_e32 v15, 0x80000000, v15
	s_delay_alu instid0(VALU_DEP_4) | instskip(NEXT) | instid1(VALU_DEP_1)
	v_cmp_eq_u32_e64 s10, 0, v48
	v_dual_cndmask_b32 v48, v48, v101, s10 :: v_dual_bitop2_b32 v14, 3, v14 bitop3:0x40
	s_delay_alu instid0(VALU_DEP_1) | instskip(SKIP_1) | instid1(VALU_DEP_3)
	v_cndmask_b32_e64 v14, v100, v14, s10
	v_cmp_lt_i16_e64 s10, -1, v12
	v_lshl_add_u32 v15, v48, 23, v15
	s_delay_alu instid0(VALU_DEP_2) | instskip(SKIP_1) | instid1(VALU_DEP_3)
	v_cndmask_b32_e64 v48, 0xff800000, v62, s10
	v_cmp_eq_u32_e64 s10, 0, v100
	v_lshl_or_b32 v14, v14, 21, v15
	s_delay_alu instid0(VALU_DEP_2) | instskip(SKIP_1) | instid1(VALU_DEP_3)
	v_cndmask_b32_e64 v15, 0x7f800001, v48, s10
	v_cmp_eq_u32_e64 s10, 0x7c, v11
	v_add_nc_u32_e32 v14, 0x38000000, v14
	s_delay_alu instid0(VALU_DEP_1)
	v_cndmask_b32_e64 v11, v14, v15, s10
.LBB2_457:                              ;   in Loop: Header=BB2_129 Depth=2
	s_or_b32 exec_lo, exec_lo, s11
	s_delay_alu instid0(VALU_DEP_1) | instskip(SKIP_1) | instid1(VALU_DEP_1)
	v_dual_mul_f32 v10, v10, v11 :: v_dual_mov_b32 v15, v49
                                        ; implicit-def: $vgpr40
	s_mov_b32 s11, exec_lo
	v_and_b32_e32 v14, 0x7f800000, v10
	v_and_b32_e32 v48, 0x7fffff, v10
	v_lshrrev_b32_e32 v11, 24, v10
	s_delay_alu instid0(VALU_DEP_3)
	v_cmpx_ne_u64_e32 0x7f800000, v[14:15]
	s_xor_b32 s26, exec_lo, s11
	s_cbranch_execz .LBB2_471
; %bb.458:                              ;   in Loop: Header=BB2_129 Depth=2
	v_and_b32_e32 v14, 0x7fffffff, v10
	v_mov_b32_e32 v15, v49
	v_and_b32_e32 v100, 0x80, v11
                                        ; implicit-def: $vgpr40
	s_mov_b32 s11, exec_lo
	s_delay_alu instid0(VALU_DEP_2)
	v_cmpx_gt_u64_e32 0x47600001, v[14:15]
	s_xor_b32 s27, exec_lo, s11
	s_cbranch_execz .LBB2_468
; %bb.459:                              ;   in Loop: Header=BB2_129 Depth=2
	v_mov_b32_e32 v40, 0
	s_mov_b32 s28, exec_lo
	v_cmpx_ne_u32_e32 0, v10
	s_cbranch_execz .LBB2_467
; %bb.460:                              ;   in Loop: Header=BB2_129 Depth=2
	v_bfe_u32 v101, v10, 23, 8
	v_or_b32_e32 v14, 0x800000, v48
	s_delay_alu instid0(VALU_DEP_2) | instskip(SKIP_1) | instid1(VALU_DEP_1)
	v_sub_nc_u32_e32 v10, 0x71, v101
	v_cmp_gt_u32_e64 s10, 0x72, v101
	v_cndmask_b32_e64 v10, 0, v10, s10
	v_cmp_eq_u32_e64 s10, 0, v101
	s_delay_alu instid0(VALU_DEP_1) | instskip(SKIP_1) | instid1(VALU_DEP_2)
	v_cndmask_b32_e64 v40, v10, 0x70, s10
	v_cndmask_b32_e64 v48, v14, v48, s10
	v_dual_add_nc_u32 v10, 21, v40 :: v_dual_add_nc_u32 v15, 20, v40
	s_delay_alu instid0(VALU_DEP_1) | instskip(NEXT) | instid1(VALU_DEP_2)
	v_lshlrev_b64_e64 v[10:11], v10, -1
	v_lshlrev_b64_e64 v[14:15], v15, 1
	s_delay_alu instid0(VALU_DEP_2) | instskip(NEXT) | instid1(VALU_DEP_3)
	v_bfi_b32 v43, v11, 0, 0
	v_bfi_b32 v42, v10, 0, v48
	v_lshrrev_b64 v[10:11], v40, v[48:49]
	s_delay_alu instid0(VALU_DEP_2) | instskip(NEXT) | instid1(VALU_DEP_2)
	v_cmp_eq_u64_e64 s11, v[42:43], v[14:15]
	v_mov_b64_e32 v[14:15], v[10:11]
	s_and_saveexec_b32 s29, s11
; %bb.461:                              ;   in Loop: Header=BB2_129 Depth=2
	v_bfe_u32 v48, v10, 21, 1
	s_delay_alu instid0(VALU_DEP_1) | instskip(NEXT) | instid1(VALU_DEP_1)
	v_add_nc_u64_e32 v[14:15], v[10:11], v[48:49]
	v_add_nc_u64_e32 v[14:15], -1, v[14:15]
; %bb.462:                              ;   in Loop: Header=BB2_129 Depth=2
	s_or_b32 exec_lo, exec_lo, s29
	v_add_nc_u32_e32 v11, 0xffffff81, v101
	v_lshrrev_b32_e32 v15, 23, v10
	s_mov_b32 s11, exec_lo
	s_delay_alu instid0(VALU_DEP_2) | instskip(NEXT) | instid1(VALU_DEP_1)
	v_cndmask_b32_e64 v11, v11, 0xffffff82, s10
	v_add3_u32 v15, v40, v11, v15
	v_and_b32_e32 v11, 0x1fffff, v14
                                        ; implicit-def: $vgpr14
	s_delay_alu instid0(VALU_DEP_1) | instskip(NEXT) | instid1(VALU_DEP_1)
	v_dual_add_nc_u32 v101, 14, v15 :: v_dual_add_nc_u32 v48, v11, v10
                                        ; implicit-def: $vgpr10_vgpr11
	v_cmpx_ne_u32_e32 0, v101
	s_xor_b32 s11, exec_lo, s11
; %bb.463:                              ;   in Loop: Header=BB2_129 Depth=2
	s_delay_alu instid0(VALU_DEP_2) | instskip(SKIP_1) | instid1(VALU_DEP_1)
	v_cmp_lt_u64_e64 s10, 0xffffff, v[48:49]
	v_add_nc_u32_e32 v10, 15, v15
	v_cndmask_b32_e64 v14, v101, v10, s10
	v_cndmask_b32_e64 v10, 0, 1, s10
	s_delay_alu instid0(VALU_DEP_1)
	v_lshrrev_b64 v[10:11], v10, v[48:49]
; %bb.464:                              ;   in Loop: Header=BB2_129 Depth=2
	s_and_not1_saveexec_b32 s10, s11
; %bb.465:                              ;   in Loop: Header=BB2_129 Depth=2
	v_mov_b64_e32 v[10:11], v[48:49]
	v_bfe_u32 v14, v48, 23, 1
; %bb.466:                              ;   in Loop: Header=BB2_129 Depth=2
	s_or_b32 exec_lo, exec_lo, s10
	s_delay_alu instid0(VALU_DEP_2) | instskip(NEXT) | instid1(VALU_DEP_2)
	v_lshrrev_b64 v[10:11], 21, v[10:11]
	v_cmp_gt_i32_e64 s10, 32, v14
	v_min_i32_e32 v15, 31, v14
	v_cmp_eq_u32_e64 s11, 0, v14
	s_delay_alu instid0(VALU_DEP_3) | instskip(NEXT) | instid1(VALU_DEP_3)
	v_cndmask_b32_e64 v11, 0, v11, s10
	v_dual_lshlrev_b32 v15, 2, v15 :: v_dual_cndmask_b32 v10, 3, v10, s10
	s_delay_alu instid0(VALU_DEP_1) | instskip(NEXT) | instid1(VALU_DEP_2)
	v_and_b32_e32 v15, 0xfc, v15
	v_cmp_eq_u64_e64 s10, 0, v[10:11]
	s_delay_alu instid0(VALU_DEP_2)
	v_and_or_b32 v10, v10, 3, v15
	s_and_b32 s10, s11, s10
	s_delay_alu instid0(VALU_DEP_1) | instid1(SALU_CYCLE_1)
	v_cndmask_b32_e64 v10, v10, 0, s10
	s_delay_alu instid0(VALU_DEP_1)
	v_or_b32_e32 v40, v10, v100
.LBB2_467:                              ;   in Loop: Header=BB2_129 Depth=2
	s_or_b32 exec_lo, exec_lo, s28
                                        ; implicit-def: $vgpr100
.LBB2_468:                              ;   in Loop: Header=BB2_129 Depth=2
	s_and_not1_saveexec_b32 s10, s27
; %bb.469:                              ;   in Loop: Header=BB2_129 Depth=2
	v_or_b32_e32 v40, 0x7b, v100
; %bb.470:                              ;   in Loop: Header=BB2_129 Depth=2
	s_or_b32 exec_lo, exec_lo, s10
                                        ; implicit-def: $vgpr10
                                        ; implicit-def: $vgpr11
.LBB2_471:                              ;   in Loop: Header=BB2_129 Depth=2
	s_and_not1_saveexec_b32 s11, s26
	s_cbranch_execz .LBB2_477
; %bb.472:                              ;   in Loop: Header=BB2_129 Depth=2
	v_cmp_ne_u64_e64 s10, 0, v[48:49]
                                        ; implicit-def: $vgpr40
	s_and_saveexec_b32 s26, s10
	s_delay_alu instid0(SALU_CYCLE_1)
	s_xor_b32 s10, exec_lo, s26
; %bb.473:                              ;   in Loop: Header=BB2_129 Depth=2
	v_or_b32_e32 v40, 0x7f, v11
                                        ; implicit-def: $vgpr10
; %bb.474:                              ;   in Loop: Header=BB2_129 Depth=2
	s_and_not1_saveexec_b32 s26, s10
; %bb.475:                              ;   in Loop: Header=BB2_129 Depth=2
	v_cmp_lt_i32_e64 s10, -1, v10
	s_delay_alu instid0(VALU_DEP_1)
	v_cndmask_b32_e64 v40, 0xfc, v63, s10
; %bb.476:                              ;   in Loop: Header=BB2_129 Depth=2
	s_or_b32 exec_lo, exec_lo, s26
.LBB2_477:                              ;   in Loop: Header=BB2_129 Depth=2
	s_delay_alu instid0(SALU_CYCLE_1) | instskip(SKIP_2) | instid1(VALU_DEP_1)
	s_or_b32 exec_lo, exec_lo, s11
	v_dual_mov_b32 v11, 0 :: v_dual_lshrrev_b32 v10, 16, v16
	s_mov_b32 s11, exec_lo
	v_and_b32_e32 v14, 0xff, v10
	s_delay_alu instid0(VALU_DEP_1)
	v_cmpx_ne_u16_e32 0, v14
	s_cbranch_execz .LBB2_487
; %bb.478:                              ;   in Loop: Header=BB2_129 Depth=2
	v_bfrev_b32_e32 v11, 1
	s_mov_b32 s26, exec_lo
	v_cmpx_ne_u16_e32 0x80, v14
	s_cbranch_execz .LBB2_486
; %bb.479:                              ;   in Loop: Header=BB2_129 Depth=2
	v_and_b32_e32 v11, 0x7c0000, v16
	v_bfe_u32 v14, v16, 16, 2
	s_delay_alu instid0(VALU_DEP_2) | instskip(SKIP_1) | instid1(SALU_CYCLE_1)
	v_cmp_ne_u32_e64 s10, 0x7c0000, v11
                                        ; implicit-def: $vgpr11
	s_and_saveexec_b32 s27, s10
	s_xor_b32 s27, exec_lo, s27
	s_cbranch_execz .LBB2_483
; %bb.480:                              ;   in Loop: Header=BB2_129 Depth=2
	v_bfe_u32 v11, v16, 18, 5
	s_mov_b32 s28, exec_lo
	s_delay_alu instid0(VALU_DEP_1)
	v_cmpx_eq_u32_e32 0, v11
; %bb.481:                              ;   in Loop: Header=BB2_129 Depth=2
	v_clz_i32_u32_e32 v11, v14
	s_delay_alu instid0(VALU_DEP_1) | instskip(NEXT) | instid1(VALU_DEP_1)
	v_min_u32_e32 v11, 32, v11
	v_subrev_nc_u32_e32 v14, 29, v11
	s_delay_alu instid0(VALU_DEP_1) | instskip(NEXT) | instid1(VALU_DEP_1)
	v_lshlrev_b64_e32 v[14:15], v14, v[10:11]
	v_dual_sub_nc_u32 v11, 30, v11 :: v_dual_bitop2_b32 v14, 3, v14 bitop3:0x40
; %bb.482:                              ;   in Loop: Header=BB2_129 Depth=2
	s_or_b32 exec_lo, exec_lo, s28
	v_lshlrev_b32_e32 v10, 24, v10
	s_delay_alu instid0(VALU_DEP_1) | instskip(NEXT) | instid1(VALU_DEP_1)
	v_and_b32_e32 v10, 0x80000000, v10
	v_lshl_add_u32 v10, v11, 23, v10
	s_delay_alu instid0(VALU_DEP_1) | instskip(NEXT) | instid1(VALU_DEP_1)
	v_lshl_or_b32 v10, v14, 21, v10
                                        ; implicit-def: $vgpr14
	v_add_nc_u32_e32 v11, 0x38000000, v10
                                        ; implicit-def: $vgpr10
.LBB2_483:                              ;   in Loop: Header=BB2_129 Depth=2
	s_and_not1_saveexec_b32 s27, s27
; %bb.484:                              ;   in Loop: Header=BB2_129 Depth=2
	v_bfe_i32 v10, v10, 0, 8
	s_delay_alu instid0(VALU_DEP_1) | instskip(NEXT) | instid1(VALU_DEP_1)
	v_cmp_lt_i16_e64 s10, -1, v10
	v_cndmask_b32_e64 v10, 0xff800000, v62, s10
	v_cmp_eq_u32_e64 s10, 0, v14
	s_delay_alu instid0(VALU_DEP_1)
	v_cndmask_b32_e64 v11, 0x7f800001, v10, s10
; %bb.485:                              ;   in Loop: Header=BB2_129 Depth=2
	s_or_b32 exec_lo, exec_lo, s27
.LBB2_486:                              ;   in Loop: Header=BB2_129 Depth=2
	s_delay_alu instid0(SALU_CYCLE_1)
	s_or_b32 exec_lo, exec_lo, s26
.LBB2_487:                              ;   in Loop: Header=BB2_129 Depth=2
	s_delay_alu instid0(SALU_CYCLE_1) | instskip(SKIP_3) | instid1(VALU_DEP_1)
	s_or_b32 exec_lo, exec_lo, s11
	v_lshrrev_b32_e32 v10, 16, v12
	s_mov_b32 s26, 0
	s_mov_b32 s11, exec_lo
	v_and_b32_e32 v15, 0xff, v10
	s_delay_alu instid0(VALU_DEP_1)
	v_cmpx_lt_i16_e32 0x7f, v15
	s_xor_b32 s11, exec_lo, s11
	s_cbranch_execz .LBB2_696
; %bb.488:                              ;   in Loop: Header=BB2_129 Depth=2
	s_mov_b32 s26, -1
	s_mov_b32 s27, exec_lo
	v_cmpx_eq_u16_e32 0x80, v15
; %bb.489:                              ;   in Loop: Header=BB2_129 Depth=2
	s_xor_b32 s26, exec_lo, -1
; %bb.490:                              ;   in Loop: Header=BB2_129 Depth=2
	s_or_b32 exec_lo, exec_lo, s27
	s_delay_alu instid0(SALU_CYCLE_1)
	s_and_b32 s26, s26, exec_lo
                                        ; implicit-def: $vgpr15
	s_or_saveexec_b32 s11, s11
	v_bfrev_b32_e32 v14, 1
	s_xor_b32 exec_lo, exec_lo, s11
	s_cbranch_execnz .LBB2_697
.LBB2_491:                              ;   in Loop: Header=BB2_129 Depth=2
	s_or_b32 exec_lo, exec_lo, s11
	s_and_saveexec_b32 s11, s26
	s_cbranch_execz .LBB2_493
.LBB2_492:                              ;   in Loop: Header=BB2_129 Depth=2
	v_and_b32_e32 v48, 3, v10
	v_bfe_u32 v101, v12, 18, 5
	s_delay_alu instid0(VALU_DEP_2) | instskip(NEXT) | instid1(VALU_DEP_2)
	v_clz_i32_u32_e32 v14, v48
	v_cmp_eq_u32_e64 s10, 0, v101
	s_delay_alu instid0(VALU_DEP_2) | instskip(NEXT) | instid1(VALU_DEP_1)
	v_min_u32_e32 v100, 32, v14
	v_subrev_nc_u32_e32 v14, 29, v100
	s_delay_alu instid0(VALU_DEP_1) | instskip(SKIP_2) | instid1(VALU_DEP_2)
	v_lshlrev_b64_e32 v[14:15], v14, v[10:11]
	v_dual_lshlrev_b32 v15, 24, v10 :: v_dual_sub_nc_u32 v100, 30, v100
	v_bfe_i32 v10, v10, 0, 8
	v_and_b32_e32 v15, 0x80000000, v15
	s_delay_alu instid0(VALU_DEP_3) | instskip(NEXT) | instid1(VALU_DEP_1)
	v_dual_cndmask_b32 v100, v101, v100, s10 :: v_dual_bitop2_b32 v14, 3, v14 bitop3:0x40
	v_cndmask_b32_e64 v14, v48, v14, s10
	s_delay_alu instid0(VALU_DEP_2) | instskip(SKIP_1) | instid1(VALU_DEP_2)
	v_lshl_add_u32 v15, v100, 23, v15
	v_cmp_lt_i16_e64 s10, -1, v10
	v_lshl_or_b32 v14, v14, 21, v15
	s_delay_alu instid0(VALU_DEP_2) | instskip(SKIP_2) | instid1(VALU_DEP_4)
	v_cndmask_b32_e64 v10, 0xff800000, v62, s10
	v_and_b32_e32 v15, 0x7c0000, v12
	v_cmp_eq_u32_e64 s10, 0, v48
	v_add_nc_u32_e32 v14, 0x38000000, v14
	s_delay_alu instid0(VALU_DEP_2) | instskip(NEXT) | instid1(VALU_DEP_4)
	v_cndmask_b32_e64 v10, 0x7f800001, v10, s10
	v_cmp_eq_u32_e64 s10, 0x7c0000, v15
	s_delay_alu instid0(VALU_DEP_1)
	v_cndmask_b32_e64 v14, v14, v10, s10
.LBB2_493:                              ;   in Loop: Header=BB2_129 Depth=2
	s_or_b32 exec_lo, exec_lo, s11
	s_delay_alu instid0(VALU_DEP_1) | instskip(SKIP_1) | instid1(VALU_DEP_1)
	v_dual_mul_f32 v10, v11, v14 :: v_dual_mov_b32 v15, v49
                                        ; implicit-def: $vgpr41
	s_mov_b32 s11, exec_lo
	v_and_b32_e32 v14, 0x7f800000, v10
	v_and_b32_e32 v48, 0x7fffff, v10
	v_lshrrev_b32_e32 v11, 24, v10
	s_delay_alu instid0(VALU_DEP_3)
	v_cmpx_ne_u64_e32 0x7f800000, v[14:15]
	s_xor_b32 s26, exec_lo, s11
	s_cbranch_execz .LBB2_507
; %bb.494:                              ;   in Loop: Header=BB2_129 Depth=2
	v_and_b32_e32 v14, 0x7fffffff, v10
	v_mov_b32_e32 v15, v49
	v_and_b32_e32 v100, 0x80, v11
                                        ; implicit-def: $vgpr41
	s_mov_b32 s11, exec_lo
	s_delay_alu instid0(VALU_DEP_2)
	v_cmpx_gt_u64_e32 0x47600001, v[14:15]
	s_xor_b32 s27, exec_lo, s11
	s_cbranch_execz .LBB2_504
; %bb.495:                              ;   in Loop: Header=BB2_129 Depth=2
	v_mov_b32_e32 v41, 0
	s_mov_b32 s28, exec_lo
	v_cmpx_ne_u32_e32 0, v10
	s_cbranch_execz .LBB2_503
; %bb.496:                              ;   in Loop: Header=BB2_129 Depth=2
	v_bfe_u32 v101, v10, 23, 8
	v_or_b32_e32 v14, 0x800000, v48
	s_delay_alu instid0(VALU_DEP_2) | instskip(SKIP_1) | instid1(VALU_DEP_1)
	v_sub_nc_u32_e32 v10, 0x71, v101
	v_cmp_gt_u32_e64 s10, 0x72, v101
	v_cndmask_b32_e64 v10, 0, v10, s10
	v_cmp_eq_u32_e64 s10, 0, v101
	s_delay_alu instid0(VALU_DEP_1) | instskip(NEXT) | instid1(VALU_DEP_1)
	v_cndmask_b32_e64 v41, v10, 0x70, s10
	v_dual_cndmask_b32 v48, v14, v48, s10 :: v_dual_add_nc_u32 v10, 21, v41
	v_add_nc_u32_e32 v15, 20, v41
	s_delay_alu instid0(VALU_DEP_2) | instskip(NEXT) | instid1(VALU_DEP_2)
	v_lshlrev_b64_e64 v[10:11], v10, -1
	v_lshlrev_b64_e64 v[14:15], v15, 1
	s_delay_alu instid0(VALU_DEP_2) | instskip(NEXT) | instid1(VALU_DEP_3)
	v_bfi_b32 v43, v11, 0, 0
	v_bfi_b32 v42, v10, 0, v48
	v_lshrrev_b64 v[10:11], v41, v[48:49]
	s_delay_alu instid0(VALU_DEP_2) | instskip(NEXT) | instid1(VALU_DEP_2)
	v_cmp_eq_u64_e64 s11, v[42:43], v[14:15]
	v_mov_b64_e32 v[14:15], v[10:11]
	s_and_saveexec_b32 s29, s11
; %bb.497:                              ;   in Loop: Header=BB2_129 Depth=2
	v_bfe_u32 v48, v10, 21, 1
	s_delay_alu instid0(VALU_DEP_1) | instskip(NEXT) | instid1(VALU_DEP_1)
	v_add_nc_u64_e32 v[14:15], v[10:11], v[48:49]
	v_add_nc_u64_e32 v[14:15], -1, v[14:15]
; %bb.498:                              ;   in Loop: Header=BB2_129 Depth=2
	s_or_b32 exec_lo, exec_lo, s29
	v_add_nc_u32_e32 v11, 0xffffff81, v101
	v_lshrrev_b32_e32 v15, 23, v10
	s_mov_b32 s11, exec_lo
	s_delay_alu instid0(VALU_DEP_2) | instskip(NEXT) | instid1(VALU_DEP_1)
	v_cndmask_b32_e64 v11, v11, 0xffffff82, s10
	v_add3_u32 v15, v41, v11, v15
	v_and_b32_e32 v11, 0x1fffff, v14
                                        ; implicit-def: $vgpr14
	s_delay_alu instid0(VALU_DEP_1) | instskip(NEXT) | instid1(VALU_DEP_1)
	v_dual_add_nc_u32 v101, 14, v15 :: v_dual_add_nc_u32 v48, v11, v10
                                        ; implicit-def: $vgpr10_vgpr11
	v_cmpx_ne_u32_e32 0, v101
	s_xor_b32 s11, exec_lo, s11
; %bb.499:                              ;   in Loop: Header=BB2_129 Depth=2
	s_delay_alu instid0(VALU_DEP_2) | instskip(SKIP_1) | instid1(VALU_DEP_1)
	v_cmp_lt_u64_e64 s10, 0xffffff, v[48:49]
	v_add_nc_u32_e32 v10, 15, v15
	v_cndmask_b32_e64 v14, v101, v10, s10
	v_cndmask_b32_e64 v10, 0, 1, s10
	s_delay_alu instid0(VALU_DEP_1)
	v_lshrrev_b64 v[10:11], v10, v[48:49]
; %bb.500:                              ;   in Loop: Header=BB2_129 Depth=2
	s_and_not1_saveexec_b32 s10, s11
; %bb.501:                              ;   in Loop: Header=BB2_129 Depth=2
	v_mov_b64_e32 v[10:11], v[48:49]
	v_bfe_u32 v14, v48, 23, 1
; %bb.502:                              ;   in Loop: Header=BB2_129 Depth=2
	s_or_b32 exec_lo, exec_lo, s10
	s_delay_alu instid0(VALU_DEP_2) | instskip(NEXT) | instid1(VALU_DEP_2)
	v_lshrrev_b64 v[10:11], 21, v[10:11]
	v_cmp_gt_i32_e64 s10, 32, v14
	v_min_i32_e32 v15, 31, v14
	v_cmp_eq_u32_e64 s11, 0, v14
	s_delay_alu instid0(VALU_DEP_3) | instskip(NEXT) | instid1(VALU_DEP_3)
	v_cndmask_b32_e64 v11, 0, v11, s10
	v_dual_lshlrev_b32 v15, 2, v15 :: v_dual_cndmask_b32 v10, 3, v10, s10
	s_delay_alu instid0(VALU_DEP_1) | instskip(NEXT) | instid1(VALU_DEP_2)
	v_and_b32_e32 v15, 0xfc, v15
	v_cmp_eq_u64_e64 s10, 0, v[10:11]
	s_delay_alu instid0(VALU_DEP_2)
	v_and_or_b32 v10, v10, 3, v15
	s_and_b32 s10, s11, s10
	s_delay_alu instid0(VALU_DEP_1) | instid1(SALU_CYCLE_1)
	v_cndmask_b32_e64 v10, v10, 0, s10
	s_delay_alu instid0(VALU_DEP_1)
	v_or_b32_e32 v41, v10, v100
.LBB2_503:                              ;   in Loop: Header=BB2_129 Depth=2
	s_or_b32 exec_lo, exec_lo, s28
                                        ; implicit-def: $vgpr100
.LBB2_504:                              ;   in Loop: Header=BB2_129 Depth=2
	s_and_not1_saveexec_b32 s10, s27
; %bb.505:                              ;   in Loop: Header=BB2_129 Depth=2
	v_or_b32_e32 v41, 0x7b, v100
; %bb.506:                              ;   in Loop: Header=BB2_129 Depth=2
	s_or_b32 exec_lo, exec_lo, s10
                                        ; implicit-def: $vgpr10
                                        ; implicit-def: $vgpr11
.LBB2_507:                              ;   in Loop: Header=BB2_129 Depth=2
	s_and_not1_saveexec_b32 s11, s26
	s_cbranch_execz .LBB2_513
; %bb.508:                              ;   in Loop: Header=BB2_129 Depth=2
	v_cmp_ne_u64_e64 s10, 0, v[48:49]
                                        ; implicit-def: $vgpr41
	s_and_saveexec_b32 s26, s10
	s_delay_alu instid0(SALU_CYCLE_1)
	s_xor_b32 s10, exec_lo, s26
; %bb.509:                              ;   in Loop: Header=BB2_129 Depth=2
	v_or_b32_e32 v41, 0x7f, v11
                                        ; implicit-def: $vgpr10
; %bb.510:                              ;   in Loop: Header=BB2_129 Depth=2
	s_and_not1_saveexec_b32 s26, s10
; %bb.511:                              ;   in Loop: Header=BB2_129 Depth=2
	v_cmp_lt_i32_e64 s10, -1, v10
	s_delay_alu instid0(VALU_DEP_1)
	v_cndmask_b32_e64 v41, 0xfc, v63, s10
; %bb.512:                              ;   in Loop: Header=BB2_129 Depth=2
	s_or_b32 exec_lo, exec_lo, s26
.LBB2_513:                              ;   in Loop: Header=BB2_129 Depth=2
	s_delay_alu instid0(SALU_CYCLE_1)
	s_or_b32 exec_lo, exec_lo, s11
	v_mov_b32_e32 v11, 0
	s_mov_b32 s11, exec_lo
	v_cmpx_lt_u32_e32 0xffffff, v16
	s_cbranch_execz .LBB2_523
; %bb.514:                              ;   in Loop: Header=BB2_129 Depth=2
	v_lshrrev_b32_e32 v10, 24, v16
	v_bfrev_b32_e32 v11, 1
	s_mov_b32 s26, exec_lo
	s_delay_alu instid0(VALU_DEP_2)
	v_cmpx_ne_u32_e32 0x80, v10
	s_cbranch_execz .LBB2_522
; %bb.515:                              ;   in Loop: Header=BB2_129 Depth=2
	v_and_b32_e32 v11, 0x7c000000, v16
	v_bfe_u32 v14, v16, 24, 2
	s_delay_alu instid0(VALU_DEP_2) | instskip(SKIP_1) | instid1(SALU_CYCLE_1)
	v_cmp_ne_u32_e64 s10, 0x7c000000, v11
                                        ; implicit-def: $vgpr11
	s_and_saveexec_b32 s27, s10
	s_xor_b32 s27, exec_lo, s27
	s_cbranch_execz .LBB2_519
; %bb.516:                              ;   in Loop: Header=BB2_129 Depth=2
	v_bfe_u32 v11, v16, 26, 5
	s_mov_b32 s28, exec_lo
	s_delay_alu instid0(VALU_DEP_1)
	v_cmpx_eq_u32_e32 0, v11
; %bb.517:                              ;   in Loop: Header=BB2_129 Depth=2
	v_clz_i32_u32_e32 v11, v14
	s_delay_alu instid0(VALU_DEP_1) | instskip(NEXT) | instid1(VALU_DEP_1)
	v_min_u32_e32 v14, 32, v11
	v_subrev_nc_u32_e32 v11, 29, v14
	s_delay_alu instid0(VALU_DEP_1) | instskip(SKIP_1) | instid1(VALU_DEP_2)
	v_lshlrev_b64_e32 v[10:11], v11, v[10:11]
	v_sub_nc_u32_e32 v11, 30, v14
	v_and_b32_e32 v14, 3, v10
; %bb.518:                              ;   in Loop: Header=BB2_129 Depth=2
	s_or_b32 exec_lo, exec_lo, s28
	v_and_b32_e32 v10, 0x80000000, v16
	s_delay_alu instid0(VALU_DEP_1) | instskip(NEXT) | instid1(VALU_DEP_1)
	v_lshl_add_u32 v10, v11, 23, v10
	v_lshl_or_b32 v10, v14, 21, v10
                                        ; implicit-def: $vgpr14
	s_delay_alu instid0(VALU_DEP_1)
	v_add_nc_u32_e32 v11, 0x38000000, v10
.LBB2_519:                              ;   in Loop: Header=BB2_129 Depth=2
	s_and_not1_saveexec_b32 s27, s27
; %bb.520:                              ;   in Loop: Header=BB2_129 Depth=2
	v_cmp_lt_i32_e64 s10, -1, v16
	s_delay_alu instid0(VALU_DEP_1) | instskip(SKIP_1) | instid1(VALU_DEP_1)
	v_cndmask_b32_e64 v10, 0xff800000, v62, s10
	v_cmp_eq_u32_e64 s10, 0, v14
	v_cndmask_b32_e64 v11, 0x7f800001, v10, s10
; %bb.521:                              ;   in Loop: Header=BB2_129 Depth=2
	s_or_b32 exec_lo, exec_lo, s27
.LBB2_522:                              ;   in Loop: Header=BB2_129 Depth=2
	s_delay_alu instid0(SALU_CYCLE_1)
	s_or_b32 exec_lo, exec_lo, s26
.LBB2_523:                              ;   in Loop: Header=BB2_129 Depth=2
	s_delay_alu instid0(SALU_CYCLE_1) | instskip(SKIP_3) | instid1(VALU_DEP_2)
	s_or_b32 exec_lo, exec_lo, s11
	v_bfe_u32 v48, v12, 24, 2
	v_bfe_u32 v101, v12, 26, 5
                                        ; implicit-def: $vgpr42
	s_mov_b32 s11, exec_lo
	v_clz_i32_u32_e32 v10, v48
	s_delay_alu instid0(VALU_DEP_2) | instskip(NEXT) | instid1(VALU_DEP_2)
	v_cmp_eq_u32_e64 s10, 0, v101
	v_min_u32_e32 v100, 32, v10
	v_lshrrev_b32_e32 v10, 24, v12
	s_delay_alu instid0(VALU_DEP_2) | instskip(NEXT) | instid1(VALU_DEP_1)
	v_subrev_nc_u32_e32 v14, 29, v100
	v_lshlrev_b64_e32 v[14:15], v14, v[10:11]
	v_sub_nc_u32_e32 v15, 30, v100
	v_and_b32_e32 v100, 0x80000000, v12
	s_delay_alu instid0(VALU_DEP_2) | instskip(NEXT) | instid1(VALU_DEP_1)
	v_dual_cndmask_b32 v15, v101, v15, s10 :: v_dual_bitop2_b32 v14, 3, v14 bitop3:0x40
	v_cndmask_b32_e64 v14, v48, v14, s10
	s_delay_alu instid0(VALU_DEP_2) | instskip(SKIP_1) | instid1(VALU_DEP_2)
	v_lshl_add_u32 v15, v15, 23, v100
	v_cmp_lt_i32_e64 s10, -1, v12
	v_lshl_or_b32 v14, v14, 21, v15
	s_delay_alu instid0(VALU_DEP_2) | instskip(SKIP_2) | instid1(VALU_DEP_4)
	v_cndmask_b32_e64 v100, 0xff800000, v62, s10
	v_and_b32_e32 v15, 0x7c000000, v12
	v_cmp_eq_u32_e64 s10, 0, v48
	v_add_nc_u32_e32 v14, 0x38000000, v14
	s_delay_alu instid0(VALU_DEP_2) | instskip(NEXT) | instid1(VALU_DEP_4)
	v_cndmask_b32_e64 v48, 0x7f800001, v100, s10
	v_cmp_eq_u32_e64 s10, 0x7c000000, v15
	s_delay_alu instid0(VALU_DEP_1) | instskip(SKIP_1) | instid1(VALU_DEP_1)
	v_dual_mov_b32 v15, v49 :: v_dual_cndmask_b32 v14, v14, v48, s10
	v_cmp_ne_u32_e64 s10, 0x80, v10
	v_cndmask_b32_e64 v10, 0x80000000, v14, s10
	v_cmp_lt_u32_e64 s10, 0xffffff, v12
	s_delay_alu instid0(VALU_DEP_1) | instskip(NEXT) | instid1(VALU_DEP_1)
	v_cndmask_b32_e64 v10, 0, v10, s10
	v_mul_f32_e32 v10, v10, v11
	s_delay_alu instid0(VALU_DEP_1) | instskip(SKIP_2) | instid1(VALU_DEP_3)
	v_and_b32_e32 v14, 0x7f800000, v10
	v_and_b32_e32 v48, 0x7fffff, v10
	v_lshrrev_b32_e32 v11, 24, v10
	v_cmpx_ne_u64_e32 0x7f800000, v[14:15]
	s_xor_b32 s26, exec_lo, s11
	s_cbranch_execz .LBB2_537
; %bb.524:                              ;   in Loop: Header=BB2_129 Depth=2
	v_and_b32_e32 v14, 0x7fffffff, v10
	v_mov_b32_e32 v15, v49
	v_and_b32_e32 v100, 0x80, v11
                                        ; implicit-def: $vgpr42
	s_mov_b32 s11, exec_lo
	s_delay_alu instid0(VALU_DEP_2)
	v_cmpx_gt_u64_e32 0x47600001, v[14:15]
	s_xor_b32 s27, exec_lo, s11
	s_cbranch_execz .LBB2_534
; %bb.525:                              ;   in Loop: Header=BB2_129 Depth=2
	v_mov_b32_e32 v42, 0
	s_mov_b32 s28, exec_lo
	v_cmpx_ne_u32_e32 0, v10
	s_cbranch_execz .LBB2_533
; %bb.526:                              ;   in Loop: Header=BB2_129 Depth=2
	v_bfe_u32 v101, v10, 23, 8
	v_or_b32_e32 v14, 0x800000, v48
	s_delay_alu instid0(VALU_DEP_2) | instskip(SKIP_1) | instid1(VALU_DEP_1)
	v_sub_nc_u32_e32 v10, 0x71, v101
	v_cmp_gt_u32_e64 s10, 0x72, v101
	v_cndmask_b32_e64 v10, 0, v10, s10
	v_cmp_eq_u32_e64 s10, 0, v101
	s_delay_alu instid0(VALU_DEP_1) | instskip(NEXT) | instid1(VALU_DEP_3)
	v_cndmask_b32_e64 v48, v14, v48, s10
	v_cndmask_b32_e64 v42, v10, 0x70, s10
	s_delay_alu instid0(VALU_DEP_1) | instskip(NEXT) | instid1(VALU_DEP_1)
	v_dual_add_nc_u32 v10, 21, v42 :: v_dual_add_nc_u32 v15, 20, v42
	v_lshlrev_b64_e64 v[10:11], v10, -1
	s_delay_alu instid0(VALU_DEP_2) | instskip(NEXT) | instid1(VALU_DEP_2)
	v_lshlrev_b64_e64 v[14:15], v15, 1
	v_bfi_b32 v45, v11, 0, 0
	s_delay_alu instid0(VALU_DEP_3) | instskip(SKIP_1) | instid1(VALU_DEP_2)
	v_bfi_b32 v44, v10, 0, v48
	v_lshrrev_b64 v[10:11], v42, v[48:49]
	v_cmp_eq_u64_e64 s11, v[44:45], v[14:15]
	s_delay_alu instid0(VALU_DEP_2)
	v_mov_b64_e32 v[14:15], v[10:11]
	s_and_saveexec_b32 s29, s11
; %bb.527:                              ;   in Loop: Header=BB2_129 Depth=2
	v_bfe_u32 v48, v10, 21, 1
	s_delay_alu instid0(VALU_DEP_1) | instskip(NEXT) | instid1(VALU_DEP_1)
	v_add_nc_u64_e32 v[14:15], v[10:11], v[48:49]
	v_add_nc_u64_e32 v[14:15], -1, v[14:15]
; %bb.528:                              ;   in Loop: Header=BB2_129 Depth=2
	s_or_b32 exec_lo, exec_lo, s29
	v_add_nc_u32_e32 v11, 0xffffff81, v101
	v_lshrrev_b32_e32 v15, 23, v10
	s_mov_b32 s11, exec_lo
	s_delay_alu instid0(VALU_DEP_2) | instskip(NEXT) | instid1(VALU_DEP_1)
	v_cndmask_b32_e64 v11, v11, 0xffffff82, s10
	v_add3_u32 v15, v42, v11, v15
	v_and_b32_e32 v11, 0x1fffff, v14
                                        ; implicit-def: $vgpr14
	s_delay_alu instid0(VALU_DEP_1) | instskip(NEXT) | instid1(VALU_DEP_1)
	v_dual_add_nc_u32 v101, 14, v15 :: v_dual_add_nc_u32 v48, v11, v10
                                        ; implicit-def: $vgpr10_vgpr11
	v_cmpx_ne_u32_e32 0, v101
	s_xor_b32 s11, exec_lo, s11
; %bb.529:                              ;   in Loop: Header=BB2_129 Depth=2
	s_delay_alu instid0(VALU_DEP_2) | instskip(SKIP_1) | instid1(VALU_DEP_1)
	v_cmp_lt_u64_e64 s10, 0xffffff, v[48:49]
	v_add_nc_u32_e32 v10, 15, v15
	v_cndmask_b32_e64 v14, v101, v10, s10
	v_cndmask_b32_e64 v10, 0, 1, s10
	s_delay_alu instid0(VALU_DEP_1)
	v_lshrrev_b64 v[10:11], v10, v[48:49]
; %bb.530:                              ;   in Loop: Header=BB2_129 Depth=2
	s_and_not1_saveexec_b32 s10, s11
; %bb.531:                              ;   in Loop: Header=BB2_129 Depth=2
	v_mov_b64_e32 v[10:11], v[48:49]
	v_bfe_u32 v14, v48, 23, 1
; %bb.532:                              ;   in Loop: Header=BB2_129 Depth=2
	s_or_b32 exec_lo, exec_lo, s10
	s_delay_alu instid0(VALU_DEP_2) | instskip(NEXT) | instid1(VALU_DEP_2)
	v_lshrrev_b64 v[10:11], 21, v[10:11]
	v_cmp_gt_i32_e64 s10, 32, v14
	v_min_i32_e32 v15, 31, v14
	v_cmp_eq_u32_e64 s11, 0, v14
	s_delay_alu instid0(VALU_DEP_3) | instskip(NEXT) | instid1(VALU_DEP_3)
	v_cndmask_b32_e64 v11, 0, v11, s10
	v_dual_lshlrev_b32 v15, 2, v15 :: v_dual_cndmask_b32 v10, 3, v10, s10
	s_delay_alu instid0(VALU_DEP_1) | instskip(NEXT) | instid1(VALU_DEP_2)
	v_and_b32_e32 v15, 0xfc, v15
	v_cmp_eq_u64_e64 s10, 0, v[10:11]
	s_delay_alu instid0(VALU_DEP_2)
	v_and_or_b32 v10, v10, 3, v15
	s_and_b32 s10, s11, s10
	s_delay_alu instid0(VALU_DEP_1) | instid1(SALU_CYCLE_1)
	v_cndmask_b32_e64 v10, v10, 0, s10
	s_delay_alu instid0(VALU_DEP_1)
	v_or_b32_e32 v42, v10, v100
.LBB2_533:                              ;   in Loop: Header=BB2_129 Depth=2
	s_or_b32 exec_lo, exec_lo, s28
                                        ; implicit-def: $vgpr100
.LBB2_534:                              ;   in Loop: Header=BB2_129 Depth=2
	s_and_not1_saveexec_b32 s10, s27
; %bb.535:                              ;   in Loop: Header=BB2_129 Depth=2
	v_or_b32_e32 v42, 0x7b, v100
; %bb.536:                              ;   in Loop: Header=BB2_129 Depth=2
	s_or_b32 exec_lo, exec_lo, s10
                                        ; implicit-def: $vgpr10
                                        ; implicit-def: $vgpr11
.LBB2_537:                              ;   in Loop: Header=BB2_129 Depth=2
	s_and_not1_saveexec_b32 s11, s26
	s_cbranch_execz .LBB2_543
; %bb.538:                              ;   in Loop: Header=BB2_129 Depth=2
	v_cmp_ne_u64_e64 s10, 0, v[48:49]
                                        ; implicit-def: $vgpr42
	s_and_saveexec_b32 s26, s10
	s_delay_alu instid0(SALU_CYCLE_1)
	s_xor_b32 s10, exec_lo, s26
; %bb.539:                              ;   in Loop: Header=BB2_129 Depth=2
	v_or_b32_e32 v42, 0x7f, v11
                                        ; implicit-def: $vgpr10
; %bb.540:                              ;   in Loop: Header=BB2_129 Depth=2
	s_and_not1_saveexec_b32 s26, s10
; %bb.541:                              ;   in Loop: Header=BB2_129 Depth=2
	v_cmp_lt_i32_e64 s10, -1, v10
	s_delay_alu instid0(VALU_DEP_1)
	v_cndmask_b32_e64 v42, 0xfc, v63, s10
; %bb.542:                              ;   in Loop: Header=BB2_129 Depth=2
	s_or_b32 exec_lo, exec_lo, s26
.LBB2_543:                              ;   in Loop: Header=BB2_129 Depth=2
	s_delay_alu instid0(SALU_CYCLE_1) | instskip(SKIP_3) | instid1(VALU_DEP_2)
	s_or_b32 exec_lo, exec_lo, s11
	v_and_b32_e32 v10, 0xff, v17
	v_dual_mov_b32 v48, v17 :: v_dual_mov_b32 v14, 0
	s_mov_b32 s11, exec_lo
	v_cmpx_ne_u16_e32 0, v10
	s_cbranch_execz .LBB2_553
; %bb.544:                              ;   in Loop: Header=BB2_129 Depth=2
	v_bfrev_b32_e32 v14, 1
	s_mov_b32 s26, exec_lo
	v_cmpx_ne_u16_e32 0x80, v10
	s_cbranch_execz .LBB2_552
; %bb.545:                              ;   in Loop: Header=BB2_129 Depth=2
	v_and_b32_e32 v11, 0x7c, v17
	v_and_b32_e32 v10, 3, v17
	s_mov_b32 s27, exec_lo
                                        ; implicit-def: $vgpr14
	s_delay_alu instid0(VALU_DEP_2)
	v_cmpx_ne_u32_e32 0x7c, v11
	s_xor_b32 s27, exec_lo, s27
	s_cbranch_execz .LBB2_549
; %bb.546:                              ;   in Loop: Header=BB2_129 Depth=2
	v_bfe_u32 v11, v17, 2, 5
	s_mov_b32 s28, exec_lo
	s_delay_alu instid0(VALU_DEP_1)
	v_cmpx_eq_u32_e32 0, v11
; %bb.547:                              ;   in Loop: Header=BB2_129 Depth=2
	v_clz_i32_u32_e32 v10, v10
	s_delay_alu instid0(VALU_DEP_1) | instskip(NEXT) | instid1(VALU_DEP_1)
	v_min_u32_e32 v14, 32, v10
	v_subrev_nc_u32_e32 v10, 29, v14
	s_delay_alu instid0(VALU_DEP_1) | instskip(SKIP_1) | instid1(VALU_DEP_2)
	v_lshlrev_b64_e32 v[10:11], v10, v[48:49]
	v_sub_nc_u32_e32 v11, 30, v14
	v_and_b32_e32 v10, 3, v10
; %bb.548:                              ;   in Loop: Header=BB2_129 Depth=2
	s_or_b32 exec_lo, exec_lo, s28
	v_lshlrev_b32_e32 v14, 24, v17
	s_delay_alu instid0(VALU_DEP_1) | instskip(NEXT) | instid1(VALU_DEP_1)
	v_and_b32_e32 v14, 0x80000000, v14
	v_lshl_add_u32 v11, v11, 23, v14
	s_delay_alu instid0(VALU_DEP_1) | instskip(NEXT) | instid1(VALU_DEP_1)
	v_lshl_or_b32 v10, v10, 21, v11
	v_add_nc_u32_e32 v14, 0x38000000, v10
                                        ; implicit-def: $vgpr10
.LBB2_549:                              ;   in Loop: Header=BB2_129 Depth=2
	s_and_not1_saveexec_b32 s27, s27
; %bb.550:                              ;   in Loop: Header=BB2_129 Depth=2
	v_bfe_i32 v11, v17, 0, 8
	s_delay_alu instid0(VALU_DEP_1) | instskip(NEXT) | instid1(VALU_DEP_1)
	v_cmp_lt_i16_e64 s10, -1, v11
	v_cndmask_b32_e64 v11, 0xff800000, v62, s10
	v_cmp_eq_u32_e64 s10, 0, v10
	s_delay_alu instid0(VALU_DEP_1)
	v_cndmask_b32_e64 v14, 0x7f800001, v11, s10
; %bb.551:                              ;   in Loop: Header=BB2_129 Depth=2
	s_or_b32 exec_lo, exec_lo, s27
.LBB2_552:                              ;   in Loop: Header=BB2_129 Depth=2
	s_delay_alu instid0(SALU_CYCLE_1)
	s_or_b32 exec_lo, exec_lo, s26
.LBB2_553:                              ;   in Loop: Header=BB2_129 Depth=2
	s_delay_alu instid0(SALU_CYCLE_1) | instskip(SKIP_4) | instid1(VALU_DEP_2)
	s_or_b32 exec_lo, exec_lo, s11
	v_and_b32_e32 v11, 0xff, v13
	v_mov_b32_e32 v10, v13
	s_mov_b32 s26, 0
	s_mov_b32 s11, exec_lo
	v_cmpx_lt_i16_e32 0x7f, v11
	s_xor_b32 s11, exec_lo, s11
	s_cbranch_execz .LBB2_698
; %bb.554:                              ;   in Loop: Header=BB2_129 Depth=2
	s_mov_b32 s26, -1
	s_mov_b32 s27, exec_lo
	v_cmpx_eq_u16_e32 0x80, v11
; %bb.555:                              ;   in Loop: Header=BB2_129 Depth=2
	s_xor_b32 s26, exec_lo, -1
; %bb.556:                              ;   in Loop: Header=BB2_129 Depth=2
	s_or_b32 exec_lo, exec_lo, s27
	s_delay_alu instid0(SALU_CYCLE_1)
	s_and_b32 s26, s26, exec_lo
                                        ; implicit-def: $vgpr11
	s_or_saveexec_b32 s11, s11
	v_bfrev_b32_e32 v15, 1
	s_xor_b32 exec_lo, exec_lo, s11
	s_cbranch_execnz .LBB2_699
.LBB2_557:                              ;   in Loop: Header=BB2_129 Depth=2
	s_or_b32 exec_lo, exec_lo, s11
	v_mov_b32_e32 v11, v49
	s_and_saveexec_b32 s11, s26
	s_cbranch_execz .LBB2_559
.LBB2_558:                              ;   in Loop: Header=BB2_129 Depth=2
	v_and_b32_e32 v15, 3, v13
	s_delay_alu instid0(VALU_DEP_1) | instskip(NEXT) | instid1(VALU_DEP_1)
	v_clz_i32_u32_e32 v100, v15
	v_min_u32_e32 v43, 32, v100
	s_delay_alu instid0(VALU_DEP_1) | instskip(NEXT) | instid1(VALU_DEP_1)
	v_subrev_nc_u32_e32 v100, 29, v43
	v_lshlrev_b64_e32 v[100:101], v100, v[10:11]
	v_bfe_u32 v101, v13, 2, 5
	v_dual_lshlrev_b32 v11, 24, v13 :: v_dual_sub_nc_u32 v43, 30, v43
	s_delay_alu instid0(VALU_DEP_2) | instskip(NEXT) | instid1(VALU_DEP_2)
	v_cmp_eq_u32_e64 s10, 0, v101
	v_and_b32_e32 v11, 0x80000000, v11
	s_delay_alu instid0(VALU_DEP_2) | instskip(SKIP_1) | instid1(VALU_DEP_2)
	v_dual_cndmask_b32 v101, v101, v43, s10 :: v_dual_bitop2_b32 v100, 3, v100 bitop3:0x40
	v_bfe_i32 v43, v13, 0, 8
	v_cndmask_b32_e64 v100, v15, v100, s10
	s_delay_alu instid0(VALU_DEP_3) | instskip(NEXT) | instid1(VALU_DEP_3)
	v_lshl_add_u32 v11, v101, 23, v11
	v_cmp_lt_i16_e64 s10, -1, v43
	s_delay_alu instid0(VALU_DEP_2) | instskip(NEXT) | instid1(VALU_DEP_2)
	v_lshl_or_b32 v11, v100, 21, v11
	v_cndmask_b32_e64 v101, 0xff800000, v62, s10
	v_and_b32_e32 v100, 0x7c, v13
	v_cmp_eq_u32_e64 s10, 0, v15
	s_delay_alu instid0(VALU_DEP_4) | instskip(NEXT) | instid1(VALU_DEP_2)
	v_add_nc_u32_e32 v11, 0x38000000, v11
	v_cndmask_b32_e64 v15, 0x7f800001, v101, s10
	s_delay_alu instid0(VALU_DEP_4) | instskip(NEXT) | instid1(VALU_DEP_1)
	v_cmp_eq_u32_e64 s10, 0x7c, v100
	v_cndmask_b32_e64 v15, v11, v15, s10
.LBB2_559:                              ;   in Loop: Header=BB2_129 Depth=2
	s_or_b32 exec_lo, exec_lo, s11
	s_delay_alu instid0(VALU_DEP_1) | instskip(SKIP_2) | instid1(VALU_DEP_2)
	v_dual_mul_f32 v101, v14, v15 :: v_dual_mov_b32 v45, v49
	v_mov_b32_e32 v15, v49
                                        ; implicit-def: $vgpr100
	s_mov_b32 s11, exec_lo
	v_and_b32_e32 v44, 0x7f800000, v101
	v_and_b32_e32 v14, 0x7fffff, v101
	v_lshrrev_b32_e32 v11, 24, v101
	s_delay_alu instid0(VALU_DEP_3)
	v_cmpx_ne_u64_e32 0x7f800000, v[44:45]
	s_xor_b32 s26, exec_lo, s11
	s_cbranch_execz .LBB2_573
; %bb.560:                              ;   in Loop: Header=BB2_129 Depth=2
	v_and_b32_e32 v44, 0x7fffffff, v101
	v_mov_b32_e32 v45, v49
	v_and_b32_e32 v11, 0x80, v11
                                        ; implicit-def: $vgpr100
	s_mov_b32 s11, exec_lo
	s_delay_alu instid0(VALU_DEP_2)
	v_cmpx_gt_u64_e32 0x47600001, v[44:45]
	s_xor_b32 s27, exec_lo, s11
	s_cbranch_execz .LBB2_570
; %bb.561:                              ;   in Loop: Header=BB2_129 Depth=2
	v_mov_b32_e32 v100, 0
	s_mov_b32 s28, exec_lo
	v_cmpx_ne_u32_e32 0, v101
	s_cbranch_execz .LBB2_569
; %bb.562:                              ;   in Loop: Header=BB2_129 Depth=2
	v_bfe_u32 v43, v101, 23, 8
	v_or_b32_e32 v45, 0x800000, v14
	s_delay_alu instid0(VALU_DEP_2) | instskip(SKIP_1) | instid1(VALU_DEP_1)
	v_sub_nc_u32_e32 v100, 0x71, v43
	v_cmp_gt_u32_e64 s10, 0x72, v43
	v_cndmask_b32_e64 v100, 0, v100, s10
	v_cmp_eq_u32_e64 s10, 0, v43
	s_delay_alu instid0(VALU_DEP_1) | instskip(NEXT) | instid1(VALU_DEP_3)
	v_cndmask_b32_e64 v14, v45, v14, s10
	v_cndmask_b32_e64 v44, v100, 0x70, s10
	s_delay_alu instid0(VALU_DEP_1) | instskip(NEXT) | instid1(VALU_DEP_1)
	v_dual_add_nc_u32 v100, 21, v44 :: v_dual_add_nc_u32 v46, 20, v44
	v_lshlrev_b64_e64 v[100:101], v100, -1
	s_delay_alu instid0(VALU_DEP_2) | instskip(NEXT) | instid1(VALU_DEP_2)
	v_lshlrev_b64_e64 v[46:47], v46, 1
	v_bfi_b32 v100, v100, 0, v14
	v_lshrrev_b64 v[14:15], v44, v[14:15]
	s_delay_alu instid0(VALU_DEP_4) | instskip(NEXT) | instid1(VALU_DEP_1)
	v_bfi_b32 v101, v101, 0, 0
	v_cmp_eq_u64_e64 s11, v[100:101], v[46:47]
	s_delay_alu instid0(VALU_DEP_3)
	v_mov_b64_e32 v[100:101], v[14:15]
	s_and_saveexec_b32 s29, s11
; %bb.563:                              ;   in Loop: Header=BB2_129 Depth=2
	v_bfe_u32 v100, v14, 21, 1
	v_mov_b32_e32 v101, v49
	s_delay_alu instid0(VALU_DEP_1) | instskip(NEXT) | instid1(VALU_DEP_1)
	v_add_nc_u64_e32 v[100:101], v[14:15], v[100:101]
	v_add_nc_u64_e32 v[100:101], -1, v[100:101]
; %bb.564:                              ;   in Loop: Header=BB2_129 Depth=2
	s_or_b32 exec_lo, exec_lo, s29
	v_add_nc_u32_e32 v15, 0xffffff81, v43
	v_lshrrev_b32_e32 v101, 23, v14
	s_mov_b32 s11, exec_lo
	s_delay_alu instid0(VALU_DEP_2) | instskip(NEXT) | instid1(VALU_DEP_1)
	v_cndmask_b32_e64 v15, v15, 0xffffff82, s10
	v_add3_u32 v101, v44, v15, v101
	v_and_b32_e32 v15, 0x1fffff, v100
                                        ; implicit-def: $vgpr100
	s_delay_alu instid0(VALU_DEP_1) | instskip(SKIP_1) | instid1(VALU_DEP_2)
	v_dual_add_nc_u32 v43, 14, v101 :: v_dual_add_nc_u32 v14, v15, v14
	v_mov_b32_e32 v15, v49
	v_cmpx_ne_u32_e32 0, v43
	s_xor_b32 s11, exec_lo, s11
; %bb.565:                              ;   in Loop: Header=BB2_129 Depth=2
	s_delay_alu instid0(VALU_DEP_2) | instskip(SKIP_1) | instid1(VALU_DEP_2)
	v_cmp_lt_u64_e64 s10, 0xffffff, v[14:15]
	v_add_nc_u32_e32 v100, 15, v101
	v_cndmask_b32_e64 v101, 0, 1, s10
	s_delay_alu instid0(VALU_DEP_2) | instskip(NEXT) | instid1(VALU_DEP_2)
	v_cndmask_b32_e64 v100, v43, v100, s10
	v_lshrrev_b64 v[14:15], v101, v[14:15]
; %bb.566:                              ;   in Loop: Header=BB2_129 Depth=2
	s_and_not1_saveexec_b32 s10, s11
; %bb.567:                              ;   in Loop: Header=BB2_129 Depth=2
	s_delay_alu instid0(VALU_DEP_1)
	v_bfe_u32 v100, v14, 23, 1
; %bb.568:                              ;   in Loop: Header=BB2_129 Depth=2
	s_or_b32 exec_lo, exec_lo, s10
	s_delay_alu instid0(VALU_DEP_2) | instskip(NEXT) | instid1(VALU_DEP_2)
	v_lshrrev_b64 v[14:15], 21, v[14:15]
	v_cmp_gt_i32_e64 s10, 32, v100
	v_min_i32_e32 v101, 31, v100
	v_cmp_eq_u32_e64 s11, 0, v100
	s_delay_alu instid0(VALU_DEP_2) | instskip(SKIP_1) | instid1(VALU_DEP_2)
	v_dual_cndmask_b32 v15, 0, v15, s10 :: v_dual_lshlrev_b32 v101, 2, v101
	v_cndmask_b32_e64 v14, 3, v14, s10
	v_and_b32_e32 v101, 0xfc, v101
	s_delay_alu instid0(VALU_DEP_2) | instskip(NEXT) | instid1(VALU_DEP_2)
	v_cmp_eq_u64_e64 s10, 0, v[14:15]
	v_and_or_b32 v14, v14, 3, v101
	s_and_b32 s10, s11, s10
	s_delay_alu instid0(VALU_DEP_1) | instid1(SALU_CYCLE_1)
	v_cndmask_b32_e64 v14, v14, 0, s10
	s_delay_alu instid0(VALU_DEP_1)
	v_or_b32_e32 v100, v14, v11
.LBB2_569:                              ;   in Loop: Header=BB2_129 Depth=2
	s_or_b32 exec_lo, exec_lo, s28
                                        ; implicit-def: $vgpr11
.LBB2_570:                              ;   in Loop: Header=BB2_129 Depth=2
	s_and_not1_saveexec_b32 s10, s27
; %bb.571:                              ;   in Loop: Header=BB2_129 Depth=2
	v_or_b32_e32 v100, 0x7b, v11
; %bb.572:                              ;   in Loop: Header=BB2_129 Depth=2
	s_or_b32 exec_lo, exec_lo, s10
                                        ; implicit-def: $vgpr101
                                        ; implicit-def: $vgpr14_vgpr15
                                        ; implicit-def: $vgpr11
.LBB2_573:                              ;   in Loop: Header=BB2_129 Depth=2
	s_and_not1_saveexec_b32 s11, s26
	s_cbranch_execz .LBB2_579
; %bb.574:                              ;   in Loop: Header=BB2_129 Depth=2
	v_cmp_ne_u64_e64 s10, 0, v[14:15]
                                        ; implicit-def: $vgpr100
	s_and_saveexec_b32 s26, s10
	s_delay_alu instid0(SALU_CYCLE_1)
	s_xor_b32 s10, exec_lo, s26
; %bb.575:                              ;   in Loop: Header=BB2_129 Depth=2
	v_or_b32_e32 v100, 0x7f, v11
                                        ; implicit-def: $vgpr101
; %bb.576:                              ;   in Loop: Header=BB2_129 Depth=2
	s_and_not1_saveexec_b32 s26, s10
; %bb.577:                              ;   in Loop: Header=BB2_129 Depth=2
	v_cmp_lt_i32_e64 s10, -1, v101
	s_delay_alu instid0(VALU_DEP_1)
	v_cndmask_b32_e64 v100, 0xfc, v63, s10
; %bb.578:                              ;   in Loop: Header=BB2_129 Depth=2
	s_or_b32 exec_lo, exec_lo, s26
.LBB2_579:                              ;   in Loop: Header=BB2_129 Depth=2
	s_delay_alu instid0(SALU_CYCLE_1) | instskip(SKIP_3) | instid1(VALU_DEP_2)
	s_or_b32 exec_lo, exec_lo, s11
	v_lshrrev_b16 v14, 8, v48
	v_mov_b32_e32 v11, 0
	s_mov_b32 s11, exec_lo
	v_cmpx_ne_u16_e32 0, v14
	s_cbranch_execz .LBB2_589
; %bb.580:                              ;   in Loop: Header=BB2_129 Depth=2
	v_bfrev_b32_e32 v11, 1
	s_mov_b32 s26, exec_lo
	v_cmpx_ne_u16_e32 0x80, v14
	s_cbranch_execz .LBB2_588
; %bb.581:                              ;   in Loop: Header=BB2_129 Depth=2
	v_and_b32_e32 v101, 0xffff, v14
	s_delay_alu instid0(VALU_DEP_1) | instskip(SKIP_1) | instid1(VALU_DEP_2)
	v_and_b32_e32 v11, 0x7c, v101
	v_and_b32_e32 v15, 3, v101
	v_cmp_ne_u32_e64 s10, 0x7c, v11
                                        ; implicit-def: $vgpr11
	s_and_saveexec_b32 s27, s10
	s_delay_alu instid0(SALU_CYCLE_1)
	s_xor_b32 s27, exec_lo, s27
	s_cbranch_execz .LBB2_585
; %bb.582:                              ;   in Loop: Header=BB2_129 Depth=2
	v_bfe_u32 v11, v101, 2, 5
	s_mov_b32 s28, exec_lo
	s_delay_alu instid0(VALU_DEP_1)
	v_cmpx_eq_u32_e32 0, v11
	s_cbranch_execz .LBB2_584
; %bb.583:                              ;   in Loop: Header=BB2_129 Depth=2
	v_clz_i32_u32_e32 v11, v15
	s_delay_alu instid0(VALU_DEP_1) | instskip(SKIP_1) | instid1(VALU_DEP_2)
	v_min_u32_e32 v11, 32, v11
	v_mov_b32_e32 v15, v49
	v_subrev_nc_u32_e32 v101, 29, v11
	v_sub_nc_u32_e32 v11, 30, v11
	s_delay_alu instid0(VALU_DEP_2) | instskip(NEXT) | instid1(VALU_DEP_1)
	v_lshlrev_b64_e32 v[14:15], v101, v[14:15]
	v_and_b32_e32 v15, 3, v14
.LBB2_584:                              ;   in Loop: Header=BB2_129 Depth=2
	s_or_b32 exec_lo, exec_lo, s28
	v_lshlrev_b32_e32 v14, 16, v48
	s_delay_alu instid0(VALU_DEP_1) | instskip(NEXT) | instid1(VALU_DEP_1)
	v_and_b32_e32 v14, 0x80000000, v14
	v_lshl_add_u32 v11, v11, 23, v14
	s_delay_alu instid0(VALU_DEP_1) | instskip(NEXT) | instid1(VALU_DEP_1)
	v_lshl_or_b32 v11, v15, 21, v11
                                        ; implicit-def: $vgpr15
	v_add_nc_u32_e32 v11, 0x38000000, v11
.LBB2_585:                              ;   in Loop: Header=BB2_129 Depth=2
	s_and_not1_saveexec_b32 s27, s27
; %bb.586:                              ;   in Loop: Header=BB2_129 Depth=2
	v_cmp_lt_i16_e64 s10, -1, v48
	s_delay_alu instid0(VALU_DEP_1) | instskip(SKIP_1) | instid1(VALU_DEP_1)
	v_cndmask_b32_e64 v11, 0xff800000, v62, s10
	v_cmp_eq_u32_e64 s10, 0, v15
	v_cndmask_b32_e64 v11, 0x7f800001, v11, s10
; %bb.587:                              ;   in Loop: Header=BB2_129 Depth=2
	s_or_b32 exec_lo, exec_lo, s27
.LBB2_588:                              ;   in Loop: Header=BB2_129 Depth=2
	s_delay_alu instid0(SALU_CYCLE_1)
	s_or_b32 exec_lo, exec_lo, s26
.LBB2_589:                              ;   in Loop: Header=BB2_129 Depth=2
	s_delay_alu instid0(SALU_CYCLE_1) | instskip(SKIP_3) | instid1(VALU_DEP_1)
	s_or_b32 exec_lo, exec_lo, s11
	v_lshrrev_b16 v48, 8, v10
	s_mov_b32 s26, 0
	s_mov_b32 s11, exec_lo
	v_cmpx_lt_i16_e32 0x7f, v48
	s_xor_b32 s11, exec_lo, s11
	s_cbranch_execz .LBB2_700
; %bb.590:                              ;   in Loop: Header=BB2_129 Depth=2
	s_mov_b32 s26, -1
	s_mov_b32 s27, exec_lo
	v_cmpx_eq_u16_e32 0x80, v48
; %bb.591:                              ;   in Loop: Header=BB2_129 Depth=2
	s_xor_b32 s26, exec_lo, -1
; %bb.592:                              ;   in Loop: Header=BB2_129 Depth=2
	s_or_b32 exec_lo, exec_lo, s27
	s_delay_alu instid0(SALU_CYCLE_1)
	s_and_b32 s26, s26, exec_lo
	s_or_saveexec_b32 s11, s11
	v_bfrev_b32_e32 v14, 1
	s_xor_b32 exec_lo, exec_lo, s11
	s_cbranch_execnz .LBB2_701
.LBB2_593:                              ;   in Loop: Header=BB2_129 Depth=2
	s_or_b32 exec_lo, exec_lo, s11
	s_and_saveexec_b32 s11, s26
	s_cbranch_execz .LBB2_595
.LBB2_594:                              ;   in Loop: Header=BB2_129 Depth=2
	v_and_b32_e32 v101, 0xffff, v48
	s_delay_alu instid0(VALU_DEP_1) | instskip(NEXT) | instid1(VALU_DEP_1)
	v_and_b32_e32 v43, 3, v101
	v_clz_i32_u32_e32 v14, v43
	s_delay_alu instid0(VALU_DEP_1) | instskip(NEXT) | instid1(VALU_DEP_1)
	v_min_u32_e32 v44, 32, v14
	v_subrev_nc_u32_e32 v14, 29, v44
	s_delay_alu instid0(VALU_DEP_1) | instskip(SKIP_3) | instid1(VALU_DEP_3)
	v_lshlrev_b64_e32 v[14:15], v14, v[48:49]
	v_lshlrev_b32_e32 v15, 24, v48
	v_bfe_u32 v48, v101, 2, 5
	v_sub_nc_u32_e32 v44, 30, v44
	v_and_b32_e32 v15, 0x80000000, v15
	s_delay_alu instid0(VALU_DEP_3) | instskip(NEXT) | instid1(VALU_DEP_1)
	v_cmp_eq_u32_e64 s10, 0, v48
	v_dual_cndmask_b32 v48, v48, v44, s10 :: v_dual_bitop2_b32 v14, 3, v14 bitop3:0x40
	s_delay_alu instid0(VALU_DEP_1) | instskip(SKIP_1) | instid1(VALU_DEP_3)
	v_cndmask_b32_e64 v14, v43, v14, s10
	v_cmp_lt_i16_e64 s10, -1, v10
	v_lshl_add_u32 v15, v48, 23, v15
	s_delay_alu instid0(VALU_DEP_2) | instskip(SKIP_1) | instid1(VALU_DEP_3)
	v_cndmask_b32_e64 v10, 0xff800000, v62, s10
	v_cmp_eq_u32_e64 s10, 0, v43
	v_lshl_or_b32 v14, v14, 21, v15
	v_and_b32_e32 v15, 0x7c, v101
	s_delay_alu instid0(VALU_DEP_3) | instskip(NEXT) | instid1(VALU_DEP_3)
	v_cndmask_b32_e64 v10, 0x7f800001, v10, s10
	v_add_nc_u32_e32 v14, 0x38000000, v14
	s_delay_alu instid0(VALU_DEP_3) | instskip(NEXT) | instid1(VALU_DEP_1)
	v_cmp_eq_u32_e64 s10, 0x7c, v15
	v_cndmask_b32_e64 v14, v14, v10, s10
.LBB2_595:                              ;   in Loop: Header=BB2_129 Depth=2
	s_or_b32 exec_lo, exec_lo, s11
	s_delay_alu instid0(VALU_DEP_1) | instskip(SKIP_1) | instid1(VALU_DEP_1)
	v_dual_mul_f32 v10, v11, v14 :: v_dual_mov_b32 v15, v49
                                        ; implicit-def: $vgpr101
	s_mov_b32 s11, exec_lo
	v_and_b32_e32 v14, 0x7f800000, v10
	v_and_b32_e32 v48, 0x7fffff, v10
	v_lshrrev_b32_e32 v11, 24, v10
	s_delay_alu instid0(VALU_DEP_3)
	v_cmpx_ne_u64_e32 0x7f800000, v[14:15]
	s_xor_b32 s26, exec_lo, s11
	s_cbranch_execz .LBB2_609
; %bb.596:                              ;   in Loop: Header=BB2_129 Depth=2
	v_and_b32_e32 v14, 0x7fffffff, v10
	v_mov_b32_e32 v15, v49
	v_and_b32_e32 v43, 0x80, v11
                                        ; implicit-def: $vgpr101
	s_mov_b32 s11, exec_lo
	s_delay_alu instid0(VALU_DEP_2)
	v_cmpx_gt_u64_e32 0x47600001, v[14:15]
	s_xor_b32 s27, exec_lo, s11
	s_cbranch_execz .LBB2_606
; %bb.597:                              ;   in Loop: Header=BB2_129 Depth=2
	v_mov_b32_e32 v101, 0
	s_mov_b32 s28, exec_lo
	v_cmpx_ne_u32_e32 0, v10
	s_cbranch_execz .LBB2_605
; %bb.598:                              ;   in Loop: Header=BB2_129 Depth=2
	v_bfe_u32 v101, v10, 23, 8
	v_or_b32_e32 v14, 0x800000, v48
	s_delay_alu instid0(VALU_DEP_2) | instskip(SKIP_1) | instid1(VALU_DEP_1)
	v_sub_nc_u32_e32 v10, 0x71, v101
	v_cmp_gt_u32_e64 s10, 0x72, v101
	v_cndmask_b32_e64 v10, 0, v10, s10
	v_cmp_eq_u32_e64 s10, 0, v101
	s_delay_alu instid0(VALU_DEP_1) | instskip(SKIP_1) | instid1(VALU_DEP_2)
	v_cndmask_b32_e64 v44, v10, 0x70, s10
	v_cndmask_b32_e64 v48, v14, v48, s10
	v_dual_add_nc_u32 v10, 21, v44 :: v_dual_add_nc_u32 v15, 20, v44
	s_delay_alu instid0(VALU_DEP_1) | instskip(NEXT) | instid1(VALU_DEP_2)
	v_lshlrev_b64_e64 v[10:11], v10, -1
	v_lshlrev_b64_e64 v[14:15], v15, 1
	s_delay_alu instid0(VALU_DEP_2) | instskip(NEXT) | instid1(VALU_DEP_3)
	v_bfi_b32 v47, v11, 0, 0
	v_bfi_b32 v46, v10, 0, v48
	v_lshrrev_b64 v[10:11], v44, v[48:49]
	s_delay_alu instid0(VALU_DEP_2) | instskip(NEXT) | instid1(VALU_DEP_2)
	v_cmp_eq_u64_e64 s11, v[46:47], v[14:15]
	v_mov_b64_e32 v[14:15], v[10:11]
	s_and_saveexec_b32 s29, s11
; %bb.599:                              ;   in Loop: Header=BB2_129 Depth=2
	v_bfe_u32 v48, v10, 21, 1
	s_delay_alu instid0(VALU_DEP_1) | instskip(NEXT) | instid1(VALU_DEP_1)
	v_add_nc_u64_e32 v[14:15], v[10:11], v[48:49]
	v_add_nc_u64_e32 v[14:15], -1, v[14:15]
; %bb.600:                              ;   in Loop: Header=BB2_129 Depth=2
	s_or_b32 exec_lo, exec_lo, s29
	v_add_nc_u32_e32 v11, 0xffffff81, v101
	v_lshrrev_b32_e32 v15, 23, v10
	s_mov_b32 s11, exec_lo
	s_delay_alu instid0(VALU_DEP_2) | instskip(NEXT) | instid1(VALU_DEP_1)
	v_cndmask_b32_e64 v11, v11, 0xffffff82, s10
	v_add3_u32 v15, v44, v11, v15
	v_and_b32_e32 v11, 0x1fffff, v14
                                        ; implicit-def: $vgpr14
	s_delay_alu instid0(VALU_DEP_1) | instskip(NEXT) | instid1(VALU_DEP_1)
	v_dual_add_nc_u32 v101, 14, v15 :: v_dual_add_nc_u32 v48, v11, v10
                                        ; implicit-def: $vgpr10_vgpr11
	v_cmpx_ne_u32_e32 0, v101
	s_xor_b32 s11, exec_lo, s11
; %bb.601:                              ;   in Loop: Header=BB2_129 Depth=2
	s_delay_alu instid0(VALU_DEP_2) | instskip(SKIP_1) | instid1(VALU_DEP_1)
	v_cmp_lt_u64_e64 s10, 0xffffff, v[48:49]
	v_add_nc_u32_e32 v10, 15, v15
	v_cndmask_b32_e64 v14, v101, v10, s10
	v_cndmask_b32_e64 v10, 0, 1, s10
	s_delay_alu instid0(VALU_DEP_1)
	v_lshrrev_b64 v[10:11], v10, v[48:49]
; %bb.602:                              ;   in Loop: Header=BB2_129 Depth=2
	s_and_not1_saveexec_b32 s10, s11
; %bb.603:                              ;   in Loop: Header=BB2_129 Depth=2
	v_mov_b64_e32 v[10:11], v[48:49]
	v_bfe_u32 v14, v48, 23, 1
; %bb.604:                              ;   in Loop: Header=BB2_129 Depth=2
	s_or_b32 exec_lo, exec_lo, s10
	s_delay_alu instid0(VALU_DEP_2) | instskip(NEXT) | instid1(VALU_DEP_2)
	v_lshrrev_b64 v[10:11], 21, v[10:11]
	v_cmp_gt_i32_e64 s10, 32, v14
	v_min_i32_e32 v15, 31, v14
	v_cmp_eq_u32_e64 s11, 0, v14
	s_delay_alu instid0(VALU_DEP_3) | instskip(NEXT) | instid1(VALU_DEP_3)
	v_cndmask_b32_e64 v11, 0, v11, s10
	v_dual_lshlrev_b32 v15, 2, v15 :: v_dual_cndmask_b32 v10, 3, v10, s10
	s_delay_alu instid0(VALU_DEP_1) | instskip(NEXT) | instid1(VALU_DEP_2)
	v_and_b32_e32 v15, 0xfc, v15
	v_cmp_eq_u64_e64 s10, 0, v[10:11]
	s_delay_alu instid0(VALU_DEP_2)
	v_and_or_b32 v10, v10, 3, v15
	s_and_b32 s10, s11, s10
	s_delay_alu instid0(VALU_DEP_1) | instid1(SALU_CYCLE_1)
	v_cndmask_b32_e64 v10, v10, 0, s10
	s_delay_alu instid0(VALU_DEP_1)
	v_or_b32_e32 v101, v10, v43
.LBB2_605:                              ;   in Loop: Header=BB2_129 Depth=2
	s_or_b32 exec_lo, exec_lo, s28
                                        ; implicit-def: $vgpr43
.LBB2_606:                              ;   in Loop: Header=BB2_129 Depth=2
	s_and_not1_saveexec_b32 s10, s27
; %bb.607:                              ;   in Loop: Header=BB2_129 Depth=2
	v_or_b32_e32 v101, 0x7b, v43
; %bb.608:                              ;   in Loop: Header=BB2_129 Depth=2
	s_or_b32 exec_lo, exec_lo, s10
                                        ; implicit-def: $vgpr10
                                        ; implicit-def: $vgpr11
.LBB2_609:                              ;   in Loop: Header=BB2_129 Depth=2
	s_and_not1_saveexec_b32 s11, s26
	s_cbranch_execz .LBB2_615
; %bb.610:                              ;   in Loop: Header=BB2_129 Depth=2
	v_cmp_ne_u64_e64 s10, 0, v[48:49]
                                        ; implicit-def: $vgpr101
	s_and_saveexec_b32 s26, s10
	s_delay_alu instid0(SALU_CYCLE_1)
	s_xor_b32 s10, exec_lo, s26
; %bb.611:                              ;   in Loop: Header=BB2_129 Depth=2
	v_or_b32_e32 v101, 0x7f, v11
                                        ; implicit-def: $vgpr10
; %bb.612:                              ;   in Loop: Header=BB2_129 Depth=2
	s_and_not1_saveexec_b32 s26, s10
; %bb.613:                              ;   in Loop: Header=BB2_129 Depth=2
	v_cmp_lt_i32_e64 s10, -1, v10
	s_delay_alu instid0(VALU_DEP_1)
	v_cndmask_b32_e64 v101, 0xfc, v63, s10
; %bb.614:                              ;   in Loop: Header=BB2_129 Depth=2
	s_or_b32 exec_lo, exec_lo, s26
.LBB2_615:                              ;   in Loop: Header=BB2_129 Depth=2
	s_delay_alu instid0(SALU_CYCLE_1) | instskip(SKIP_2) | instid1(VALU_DEP_1)
	s_or_b32 exec_lo, exec_lo, s11
	v_dual_mov_b32 v11, 0 :: v_dual_lshrrev_b32 v10, 16, v17
	s_mov_b32 s11, exec_lo
	v_and_b32_e32 v14, 0xff, v10
	s_delay_alu instid0(VALU_DEP_1)
	v_cmpx_ne_u16_e32 0, v14
	s_cbranch_execz .LBB2_625
; %bb.616:                              ;   in Loop: Header=BB2_129 Depth=2
	v_bfrev_b32_e32 v11, 1
	s_mov_b32 s26, exec_lo
	v_cmpx_ne_u16_e32 0x80, v14
	s_cbranch_execz .LBB2_624
; %bb.617:                              ;   in Loop: Header=BB2_129 Depth=2
	v_and_b32_e32 v11, 0x7c0000, v17
	v_bfe_u32 v14, v17, 16, 2
	s_delay_alu instid0(VALU_DEP_2) | instskip(SKIP_1) | instid1(SALU_CYCLE_1)
	v_cmp_ne_u32_e64 s10, 0x7c0000, v11
                                        ; implicit-def: $vgpr11
	s_and_saveexec_b32 s27, s10
	s_xor_b32 s27, exec_lo, s27
	s_cbranch_execz .LBB2_621
; %bb.618:                              ;   in Loop: Header=BB2_129 Depth=2
	v_bfe_u32 v11, v17, 18, 5
	s_mov_b32 s28, exec_lo
	s_delay_alu instid0(VALU_DEP_1)
	v_cmpx_eq_u32_e32 0, v11
; %bb.619:                              ;   in Loop: Header=BB2_129 Depth=2
	v_clz_i32_u32_e32 v11, v14
	s_delay_alu instid0(VALU_DEP_1) | instskip(NEXT) | instid1(VALU_DEP_1)
	v_min_u32_e32 v11, 32, v11
	v_subrev_nc_u32_e32 v14, 29, v11
	s_delay_alu instid0(VALU_DEP_1) | instskip(NEXT) | instid1(VALU_DEP_1)
	v_lshlrev_b64_e32 v[14:15], v14, v[10:11]
	v_dual_sub_nc_u32 v11, 30, v11 :: v_dual_bitop2_b32 v14, 3, v14 bitop3:0x40
; %bb.620:                              ;   in Loop: Header=BB2_129 Depth=2
	s_or_b32 exec_lo, exec_lo, s28
	v_lshlrev_b32_e32 v10, 24, v10
	s_delay_alu instid0(VALU_DEP_1) | instskip(NEXT) | instid1(VALU_DEP_1)
	v_and_b32_e32 v10, 0x80000000, v10
	v_lshl_add_u32 v10, v11, 23, v10
	s_delay_alu instid0(VALU_DEP_1) | instskip(NEXT) | instid1(VALU_DEP_1)
	v_lshl_or_b32 v10, v14, 21, v10
                                        ; implicit-def: $vgpr14
	v_add_nc_u32_e32 v11, 0x38000000, v10
                                        ; implicit-def: $vgpr10
.LBB2_621:                              ;   in Loop: Header=BB2_129 Depth=2
	s_and_not1_saveexec_b32 s27, s27
; %bb.622:                              ;   in Loop: Header=BB2_129 Depth=2
	v_bfe_i32 v10, v10, 0, 8
	s_delay_alu instid0(VALU_DEP_1) | instskip(NEXT) | instid1(VALU_DEP_1)
	v_cmp_lt_i16_e64 s10, -1, v10
	v_cndmask_b32_e64 v10, 0xff800000, v62, s10
	v_cmp_eq_u32_e64 s10, 0, v14
	s_delay_alu instid0(VALU_DEP_1)
	v_cndmask_b32_e64 v11, 0x7f800001, v10, s10
; %bb.623:                              ;   in Loop: Header=BB2_129 Depth=2
	s_or_b32 exec_lo, exec_lo, s27
.LBB2_624:                              ;   in Loop: Header=BB2_129 Depth=2
	s_delay_alu instid0(SALU_CYCLE_1)
	s_or_b32 exec_lo, exec_lo, s26
.LBB2_625:                              ;   in Loop: Header=BB2_129 Depth=2
	s_delay_alu instid0(SALU_CYCLE_1) | instskip(SKIP_3) | instid1(VALU_DEP_1)
	s_or_b32 exec_lo, exec_lo, s11
	v_lshrrev_b32_e32 v10, 16, v13
	s_mov_b32 s26, 0
	s_mov_b32 s11, exec_lo
	v_and_b32_e32 v15, 0xff, v10
	s_delay_alu instid0(VALU_DEP_1)
	v_cmpx_lt_i16_e32 0x7f, v15
	s_xor_b32 s11, exec_lo, s11
	s_cbranch_execz .LBB2_702
; %bb.626:                              ;   in Loop: Header=BB2_129 Depth=2
	s_mov_b32 s26, -1
	s_mov_b32 s27, exec_lo
	v_cmpx_eq_u16_e32 0x80, v15
; %bb.627:                              ;   in Loop: Header=BB2_129 Depth=2
	s_xor_b32 s26, exec_lo, -1
; %bb.628:                              ;   in Loop: Header=BB2_129 Depth=2
	s_or_b32 exec_lo, exec_lo, s27
	s_delay_alu instid0(SALU_CYCLE_1)
	s_and_b32 s26, s26, exec_lo
                                        ; implicit-def: $vgpr15
	s_or_saveexec_b32 s11, s11
	v_bfrev_b32_e32 v14, 1
	s_xor_b32 exec_lo, exec_lo, s11
	s_cbranch_execnz .LBB2_703
.LBB2_629:                              ;   in Loop: Header=BB2_129 Depth=2
	s_or_b32 exec_lo, exec_lo, s11
	s_and_saveexec_b32 s11, s26
	s_cbranch_execz .LBB2_631
.LBB2_630:                              ;   in Loop: Header=BB2_129 Depth=2
	v_and_b32_e32 v48, 3, v10
	v_bfe_u32 v44, v13, 18, 5
	s_delay_alu instid0(VALU_DEP_2) | instskip(NEXT) | instid1(VALU_DEP_2)
	v_clz_i32_u32_e32 v14, v48
	v_cmp_eq_u32_e64 s10, 0, v44
	s_delay_alu instid0(VALU_DEP_2) | instskip(NEXT) | instid1(VALU_DEP_1)
	v_min_u32_e32 v43, 32, v14
	v_subrev_nc_u32_e32 v14, 29, v43
	s_delay_alu instid0(VALU_DEP_1) | instskip(SKIP_2) | instid1(VALU_DEP_2)
	v_lshlrev_b64_e32 v[14:15], v14, v[10:11]
	v_dual_lshlrev_b32 v15, 24, v10 :: v_dual_sub_nc_u32 v43, 30, v43
	v_bfe_i32 v10, v10, 0, 8
	v_and_b32_e32 v15, 0x80000000, v15
	s_delay_alu instid0(VALU_DEP_3) | instskip(NEXT) | instid1(VALU_DEP_1)
	v_dual_cndmask_b32 v43, v44, v43, s10 :: v_dual_bitop2_b32 v14, 3, v14 bitop3:0x40
	v_cndmask_b32_e64 v14, v48, v14, s10
	s_delay_alu instid0(VALU_DEP_2) | instskip(SKIP_1) | instid1(VALU_DEP_2)
	v_lshl_add_u32 v15, v43, 23, v15
	v_cmp_lt_i16_e64 s10, -1, v10
	v_lshl_or_b32 v14, v14, 21, v15
	s_delay_alu instid0(VALU_DEP_2) | instskip(SKIP_2) | instid1(VALU_DEP_4)
	v_cndmask_b32_e64 v10, 0xff800000, v62, s10
	v_and_b32_e32 v15, 0x7c0000, v13
	v_cmp_eq_u32_e64 s10, 0, v48
	v_add_nc_u32_e32 v14, 0x38000000, v14
	s_delay_alu instid0(VALU_DEP_2) | instskip(NEXT) | instid1(VALU_DEP_4)
	v_cndmask_b32_e64 v10, 0x7f800001, v10, s10
	v_cmp_eq_u32_e64 s10, 0x7c0000, v15
	s_delay_alu instid0(VALU_DEP_1)
	v_cndmask_b32_e64 v14, v14, v10, s10
.LBB2_631:                              ;   in Loop: Header=BB2_129 Depth=2
	s_or_b32 exec_lo, exec_lo, s11
	s_delay_alu instid0(VALU_DEP_1) | instskip(NEXT) | instid1(VALU_DEP_1)
	v_dual_mul_f32 v10, v11, v14 :: v_dual_mov_b32 v15, v49
	v_and_b32_e32 v14, 0x7f800000, v10
	v_and_b32_e32 v48, 0x7fffff, v10
	v_lshrrev_b32_e32 v11, 24, v10
	s_delay_alu instid0(VALU_DEP_3) | instskip(SKIP_1) | instid1(SALU_CYCLE_1)
	v_cmp_ne_u64_e64 s10, 0x7f800000, v[14:15]
                                        ; implicit-def: $vgpr14
	s_and_saveexec_b32 s11, s10
	s_xor_b32 s26, exec_lo, s11
	s_cbranch_execz .LBB2_645
; %bb.632:                              ;   in Loop: Header=BB2_129 Depth=2
	v_and_b32_e32 v14, 0x7fffffff, v10
	v_mov_b32_e32 v15, v49
	v_and_b32_e32 v43, 0x80, v11
	s_delay_alu instid0(VALU_DEP_2) | instskip(SKIP_1) | instid1(SALU_CYCLE_1)
	v_cmp_gt_u64_e64 s10, 0x47600001, v[14:15]
                                        ; implicit-def: $vgpr14
	s_and_saveexec_b32 s11, s10
	s_xor_b32 s27, exec_lo, s11
	s_cbranch_execz .LBB2_642
; %bb.633:                              ;   in Loop: Header=BB2_129 Depth=2
	v_mov_b32_e32 v14, 0
	s_mov_b32 s28, exec_lo
	v_cmpx_ne_u32_e32 0, v10
	s_cbranch_execz .LBB2_641
; %bb.634:                              ;   in Loop: Header=BB2_129 Depth=2
	v_bfe_u32 v44, v10, 23, 8
	v_or_b32_e32 v14, 0x800000, v48
	s_delay_alu instid0(VALU_DEP_2) | instskip(SKIP_1) | instid1(VALU_DEP_1)
	v_sub_nc_u32_e32 v10, 0x71, v44
	v_cmp_gt_u32_e64 s10, 0x72, v44
	v_cndmask_b32_e64 v10, 0, v10, s10
	v_cmp_eq_u32_e64 s10, 0, v44
	s_delay_alu instid0(VALU_DEP_1) | instskip(NEXT) | instid1(VALU_DEP_1)
	v_cndmask_b32_e64 v45, v10, 0x70, s10
	v_dual_cndmask_b32 v48, v14, v48, s10 :: v_dual_add_nc_u32 v10, 21, v45
	v_add_nc_u32_e32 v15, 20, v45
	s_delay_alu instid0(VALU_DEP_2) | instskip(NEXT) | instid1(VALU_DEP_2)
	v_lshlrev_b64_e64 v[10:11], v10, -1
	v_lshlrev_b64_e64 v[14:15], v15, 1
	s_delay_alu instid0(VALU_DEP_2) | instskip(NEXT) | instid1(VALU_DEP_3)
	v_bfi_b32 v47, v11, 0, 0
	v_bfi_b32 v46, v10, 0, v48
	v_lshrrev_b64 v[10:11], v45, v[48:49]
	s_delay_alu instid0(VALU_DEP_2) | instskip(NEXT) | instid1(VALU_DEP_2)
	v_cmp_eq_u64_e64 s11, v[46:47], v[14:15]
	v_mov_b64_e32 v[14:15], v[10:11]
	s_and_saveexec_b32 s29, s11
; %bb.635:                              ;   in Loop: Header=BB2_129 Depth=2
	v_bfe_u32 v48, v10, 21, 1
	s_delay_alu instid0(VALU_DEP_1) | instskip(NEXT) | instid1(VALU_DEP_1)
	v_add_nc_u64_e32 v[14:15], v[10:11], v[48:49]
	v_add_nc_u64_e32 v[14:15], -1, v[14:15]
; %bb.636:                              ;   in Loop: Header=BB2_129 Depth=2
	s_or_b32 exec_lo, exec_lo, s29
	v_add_nc_u32_e32 v11, 0xffffff81, v44
	v_lshrrev_b32_e32 v15, 23, v10
	s_mov_b32 s11, exec_lo
	s_delay_alu instid0(VALU_DEP_2) | instskip(NEXT) | instid1(VALU_DEP_1)
	v_cndmask_b32_e64 v11, v11, 0xffffff82, s10
	v_add3_u32 v15, v45, v11, v15
	v_and_b32_e32 v11, 0x1fffff, v14
                                        ; implicit-def: $vgpr14
	s_delay_alu instid0(VALU_DEP_1) | instskip(NEXT) | instid1(VALU_DEP_1)
	v_dual_add_nc_u32 v44, 14, v15 :: v_dual_add_nc_u32 v48, v11, v10
                                        ; implicit-def: $vgpr10_vgpr11
	v_cmpx_ne_u32_e32 0, v44
	s_xor_b32 s11, exec_lo, s11
; %bb.637:                              ;   in Loop: Header=BB2_129 Depth=2
	s_delay_alu instid0(VALU_DEP_2) | instskip(SKIP_1) | instid1(VALU_DEP_1)
	v_cmp_lt_u64_e64 s10, 0xffffff, v[48:49]
	v_add_nc_u32_e32 v10, 15, v15
	v_cndmask_b32_e64 v14, v44, v10, s10
	v_cndmask_b32_e64 v10, 0, 1, s10
	s_delay_alu instid0(VALU_DEP_1)
	v_lshrrev_b64 v[10:11], v10, v[48:49]
; %bb.638:                              ;   in Loop: Header=BB2_129 Depth=2
	s_and_not1_saveexec_b32 s10, s11
; %bb.639:                              ;   in Loop: Header=BB2_129 Depth=2
	v_mov_b64_e32 v[10:11], v[48:49]
	v_bfe_u32 v14, v48, 23, 1
; %bb.640:                              ;   in Loop: Header=BB2_129 Depth=2
	s_or_b32 exec_lo, exec_lo, s10
	s_delay_alu instid0(VALU_DEP_2) | instskip(NEXT) | instid1(VALU_DEP_2)
	v_lshrrev_b64 v[10:11], 21, v[10:11]
	v_cmp_gt_i32_e64 s10, 32, v14
	v_min_i32_e32 v15, 31, v14
	v_cmp_eq_u32_e64 s11, 0, v14
	s_delay_alu instid0(VALU_DEP_3) | instskip(NEXT) | instid1(VALU_DEP_3)
	v_cndmask_b32_e64 v11, 0, v11, s10
	v_dual_lshlrev_b32 v15, 2, v15 :: v_dual_cndmask_b32 v10, 3, v10, s10
	s_delay_alu instid0(VALU_DEP_1) | instskip(NEXT) | instid1(VALU_DEP_2)
	v_and_b32_e32 v15, 0xfc, v15
	v_cmp_eq_u64_e64 s10, 0, v[10:11]
	s_delay_alu instid0(VALU_DEP_2)
	v_and_or_b32 v10, v10, 3, v15
	s_and_b32 s10, s11, s10
	s_delay_alu instid0(VALU_DEP_1) | instid1(SALU_CYCLE_1)
	v_cndmask_b32_e64 v10, v10, 0, s10
	s_delay_alu instid0(VALU_DEP_1)
	v_or_b32_e32 v14, v10, v43
.LBB2_641:                              ;   in Loop: Header=BB2_129 Depth=2
	s_or_b32 exec_lo, exec_lo, s28
                                        ; implicit-def: $vgpr43
.LBB2_642:                              ;   in Loop: Header=BB2_129 Depth=2
	s_and_not1_saveexec_b32 s10, s27
; %bb.643:                              ;   in Loop: Header=BB2_129 Depth=2
	v_or_b32_e32 v14, 0x7b, v43
; %bb.644:                              ;   in Loop: Header=BB2_129 Depth=2
	s_or_b32 exec_lo, exec_lo, s10
                                        ; implicit-def: $vgpr10
                                        ; implicit-def: $vgpr11
.LBB2_645:                              ;   in Loop: Header=BB2_129 Depth=2
	s_and_not1_saveexec_b32 s11, s26
	s_cbranch_execz .LBB2_651
; %bb.646:                              ;   in Loop: Header=BB2_129 Depth=2
	v_cmp_ne_u64_e64 s10, 0, v[48:49]
                                        ; implicit-def: $vgpr14
	s_and_saveexec_b32 s26, s10
	s_delay_alu instid0(SALU_CYCLE_1)
	s_xor_b32 s10, exec_lo, s26
; %bb.647:                              ;   in Loop: Header=BB2_129 Depth=2
	v_or_b32_e32 v14, 0x7f, v11
                                        ; implicit-def: $vgpr10
; %bb.648:                              ;   in Loop: Header=BB2_129 Depth=2
	s_and_not1_saveexec_b32 s26, s10
; %bb.649:                              ;   in Loop: Header=BB2_129 Depth=2
	v_cmp_lt_i32_e64 s10, -1, v10
	s_delay_alu instid0(VALU_DEP_1)
	v_cndmask_b32_e64 v14, 0xfc, v63, s10
; %bb.650:                              ;   in Loop: Header=BB2_129 Depth=2
	s_or_b32 exec_lo, exec_lo, s26
.LBB2_651:                              ;   in Loop: Header=BB2_129 Depth=2
	s_delay_alu instid0(SALU_CYCLE_1)
	s_or_b32 exec_lo, exec_lo, s11
	v_mov_b32_e32 v11, 0
	s_mov_b32 s11, exec_lo
	v_cmpx_lt_u64_e64 s[12:13], v[16:17]
	s_cbranch_execz .LBB2_661
; %bb.652:                              ;   in Loop: Header=BB2_129 Depth=2
	v_lshrrev_b32_e32 v10, 24, v17
	v_bfrev_b32_e32 v11, 1
	s_mov_b32 s26, exec_lo
	s_delay_alu instid0(VALU_DEP_2)
	v_cmpx_ne_u32_e32 0x80, v10
	s_cbranch_execz .LBB2_660
; %bb.653:                              ;   in Loop: Header=BB2_129 Depth=2
	v_and_b32_e32 v11, 0x7c000000, v17
	v_bfe_u32 v15, v17, 24, 2
	s_delay_alu instid0(VALU_DEP_2) | instskip(SKIP_1) | instid1(SALU_CYCLE_1)
	v_cmp_ne_u32_e64 s10, 0x7c000000, v11
                                        ; implicit-def: $vgpr11
	s_and_saveexec_b32 s27, s10
	s_xor_b32 s27, exec_lo, s27
	s_cbranch_execz .LBB2_657
; %bb.654:                              ;   in Loop: Header=BB2_129 Depth=2
	v_bfe_u32 v11, v17, 26, 5
	s_mov_b32 s28, exec_lo
	s_delay_alu instid0(VALU_DEP_1)
	v_cmpx_eq_u32_e32 0, v11
; %bb.655:                              ;   in Loop: Header=BB2_129 Depth=2
	v_clz_i32_u32_e32 v11, v15
	s_delay_alu instid0(VALU_DEP_1) | instskip(NEXT) | instid1(VALU_DEP_1)
	v_min_u32_e32 v15, 32, v11
	v_subrev_nc_u32_e32 v11, 29, v15
	s_delay_alu instid0(VALU_DEP_1) | instskip(NEXT) | instid1(VALU_DEP_1)
	v_lshlrev_b64_e32 v[10:11], v11, v[10:11]
	v_dual_sub_nc_u32 v11, 30, v15 :: v_dual_bitop2_b32 v15, 3, v10 bitop3:0x40
; %bb.656:                              ;   in Loop: Header=BB2_129 Depth=2
	s_or_b32 exec_lo, exec_lo, s28
	v_and_b32_e32 v10, 0x80000000, v17
                                        ; implicit-def: $vgpr16_vgpr17
	s_delay_alu instid0(VALU_DEP_1) | instskip(NEXT) | instid1(VALU_DEP_1)
	v_lshl_add_u32 v10, v11, 23, v10
	v_lshl_or_b32 v10, v15, 21, v10
                                        ; implicit-def: $vgpr15
	s_delay_alu instid0(VALU_DEP_1)
	v_add_nc_u32_e32 v11, 0x38000000, v10
.LBB2_657:                              ;   in Loop: Header=BB2_129 Depth=2
	s_and_not1_saveexec_b32 s27, s27
; %bb.658:                              ;   in Loop: Header=BB2_129 Depth=2
	v_cmp_lt_i64_e64 s10, -1, v[16:17]
	s_delay_alu instid0(VALU_DEP_1) | instskip(SKIP_1) | instid1(VALU_DEP_1)
	v_cndmask_b32_e64 v10, 0xff800000, v62, s10
	v_cmp_eq_u32_e64 s10, 0, v15
	v_cndmask_b32_e64 v11, 0x7f800001, v10, s10
; %bb.659:                              ;   in Loop: Header=BB2_129 Depth=2
	s_or_b32 exec_lo, exec_lo, s27
.LBB2_660:                              ;   in Loop: Header=BB2_129 Depth=2
	s_delay_alu instid0(SALU_CYCLE_1)
	s_or_b32 exec_lo, exec_lo, s26
.LBB2_661:                              ;   in Loop: Header=BB2_129 Depth=2
	s_delay_alu instid0(SALU_CYCLE_1) | instskip(SKIP_2) | instid1(VALU_DEP_2)
	s_or_b32 exec_lo, exec_lo, s11
	v_bfe_u32 v15, v13, 24, 2
	v_bfe_u32 v43, v13, 26, 5
	v_clz_i32_u32_e32 v10, v15
	s_delay_alu instid0(VALU_DEP_2) | instskip(NEXT) | instid1(VALU_DEP_2)
	v_cmp_eq_u32_e64 s10, 0, v43
	v_min_u32_e32 v48, 32, v10
	v_lshrrev_b32_e32 v10, 24, v13
	s_delay_alu instid0(VALU_DEP_2) | instskip(NEXT) | instid1(VALU_DEP_1)
	v_subrev_nc_u32_e32 v16, 29, v48
	v_lshlrev_b64_e32 v[16:17], v16, v[10:11]
	v_sub_nc_u32_e32 v17, 30, v48
	v_and_b32_e32 v48, 0x80000000, v13
	s_delay_alu instid0(VALU_DEP_2) | instskip(NEXT) | instid1(VALU_DEP_1)
	v_dual_cndmask_b32 v17, v43, v17, s10 :: v_dual_bitop2_b32 v16, 3, v16 bitop3:0x40
	v_lshl_add_u32 v17, v17, 23, v48
	s_delay_alu instid0(VALU_DEP_2) | instskip(SKIP_1) | instid1(VALU_DEP_2)
	v_cndmask_b32_e64 v16, v15, v16, s10
	v_cmp_lt_i64_e64 s10, -1, v[12:13]
	v_lshl_or_b32 v16, v16, 21, v17
	v_and_b32_e32 v17, 0x7c000000, v13
	s_delay_alu instid0(VALU_DEP_3) | instskip(SKIP_1) | instid1(VALU_DEP_4)
	v_cndmask_b32_e64 v48, 0xff800000, v62, s10
	v_cmp_eq_u32_e64 s10, 0, v15
	v_add_nc_u32_e32 v16, 0x38000000, v16
	s_delay_alu instid0(VALU_DEP_2) | instskip(SKIP_1) | instid1(VALU_DEP_1)
	v_cndmask_b32_e64 v15, 0x7f800001, v48, s10
	v_cmp_eq_u32_e64 s10, 0x7c000000, v17
	v_cndmask_b32_e64 v15, v16, v15, s10
	v_cmp_ne_u32_e64 s10, 0x80, v10
	s_delay_alu instid0(VALU_DEP_1) | instskip(SKIP_1) | instid1(VALU_DEP_1)
	v_cndmask_b32_e64 v10, 0x80000000, v15, s10
	v_cmp_lt_u64_e64 s10, s[12:13], v[12:13]
	v_dual_mov_b32 v13, v49 :: v_dual_cndmask_b32 v10, 0, v10, s10
	s_delay_alu instid0(VALU_DEP_1) | instskip(NEXT) | instid1(VALU_DEP_1)
	v_mul_f32_e32 v11, v10, v11
                                        ; implicit-def: $vgpr10
	v_and_b32_e32 v12, 0x7f800000, v11
	v_and_b32_e32 v48, 0x7fffff, v11
	s_delay_alu instid0(VALU_DEP_2) | instskip(SKIP_2) | instid1(SALU_CYCLE_1)
	v_cmp_ne_u64_e64 s10, 0x7f800000, v[12:13]
	v_lshrrev_b32_e32 v12, 24, v11
	s_and_saveexec_b32 s11, s10
	s_xor_b32 s26, exec_lo, s11
	s_cbranch_execz .LBB2_675
; %bb.662:                              ;   in Loop: Header=BB2_129 Depth=2
	v_and_b32_e32 v16, 0x7fffffff, v11
	v_mov_b32_e32 v17, v49
	v_and_b32_e32 v15, 0x80, v12
                                        ; implicit-def: $vgpr10
	s_mov_b32 s11, exec_lo
	s_delay_alu instid0(VALU_DEP_2)
	v_cmpx_gt_u64_e32 0x47600001, v[16:17]
	s_xor_b32 s27, exec_lo, s11
	s_cbranch_execz .LBB2_672
; %bb.663:                              ;   in Loop: Header=BB2_129 Depth=2
	v_mov_b32_e32 v10, 0
	s_mov_b32 s28, exec_lo
	v_cmpx_ne_u32_e32 0, v11
	s_cbranch_execz .LBB2_671
; %bb.664:                              ;   in Loop: Header=BB2_129 Depth=2
	v_bfe_u32 v16, v11, 23, 8
	v_or_b32_e32 v12, 0x800000, v48
	s_delay_alu instid0(VALU_DEP_2) | instskip(SKIP_1) | instid1(VALU_DEP_1)
	v_sub_nc_u32_e32 v10, 0x71, v16
	v_cmp_gt_u32_e64 s10, 0x72, v16
	v_cndmask_b32_e64 v10, 0, v10, s10
	v_cmp_eq_u32_e64 s10, 0, v16
	s_delay_alu instid0(VALU_DEP_1) | instskip(NEXT) | instid1(VALU_DEP_1)
	v_cndmask_b32_e64 v17, v10, 0x70, s10
	v_dual_cndmask_b32 v48, v12, v48, s10 :: v_dual_add_nc_u32 v10, 21, v17
	v_add_nc_u32_e32 v13, 20, v17
	s_delay_alu instid0(VALU_DEP_2) | instskip(NEXT) | instid1(VALU_DEP_2)
	v_lshlrev_b64_e64 v[10:11], v10, -1
	v_lshlrev_b64_e64 v[12:13], v13, 1
	s_delay_alu instid0(VALU_DEP_2) | instskip(NEXT) | instid1(VALU_DEP_3)
	v_bfi_b32 v45, v11, 0, 0
	v_bfi_b32 v44, v10, 0, v48
	v_lshrrev_b64 v[10:11], v17, v[48:49]
	s_delay_alu instid0(VALU_DEP_2) | instskip(NEXT) | instid1(VALU_DEP_2)
	v_cmp_eq_u64_e64 s11, v[44:45], v[12:13]
	v_mov_b64_e32 v[12:13], v[10:11]
	s_and_saveexec_b32 s29, s11
; %bb.665:                              ;   in Loop: Header=BB2_129 Depth=2
	v_bfe_u32 v48, v10, 21, 1
	s_delay_alu instid0(VALU_DEP_1) | instskip(NEXT) | instid1(VALU_DEP_1)
	v_add_nc_u64_e32 v[12:13], v[10:11], v[48:49]
	v_add_nc_u64_e32 v[12:13], -1, v[12:13]
; %bb.666:                              ;   in Loop: Header=BB2_129 Depth=2
	s_or_b32 exec_lo, exec_lo, s29
	v_add_nc_u32_e32 v11, 0xffffff81, v16
	v_lshrrev_b32_e32 v13, 23, v10
	s_mov_b32 s11, exec_lo
	s_delay_alu instid0(VALU_DEP_2) | instskip(NEXT) | instid1(VALU_DEP_1)
	v_cndmask_b32_e64 v11, v11, 0xffffff82, s10
	v_add3_u32 v13, v17, v11, v13
	v_and_b32_e32 v11, 0x1fffff, v12
                                        ; implicit-def: $vgpr12
	s_delay_alu instid0(VALU_DEP_1) | instskip(NEXT) | instid1(VALU_DEP_1)
	v_dual_add_nc_u32 v16, 14, v13 :: v_dual_add_nc_u32 v48, v11, v10
                                        ; implicit-def: $vgpr10_vgpr11
	v_cmpx_ne_u32_e32 0, v16
	s_xor_b32 s11, exec_lo, s11
; %bb.667:                              ;   in Loop: Header=BB2_129 Depth=2
	s_delay_alu instid0(VALU_DEP_2) | instskip(SKIP_1) | instid1(VALU_DEP_1)
	v_cmp_lt_u64_e64 s10, 0xffffff, v[48:49]
	v_add_nc_u32_e32 v10, 15, v13
	v_cndmask_b32_e64 v12, v16, v10, s10
	v_cndmask_b32_e64 v10, 0, 1, s10
	s_delay_alu instid0(VALU_DEP_1)
	v_lshrrev_b64 v[10:11], v10, v[48:49]
; %bb.668:                              ;   in Loop: Header=BB2_129 Depth=2
	s_and_not1_saveexec_b32 s10, s11
; %bb.669:                              ;   in Loop: Header=BB2_129 Depth=2
	v_mov_b64_e32 v[10:11], v[48:49]
	v_bfe_u32 v12, v48, 23, 1
; %bb.670:                              ;   in Loop: Header=BB2_129 Depth=2
	s_or_b32 exec_lo, exec_lo, s10
	s_delay_alu instid0(VALU_DEP_2) | instskip(NEXT) | instid1(VALU_DEP_2)
	v_lshrrev_b64 v[10:11], 21, v[10:11]
	v_cmp_gt_i32_e64 s10, 32, v12
	v_min_i32_e32 v13, 31, v12
	v_cmp_eq_u32_e64 s11, 0, v12
	s_delay_alu instid0(VALU_DEP_2) | instskip(SKIP_1) | instid1(VALU_DEP_2)
	v_dual_cndmask_b32 v11, 0, v11, s10 :: v_dual_lshlrev_b32 v13, 2, v13
	v_cndmask_b32_e64 v10, 3, v10, s10
	v_and_b32_e32 v13, 0xfc, v13
	s_delay_alu instid0(VALU_DEP_2) | instskip(NEXT) | instid1(VALU_DEP_2)
	v_cmp_eq_u64_e64 s10, 0, v[10:11]
	v_and_or_b32 v10, v10, 3, v13
	s_and_b32 s10, s11, s10
	s_delay_alu instid0(VALU_DEP_1) | instid1(SALU_CYCLE_1)
	v_cndmask_b32_e64 v10, v10, 0, s10
	s_delay_alu instid0(VALU_DEP_1)
	v_or_b32_e32 v10, v10, v15
.LBB2_671:                              ;   in Loop: Header=BB2_129 Depth=2
	s_or_b32 exec_lo, exec_lo, s28
                                        ; implicit-def: $vgpr15
.LBB2_672:                              ;   in Loop: Header=BB2_129 Depth=2
	s_and_not1_saveexec_b32 s10, s27
; %bb.673:                              ;   in Loop: Header=BB2_129 Depth=2
	v_or_b32_e32 v10, 0x7b, v15
; %bb.674:                              ;   in Loop: Header=BB2_129 Depth=2
	s_or_b32 exec_lo, exec_lo, s10
                                        ; implicit-def: $vgpr11
                                        ; implicit-def: $vgpr12
.LBB2_675:                              ;   in Loop: Header=BB2_129 Depth=2
	s_and_not1_saveexec_b32 s11, s26
	s_cbranch_execz .LBB2_128
; %bb.676:                              ;   in Loop: Header=BB2_129 Depth=2
	v_cmp_ne_u64_e64 s10, 0, v[48:49]
                                        ; implicit-def: $vgpr10
	s_and_saveexec_b32 s26, s10
	s_delay_alu instid0(SALU_CYCLE_1)
	s_xor_b32 s10, exec_lo, s26
; %bb.677:                              ;   in Loop: Header=BB2_129 Depth=2
	v_or_b32_e32 v10, 0x7f, v12
                                        ; implicit-def: $vgpr11
; %bb.678:                              ;   in Loop: Header=BB2_129 Depth=2
	s_and_not1_saveexec_b32 s26, s10
	s_cbranch_execz .LBB2_127
; %bb.679:                              ;   in Loop: Header=BB2_129 Depth=2
	v_cmp_lt_i32_e64 s10, -1, v11
	s_delay_alu instid0(VALU_DEP_1)
	v_cndmask_b32_e64 v10, 0xfc, v63, s10
	s_branch .LBB2_127
.LBB2_680:                              ;   in Loop: Header=BB2_129 Depth=2
	s_or_saveexec_b32 s11, s11
	v_bfrev_b32_e32 v48, 1
	s_xor_b32 exec_lo, exec_lo, s11
	s_cbranch_execz .LBB2_143
.LBB2_681:                              ;   in Loop: Header=BB2_129 Depth=2
	v_cmp_ne_u16_e64 s10, 0, v100
	v_mov_b32_e32 v48, 0
	s_and_not1_b32 s26, s26, exec_lo
	s_and_b32 s10, s10, exec_lo
	s_delay_alu instid0(SALU_CYCLE_1)
	s_or_b32 s26, s26, s10
	s_or_b32 exec_lo, exec_lo, s11
	s_and_saveexec_b32 s11, s26
	s_cbranch_execnz .LBB2_144
	s_branch .LBB2_145
.LBB2_682:                              ;   in Loop: Header=BB2_129 Depth=2
	s_or_saveexec_b32 s11, s11
	v_bfrev_b32_e32 v100, 1
	s_xor_b32 exec_lo, exec_lo, s11
	s_cbranch_execz .LBB2_179
.LBB2_683:                              ;   in Loop: Header=BB2_129 Depth=2
	v_cmp_ne_u16_e64 s10, 0, v48
	v_mov_b32_e32 v100, 0
	s_and_not1_b32 s26, s26, exec_lo
	s_and_b32 s10, s10, exec_lo
	s_delay_alu instid0(SALU_CYCLE_1)
	s_or_b32 s26, s26, s10
	s_or_b32 exec_lo, exec_lo, s11
	s_and_saveexec_b32 s11, s26
	s_cbranch_execnz .LBB2_180
	s_branch .LBB2_181
.LBB2_684:                              ;   in Loop: Header=BB2_129 Depth=2
	s_or_saveexec_b32 s11, s11
	v_bfrev_b32_e32 v100, 1
	s_xor_b32 exec_lo, exec_lo, s11
	s_cbranch_execz .LBB2_215
.LBB2_685:                              ;   in Loop: Header=BB2_129 Depth=2
	v_cmp_ne_u16_e64 s10, 0, v101
	v_mov_b32_e32 v100, 0
	s_and_not1_b32 s26, s26, exec_lo
	s_and_b32 s10, s10, exec_lo
	s_delay_alu instid0(SALU_CYCLE_1)
	s_or_b32 s26, s26, s10
	s_or_b32 exec_lo, exec_lo, s11
	s_and_saveexec_b32 s11, s26
	s_cbranch_execnz .LBB2_216
	s_branch .LBB2_217
.LBB2_686:                              ;   in Loop: Header=BB2_129 Depth=2
	s_or_saveexec_b32 s11, s11
	v_bfrev_b32_e32 v102, 1
	s_xor_b32 exec_lo, exec_lo, s11
	s_cbranch_execz .LBB2_281
.LBB2_687:                              ;   in Loop: Header=BB2_129 Depth=2
	v_cmp_ne_u16_e64 s10, 0, v101
	v_mov_b32_e32 v102, 0
	s_and_not1_b32 s26, s26, exec_lo
	s_and_b32 s10, s10, exec_lo
	s_delay_alu instid0(SALU_CYCLE_1)
	s_or_b32 s26, s26, s10
	s_or_b32 exec_lo, exec_lo, s11
	v_mov_b32_e32 v101, v49
	s_and_saveexec_b32 s11, s26
	s_cbranch_execnz .LBB2_282
	s_branch .LBB2_283
.LBB2_688:                              ;   in Loop: Header=BB2_129 Depth=2
	s_or_saveexec_b32 s11, s11
	v_bfrev_b32_e32 v101, 1
	s_xor_b32 exec_lo, exec_lo, s11
	s_cbranch_execz .LBB2_317
.LBB2_689:                              ;   in Loop: Header=BB2_129 Depth=2
	v_cmp_ne_u16_e64 s10, 0, v48
	v_mov_b32_e32 v101, 0
	s_and_not1_b32 s26, s26, exec_lo
	s_and_b32 s10, s10, exec_lo
	s_delay_alu instid0(SALU_CYCLE_1)
	s_or_b32 s26, s26, s10
	s_or_b32 exec_lo, exec_lo, s11
	s_and_saveexec_b32 s11, s26
	s_cbranch_execnz .LBB2_318
	s_branch .LBB2_319
.LBB2_690:                              ;   in Loop: Header=BB2_129 Depth=2
	s_or_saveexec_b32 s11, s11
	v_bfrev_b32_e32 v100, 1
	s_xor_b32 exec_lo, exec_lo, s11
	s_cbranch_execz .LBB2_353
.LBB2_691:                              ;   in Loop: Header=BB2_129 Depth=2
	v_cmp_ne_u16_e64 s10, 0, v101
	v_mov_b32_e32 v100, 0
	s_and_not1_b32 s26, s26, exec_lo
	s_and_b32 s10, s10, exec_lo
	s_delay_alu instid0(SALU_CYCLE_1)
	s_or_b32 s26, s26, s10
	s_or_b32 exec_lo, exec_lo, s11
	s_and_saveexec_b32 s11, s26
	s_cbranch_execnz .LBB2_354
	s_branch .LBB2_355
.LBB2_692:                              ;   in Loop: Header=BB2_129 Depth=2
	s_or_saveexec_b32 s11, s11
	v_bfrev_b32_e32 v11, 1
	s_xor_b32 exec_lo, exec_lo, s11
	s_cbranch_execz .LBB2_419
.LBB2_693:                              ;   in Loop: Header=BB2_129 Depth=2
	v_cmp_ne_u16_e64 s10, 0, v14
	v_mov_b32_e32 v11, 0
	s_and_not1_b32 s26, s26, exec_lo
	s_and_b32 s10, s10, exec_lo
	s_delay_alu instid0(SALU_CYCLE_1)
	s_or_b32 s26, s26, s10
	s_or_b32 exec_lo, exec_lo, s11
	s_and_saveexec_b32 s11, s26
	s_cbranch_execnz .LBB2_420
	s_branch .LBB2_421
.LBB2_694:                              ;   in Loop: Header=BB2_129 Depth=2
	s_or_saveexec_b32 s11, s11
	v_bfrev_b32_e32 v11, 1
	s_xor_b32 exec_lo, exec_lo, s11
	s_cbranch_execz .LBB2_455
.LBB2_695:                              ;   in Loop: Header=BB2_129 Depth=2
	v_cmp_ne_u16_e64 s10, 0, v48
	v_mov_b32_e32 v11, 0
	s_and_not1_b32 s26, s26, exec_lo
	s_and_b32 s10, s10, exec_lo
	s_delay_alu instid0(SALU_CYCLE_1)
	s_or_b32 s26, s26, s10
	s_or_b32 exec_lo, exec_lo, s11
	s_and_saveexec_b32 s11, s26
	s_cbranch_execnz .LBB2_456
	s_branch .LBB2_457
.LBB2_696:                              ;   in Loop: Header=BB2_129 Depth=2
	s_or_saveexec_b32 s11, s11
	v_bfrev_b32_e32 v14, 1
	s_xor_b32 exec_lo, exec_lo, s11
	s_cbranch_execz .LBB2_491
.LBB2_697:                              ;   in Loop: Header=BB2_129 Depth=2
	v_cmp_ne_u16_e64 s10, 0, v15
	v_mov_b32_e32 v14, 0
	s_and_not1_b32 s26, s26, exec_lo
	s_and_b32 s10, s10, exec_lo
	s_delay_alu instid0(SALU_CYCLE_1)
	s_or_b32 s26, s26, s10
	s_or_b32 exec_lo, exec_lo, s11
	s_and_saveexec_b32 s11, s26
	s_cbranch_execnz .LBB2_492
	s_branch .LBB2_493
.LBB2_698:                              ;   in Loop: Header=BB2_129 Depth=2
	s_or_saveexec_b32 s11, s11
	v_bfrev_b32_e32 v15, 1
	s_xor_b32 exec_lo, exec_lo, s11
	s_cbranch_execz .LBB2_557
.LBB2_699:                              ;   in Loop: Header=BB2_129 Depth=2
	v_cmp_ne_u16_e64 s10, 0, v11
	v_mov_b32_e32 v15, 0
	s_and_not1_b32 s26, s26, exec_lo
	s_and_b32 s10, s10, exec_lo
	s_delay_alu instid0(SALU_CYCLE_1)
	s_or_b32 s26, s26, s10
	s_or_b32 exec_lo, exec_lo, s11
	v_mov_b32_e32 v11, v49
	s_and_saveexec_b32 s11, s26
	s_cbranch_execnz .LBB2_558
	s_branch .LBB2_559
.LBB2_700:                              ;   in Loop: Header=BB2_129 Depth=2
	s_or_saveexec_b32 s11, s11
	v_bfrev_b32_e32 v14, 1
	s_xor_b32 exec_lo, exec_lo, s11
	s_cbranch_execz .LBB2_593
.LBB2_701:                              ;   in Loop: Header=BB2_129 Depth=2
	v_cmp_ne_u16_e64 s10, 0, v48
	v_mov_b32_e32 v14, 0
	s_and_not1_b32 s26, s26, exec_lo
	s_and_b32 s10, s10, exec_lo
	s_delay_alu instid0(SALU_CYCLE_1)
	s_or_b32 s26, s26, s10
	s_or_b32 exec_lo, exec_lo, s11
	s_and_saveexec_b32 s11, s26
	s_cbranch_execnz .LBB2_594
	s_branch .LBB2_595
.LBB2_702:                              ;   in Loop: Header=BB2_129 Depth=2
	s_or_saveexec_b32 s11, s11
	v_bfrev_b32_e32 v14, 1
	s_xor_b32 exec_lo, exec_lo, s11
	s_cbranch_execz .LBB2_629
.LBB2_703:                              ;   in Loop: Header=BB2_129 Depth=2
	v_cmp_ne_u16_e64 s10, 0, v15
	v_mov_b32_e32 v14, 0
	s_and_not1_b32 s26, s26, exec_lo
	s_and_b32 s10, s10, exec_lo
	s_delay_alu instid0(SALU_CYCLE_1)
	s_or_b32 s26, s26, s10
	s_or_b32 exec_lo, exec_lo, s11
	s_and_saveexec_b32 s11, s26
	s_cbranch_execnz .LBB2_630
	s_branch .LBB2_631
.LBB2_704:                              ;   in Loop: Header=BB2_49 Depth=1
	s_or_b32 exec_lo, exec_lo, s25
.LBB2_705:                              ;   in Loop: Header=BB2_49 Depth=1
	s_delay_alu instid0(SALU_CYCLE_1) | instskip(SKIP_3) | instid1(VALU_DEP_1)
	s_or_b32 exec_lo, exec_lo, s24
	v_and_b32_e32 v10, 15, v71
	s_mov_b32 s24, 0
	s_mov_b32 s11, exec_lo
                                        ; implicit-def: $vgpr30
	v_dual_cndmask_b32 v72, v81, v10 :: v_dual_mov_b32 v81, 0
	s_delay_alu instid0(VALU_DEP_1)
	v_cmpx_ne_u32_e32 0, v72
	s_cbranch_execz .LBB2_1287
; %bb.706:                              ;   in Loop: Header=BB2_49 Depth=1
	v_cmp_lt_i32_e64 s10, 0, v114
	s_mov_b32 s24, exec_lo
	v_cndmask_b32_e64 v10, 0, v38, s10
	s_delay_alu instid0(VALU_DEP_1) | instskip(NEXT) | instid1(VALU_DEP_1)
	v_sub_nc_u32_e32 v10, v10, v114
	v_lshl_add_u32 v10, v10, 5, v58
	s_delay_alu instid0(VALU_DEP_1) | instskip(NEXT) | instid1(VALU_DEP_1)
	v_ashrrev_i32_e32 v11, 31, v10
	v_lshrrev_b32_e32 v11, 27, v11
	s_delay_alu instid0(VALU_DEP_1) | instskip(NEXT) | instid1(VALU_DEP_1)
	v_add_nc_u32_e32 v11, v10, v11
	v_and_b32_e32 v12, 0xffffffe0, v11
	s_delay_alu instid0(VALU_DEP_1) | instskip(SKIP_1) | instid1(VALU_DEP_2)
	v_sub_nc_u32_e32 v114, v10, v12
	v_and_b32_e32 v12, 0x1f0, v71
	v_dual_lshlrev_b32 v10, 4, v114 :: v_dual_ashrrev_i32 v11, 5, v11
	s_delay_alu instid0(VALU_DEP_1) | instskip(NEXT) | instid1(VALU_DEP_3)
	v_lshl_add_u32 v10, v11, 9, v10
	v_dual_cndmask_b32 v12, 0, v12 :: v_dual_sub_nc_u32 v115, 0, v11
	s_delay_alu instid0(VALU_DEP_2) | instskip(NEXT) | instid1(VALU_DEP_2)
	v_sub_nc_u32_e32 v116, v72, v10
	v_and_or_b32 v81, 0x3ffffe00, v71, v12
	s_delay_alu instid0(VALU_DEP_2)
	v_cmpx_lt_i32_e32 15, v116
	s_cbranch_execz .LBB2_1286
; %bb.707:                              ;   in Loop: Header=BB2_49 Depth=1
	s_trap 2
	ds_load_b64 v[12:13], v0
	v_add_nc_u32_e32 v10, v10, v81
	s_mov_b32 s25, 0
	s_delay_alu instid0(VALU_DEP_1) | instskip(NEXT) | instid1(VALU_DEP_1)
	v_ashrrev_i32_e32 v11, 31, v10
	v_add_nc_u64_e32 v[86:87], v[10:11], v[82:83]
	v_add_nc_u64_e32 v[98:99], v[10:11], v[84:85]
	s_wait_dscnt 0x0
	v_add_nc_u64_e32 v[96:97], v[12:13], v[10:11]
	s_branch .LBB2_710
.LBB2_708:                              ;   in Loop: Header=BB2_710 Depth=2
	s_or_b32 exec_lo, exec_lo, s26
.LBB2_709:                              ;   in Loop: Header=BB2_710 Depth=2
	s_delay_alu instid0(SALU_CYCLE_1)
	s_or_b32 exec_lo, exec_lo, s10
	v_lshl_or_b32 v11, v113, 8, v112
	v_dual_lshlrev_b32 v12, 16, v102 :: v_dual_lshlrev_b32 v16, 16, v119
	v_dual_lshlrev_b32 v13, 24, v30 :: v_dual_lshlrev_b32 v17, 24, v40
	v_lshl_or_b32 v15, v118, 8, v117
	v_lshl_or_b32 v30, v41, 8, v103
	v_dual_lshlrev_b32 v48, 16, v42 :: v_dual_lshlrev_b32 v102, 24, v43
	v_dual_lshlrev_b32 v103, 24, v10 :: v_dual_sub_nc_u32 v116, v116, v52
	v_lshlrev_b32_e32 v14, 16, v14
	v_lshl_or_b32 v100, v101, 8, v100
	v_or3_b32 v11, v11, v12, v13
	v_or3_b32 v10, v15, v16, v17
	v_or3_b32 v12, v30, v48, v102
	v_add_nc_u64_e32 v[86:87], v[86:87], v[52:53]
	v_or3_b32 v13, v100, v14, v103
	v_add_nc_u64_e32 v[96:97], v[96:97], v[52:53]
	v_cmp_gt_i32_e32 vcc_lo, 16, v116
	v_sub_nc_u32_e32 v115, v115, v38
	global_store_b128 v[98:99], v[10:13], off th:TH_STORE_NT
	s_wait_xcnt 0x0
	v_add_nc_u64_e32 v[98:99], v[98:99], v[52:53]
	s_or_b32 s25, vcc_lo, s25
	s_delay_alu instid0(SALU_CYCLE_1)
	s_and_not1_b32 exec_lo, exec_lo, s25
	s_cbranch_execz .LBB2_1285
.LBB2_710:                              ;   Parent Loop BB2_49 Depth=1
                                        ; =>  This Inner Loop Header: Depth=2
	global_load_b128 v[14:17], v[86:87], off th:TH_LOAD_NT
	global_load_b128 v[10:13], v[96:97], off th:TH_LOAD_NT
	s_wait_loadcnt 0x1
	v_and_b32_e32 v30, 0xff, v14
	s_delay_alu instid0(VALU_DEP_1)
	v_cmp_ne_u16_e32 vcc_lo, 0, v30
	v_mov_b32_e32 v30, 0
	s_wait_xcnt 0x0
	s_and_saveexec_b32 s10, vcc_lo
	s_cbranch_execz .LBB2_720
; %bb.711:                              ;   in Loop: Header=BB2_710 Depth=2
	v_bfe_i32 v100, v14, 0, 8
	v_bfrev_b32_e32 v30, 1
	s_mov_b32 s26, exec_lo
	s_delay_alu instid0(VALU_DEP_2)
	v_cmpx_ne_u16_e32 0xff80, v100
	s_cbranch_execz .LBB2_719
; %bb.712:                              ;   in Loop: Header=BB2_710 Depth=2
	v_and_b32_e32 v30, 0x7c, v14
	v_and_b32_e32 v48, 3, v14
	s_delay_alu instid0(VALU_DEP_2) | instskip(SKIP_1) | instid1(SALU_CYCLE_1)
	v_cmp_ne_u32_e32 vcc_lo, 0x7c, v30
                                        ; implicit-def: $vgpr30
	s_and_saveexec_b32 s27, vcc_lo
	s_xor_b32 s27, exec_lo, s27
	s_cbranch_execz .LBB2_716
; %bb.713:                              ;   in Loop: Header=BB2_710 Depth=2
	v_bfe_u32 v30, v14, 2, 5
	s_mov_b32 s28, exec_lo
	s_delay_alu instid0(VALU_DEP_1)
	v_cmpx_eq_u32_e32 0, v30
; %bb.714:                              ;   in Loop: Header=BB2_710 Depth=2
	v_clz_i32_u32_e32 v30, v48
	s_delay_alu instid0(VALU_DEP_1) | instskip(NEXT) | instid1(VALU_DEP_1)
	v_min_u32_e32 v30, 32, v30
	v_subrev_nc_u32_e32 v48, 29, v30
	s_delay_alu instid0(VALU_DEP_1) | instskip(NEXT) | instid1(VALU_DEP_1)
	v_lshlrev_b64_e32 v[100:101], v48, v[14:15]
	v_dual_sub_nc_u32 v30, 30, v30 :: v_dual_bitop2_b32 v48, 3, v100 bitop3:0x40
; %bb.715:                              ;   in Loop: Header=BB2_710 Depth=2
	s_or_b32 exec_lo, exec_lo, s28
	v_lshlrev_b32_e32 v100, 24, v14
	s_delay_alu instid0(VALU_DEP_1) | instskip(NEXT) | instid1(VALU_DEP_1)
	v_and_b32_e32 v100, 0x80000000, v100
	v_lshl_add_u32 v30, v30, 23, v100
                                        ; implicit-def: $vgpr100
	s_delay_alu instid0(VALU_DEP_1) | instskip(NEXT) | instid1(VALU_DEP_1)
	v_lshl_or_b32 v30, v48, 21, v30
                                        ; implicit-def: $vgpr48
	v_add_nc_u32_e32 v30, 0x38000000, v30
.LBB2_716:                              ;   in Loop: Header=BB2_710 Depth=2
	s_and_not1_saveexec_b32 s27, s27
; %bb.717:                              ;   in Loop: Header=BB2_710 Depth=2
	v_cmp_lt_i16_e32 vcc_lo, -1, v100
	v_cndmask_b32_e32 v30, 0xff800000, v62, vcc_lo
	v_cmp_eq_u32_e32 vcc_lo, 0, v48
	s_delay_alu instid0(VALU_DEP_2)
	v_cndmask_b32_e32 v30, 0x7f800001, v30, vcc_lo
; %bb.718:                              ;   in Loop: Header=BB2_710 Depth=2
	s_or_b32 exec_lo, exec_lo, s27
.LBB2_719:                              ;   in Loop: Header=BB2_710 Depth=2
	s_delay_alu instid0(SALU_CYCLE_1)
	s_or_b32 exec_lo, exec_lo, s26
.LBB2_720:                              ;   in Loop: Header=BB2_710 Depth=2
	s_delay_alu instid0(SALU_CYCLE_1) | instskip(SKIP_4) | instid1(VALU_DEP_1)
	s_or_b32 exec_lo, exec_lo, s10
	s_wait_loadcnt 0x0
	v_and_b32_e32 v100, 0xff, v10
	s_mov_b32 s26, 0
	s_mov_b32 s10, exec_lo
	v_cmpx_lt_i16_e32 0x7f, v100
	s_xor_b32 s10, exec_lo, s10
	s_cbranch_execz .LBB2_1261
; %bb.721:                              ;   in Loop: Header=BB2_710 Depth=2
	s_mov_b32 s26, -1
	s_mov_b32 s27, exec_lo
	v_cmpx_eq_u16_e32 0x80, v100
; %bb.722:                              ;   in Loop: Header=BB2_710 Depth=2
	s_xor_b32 s26, exec_lo, -1
; %bb.723:                              ;   in Loop: Header=BB2_710 Depth=2
	s_or_b32 exec_lo, exec_lo, s27
	s_delay_alu instid0(SALU_CYCLE_1)
	s_and_b32 s26, s26, exec_lo
                                        ; implicit-def: $vgpr100
	s_or_saveexec_b32 s10, s10
	v_bfrev_b32_e32 v48, 1
	s_xor_b32 exec_lo, exec_lo, s10
	s_cbranch_execnz .LBB2_1262
.LBB2_724:                              ;   in Loop: Header=BB2_710 Depth=2
	s_or_b32 exec_lo, exec_lo, s10
	s_and_saveexec_b32 s10, s26
	s_cbranch_execz .LBB2_726
.LBB2_725:                              ;   in Loop: Header=BB2_710 Depth=2
	v_and_b32_e32 v48, 3, v10
	v_bfe_u32 v103, v10, 2, 5
	s_delay_alu instid0(VALU_DEP_2) | instskip(NEXT) | instid1(VALU_DEP_2)
	v_clz_i32_u32_e32 v100, v48
	v_cmp_eq_u32_e32 vcc_lo, 0, v103
	s_delay_alu instid0(VALU_DEP_2) | instskip(NEXT) | instid1(VALU_DEP_1)
	v_min_u32_e32 v102, 32, v100
	v_subrev_nc_u32_e32 v100, 29, v102
	s_delay_alu instid0(VALU_DEP_1) | instskip(SKIP_2) | instid1(VALU_DEP_2)
	v_lshlrev_b64_e32 v[100:101], v100, v[10:11]
	v_lshlrev_b32_e32 v101, 24, v10
	v_sub_nc_u32_e32 v102, 30, v102
	v_and_b32_e32 v101, 0x80000000, v101
	s_delay_alu instid0(VALU_DEP_2) | instskip(SKIP_1) | instid1(VALU_DEP_2)
	v_dual_cndmask_b32 v102, v103, v102, vcc_lo :: v_dual_bitop2_b32 v100, 3, v100 bitop3:0x40
	v_bfe_i32 v103, v10, 0, 8
	v_cndmask_b32_e32 v100, v48, v100, vcc_lo
	s_delay_alu instid0(VALU_DEP_3) | instskip(NEXT) | instid1(VALU_DEP_3)
	v_lshl_add_u32 v101, v102, 23, v101
	v_cmp_lt_i16_e32 vcc_lo, -1, v103
	s_delay_alu instid0(VALU_DEP_2) | instskip(SKIP_3) | instid1(VALU_DEP_4)
	v_lshl_or_b32 v100, v100, 21, v101
	v_cndmask_b32_e32 v102, 0xff800000, v62, vcc_lo
	v_and_b32_e32 v101, 0x7c, v10
	v_cmp_eq_u32_e32 vcc_lo, 0, v48
	v_add_nc_u32_e32 v100, 0x38000000, v100
	s_delay_alu instid0(VALU_DEP_4) | instskip(NEXT) | instid1(VALU_DEP_4)
	v_cndmask_b32_e32 v48, 0x7f800001, v102, vcc_lo
	v_cmp_eq_u32_e32 vcc_lo, 0x7c, v101
	s_delay_alu instid0(VALU_DEP_2)
	v_cndmask_b32_e32 v48, v100, v48, vcc_lo
.LBB2_726:                              ;   in Loop: Header=BB2_710 Depth=2
	s_or_b32 exec_lo, exec_lo, s10
	s_delay_alu instid0(VALU_DEP_1) | instskip(SKIP_1) | instid1(VALU_DEP_1)
	v_dual_mul_f32 v100, v30, v48 :: v_dual_mov_b32 v103, v49
                                        ; implicit-def: $vgpr117
	s_mov_b32 s10, exec_lo
	v_and_b32_e32 v102, 0x7f800000, v100
	v_and_b32_e32 v48, 0x7fffff, v100
	v_lshrrev_b32_e32 v30, 24, v100
	s_delay_alu instid0(VALU_DEP_3)
	v_cmpx_ne_u64_e32 0x7f800000, v[102:103]
	s_xor_b32 s26, exec_lo, s10
	s_cbranch_execz .LBB2_740
; %bb.727:                              ;   in Loop: Header=BB2_710 Depth=2
	v_and_b32_e32 v102, 0x7fffffff, v100
	v_mov_b32_e32 v103, v49
	v_and_b32_e32 v30, 0x80, v30
                                        ; implicit-def: $vgpr117
	s_mov_b32 s10, exec_lo
	s_delay_alu instid0(VALU_DEP_2)
	v_cmpx_gt_u64_e32 0x47600001, v[102:103]
	s_xor_b32 s27, exec_lo, s10
	s_cbranch_execz .LBB2_737
; %bb.728:                              ;   in Loop: Header=BB2_710 Depth=2
	v_mov_b32_e32 v117, 0
	s_mov_b32 s28, exec_lo
	v_cmpx_ne_u32_e32 0, v100
	s_cbranch_execz .LBB2_736
; %bb.729:                              ;   in Loop: Header=BB2_710 Depth=2
	v_bfe_u32 v112, v100, 23, 8
	v_or_b32_e32 v102, 0x800000, v48
	s_delay_alu instid0(VALU_DEP_2) | instskip(SKIP_1) | instid1(VALU_DEP_2)
	v_sub_nc_u32_e32 v100, 0x71, v112
	v_cmp_gt_u32_e32 vcc_lo, 0x72, v112
	v_cndmask_b32_e32 v100, 0, v100, vcc_lo
	v_cmp_eq_u32_e32 vcc_lo, 0, v112
	s_delay_alu instid0(VALU_DEP_2) | instskip(NEXT) | instid1(VALU_DEP_1)
	v_cndmask_b32_e64 v113, v100, 0x70, vcc_lo
	v_dual_cndmask_b32 v48, v102, v48, vcc_lo :: v_dual_add_nc_u32 v100, 21, v113
	v_add_nc_u32_e32 v103, 20, v113
	s_delay_alu instid0(VALU_DEP_2) | instskip(NEXT) | instid1(VALU_DEP_2)
	v_lshlrev_b64_e64 v[100:101], v100, -1
	v_lshlrev_b64_e64 v[102:103], v103, 1
	s_delay_alu instid0(VALU_DEP_2) | instskip(NEXT) | instid1(VALU_DEP_3)
	v_bfi_b32 v119, v101, 0, 0
	v_bfi_b32 v118, v100, 0, v48
	v_lshrrev_b64 v[100:101], v113, v[48:49]
	s_delay_alu instid0(VALU_DEP_2) | instskip(NEXT) | instid1(VALU_DEP_2)
	v_cmp_eq_u64_e64 s10, v[118:119], v[102:103]
	v_mov_b64_e32 v[102:103], v[100:101]
	s_and_saveexec_b32 s29, s10
; %bb.730:                              ;   in Loop: Header=BB2_710 Depth=2
	v_bfe_u32 v48, v100, 21, 1
	s_delay_alu instid0(VALU_DEP_1) | instskip(NEXT) | instid1(VALU_DEP_1)
	v_add_nc_u64_e32 v[102:103], v[100:101], v[48:49]
	v_add_nc_u64_e32 v[102:103], -1, v[102:103]
; %bb.731:                              ;   in Loop: Header=BB2_710 Depth=2
	s_or_b32 exec_lo, exec_lo, s29
	v_add_nc_u32_e32 v48, 0xffffff81, v112
	v_lshrrev_b32_e32 v101, 23, v100
	s_mov_b32 s10, exec_lo
	s_delay_alu instid0(VALU_DEP_2) | instskip(NEXT) | instid1(VALU_DEP_1)
	v_cndmask_b32_e64 v48, v48, 0xffffff82, vcc_lo
	v_add3_u32 v103, v113, v48, v101
	v_and_b32_e32 v48, 0x1fffff, v102
                                        ; implicit-def: $vgpr102
	s_delay_alu instid0(VALU_DEP_1) | instskip(NEXT) | instid1(VALU_DEP_1)
	v_dual_add_nc_u32 v112, 14, v103 :: v_dual_add_nc_u32 v48, v48, v100
                                        ; implicit-def: $vgpr100_vgpr101
	v_cmpx_ne_u32_e32 0, v112
	s_xor_b32 s10, exec_lo, s10
; %bb.732:                              ;   in Loop: Header=BB2_710 Depth=2
	s_delay_alu instid0(VALU_DEP_2) | instskip(SKIP_1) | instid1(VALU_DEP_1)
	v_cmp_lt_u64_e32 vcc_lo, 0xffffff, v[48:49]
	v_add_nc_u32_e32 v100, 15, v103
	v_cndmask_b32_e32 v102, v112, v100, vcc_lo
	v_cndmask_b32_e64 v100, 0, 1, vcc_lo
	s_delay_alu instid0(VALU_DEP_1)
	v_lshrrev_b64 v[100:101], v100, v[48:49]
; %bb.733:                              ;   in Loop: Header=BB2_710 Depth=2
	s_and_not1_saveexec_b32 s10, s10
; %bb.734:                              ;   in Loop: Header=BB2_710 Depth=2
	v_mov_b64_e32 v[100:101], v[48:49]
	v_bfe_u32 v102, v48, 23, 1
; %bb.735:                              ;   in Loop: Header=BB2_710 Depth=2
	s_or_b32 exec_lo, exec_lo, s10
	s_delay_alu instid0(VALU_DEP_2) | instskip(NEXT) | instid1(VALU_DEP_2)
	v_lshrrev_b64 v[100:101], 21, v[100:101]
	v_cmp_gt_i32_e32 vcc_lo, 32, v102
	v_min_i32_e32 v48, 31, v102
	v_cmp_eq_u32_e64 s10, 0, v102
	s_delay_alu instid0(VALU_DEP_2) | instskip(SKIP_1) | instid1(VALU_DEP_2)
	v_dual_cndmask_b32 v101, 0, v101 :: v_dual_lshlrev_b32 v48, 2, v48
	v_cndmask_b32_e32 v100, 3, v100, vcc_lo
	v_and_b32_e32 v48, 0xfc, v48
	s_delay_alu instid0(VALU_DEP_2) | instskip(NEXT) | instid1(VALU_DEP_2)
	v_cmp_eq_u64_e32 vcc_lo, 0, v[100:101]
	v_and_or_b32 v48, v100, 3, v48
	s_and_b32 s10, s10, vcc_lo
	s_delay_alu instid0(VALU_DEP_1) | instid1(SALU_CYCLE_1)
	v_cndmask_b32_e64 v48, v48, 0, s10
	s_delay_alu instid0(VALU_DEP_1)
	v_or_b32_e32 v117, v48, v30
.LBB2_736:                              ;   in Loop: Header=BB2_710 Depth=2
	s_or_b32 exec_lo, exec_lo, s28
                                        ; implicit-def: $vgpr30
.LBB2_737:                              ;   in Loop: Header=BB2_710 Depth=2
	s_and_not1_saveexec_b32 s10, s27
; %bb.738:                              ;   in Loop: Header=BB2_710 Depth=2
	v_or_b32_e32 v117, 0x7b, v30
; %bb.739:                              ;   in Loop: Header=BB2_710 Depth=2
	s_or_b32 exec_lo, exec_lo, s10
                                        ; implicit-def: $vgpr100
                                        ; implicit-def: $vgpr30
.LBB2_740:                              ;   in Loop: Header=BB2_710 Depth=2
	s_and_not1_saveexec_b32 s10, s26
	s_cbranch_execz .LBB2_746
; %bb.741:                              ;   in Loop: Header=BB2_710 Depth=2
	s_mov_b32 s26, exec_lo
                                        ; implicit-def: $vgpr117
	v_cmpx_ne_u64_e32 0, v[48:49]
	s_xor_b32 s26, exec_lo, s26
; %bb.742:                              ;   in Loop: Header=BB2_710 Depth=2
	v_or_b32_e32 v117, 0x7f, v30
                                        ; implicit-def: $vgpr100
; %bb.743:                              ;   in Loop: Header=BB2_710 Depth=2
	s_and_not1_saveexec_b32 s26, s26
; %bb.744:                              ;   in Loop: Header=BB2_710 Depth=2
	v_cmp_lt_i32_e32 vcc_lo, -1, v100
	v_cndmask_b32_e32 v117, 0xfc, v63, vcc_lo
; %bb.745:                              ;   in Loop: Header=BB2_710 Depth=2
	s_or_b32 exec_lo, exec_lo, s26
.LBB2_746:                              ;   in Loop: Header=BB2_710 Depth=2
	s_delay_alu instid0(SALU_CYCLE_1) | instskip(SKIP_3) | instid1(VALU_DEP_2)
	s_or_b32 exec_lo, exec_lo, s10
	v_lshrrev_b16 v48, 8, v14
	v_mov_b32_e32 v30, 0
	s_mov_b32 s10, exec_lo
	v_cmpx_ne_u16_e32 0, v48
	s_cbranch_execz .LBB2_756
; %bb.747:                              ;   in Loop: Header=BB2_710 Depth=2
	v_bfrev_b32_e32 v30, 1
	s_mov_b32 s26, exec_lo
	v_cmpx_ne_u16_e32 0x80, v48
	s_cbranch_execz .LBB2_755
; %bb.748:                              ;   in Loop: Header=BB2_710 Depth=2
	v_and_b32_e32 v101, 0xffff, v48
	s_delay_alu instid0(VALU_DEP_1) | instskip(SKIP_1) | instid1(VALU_DEP_2)
	v_and_b32_e32 v30, 0x7c, v101
	v_and_b32_e32 v100, 3, v101
	v_cmp_ne_u32_e32 vcc_lo, 0x7c, v30
                                        ; implicit-def: $vgpr30
	s_and_saveexec_b32 s27, vcc_lo
	s_delay_alu instid0(SALU_CYCLE_1)
	s_xor_b32 s27, exec_lo, s27
	s_cbranch_execz .LBB2_752
; %bb.749:                              ;   in Loop: Header=BB2_710 Depth=2
	v_bfe_u32 v30, v101, 2, 5
	s_mov_b32 s28, exec_lo
	s_delay_alu instid0(VALU_DEP_1)
	v_cmpx_eq_u32_e32 0, v30
; %bb.750:                              ;   in Loop: Header=BB2_710 Depth=2
	v_clz_i32_u32_e32 v30, v100
	s_delay_alu instid0(VALU_DEP_1) | instskip(NEXT) | instid1(VALU_DEP_1)
	v_min_u32_e32 v30, 32, v30
	v_subrev_nc_u32_e32 v100, 29, v30
	s_delay_alu instid0(VALU_DEP_1) | instskip(NEXT) | instid1(VALU_DEP_1)
	v_lshlrev_b64_e32 v[100:101], v100, v[48:49]
	v_dual_sub_nc_u32 v30, 30, v30 :: v_dual_bitop2_b32 v100, 3, v100 bitop3:0x40
; %bb.751:                              ;   in Loop: Header=BB2_710 Depth=2
	s_or_b32 exec_lo, exec_lo, s28
	v_lshlrev_b32_e32 v48, 16, v14
	s_delay_alu instid0(VALU_DEP_1) | instskip(NEXT) | instid1(VALU_DEP_1)
	v_and_b32_e32 v48, 0x80000000, v48
	v_lshl_add_u32 v30, v30, 23, v48
	s_delay_alu instid0(VALU_DEP_1) | instskip(NEXT) | instid1(VALU_DEP_1)
	v_lshl_or_b32 v30, v100, 21, v30
                                        ; implicit-def: $vgpr100
	v_add_nc_u32_e32 v30, 0x38000000, v30
.LBB2_752:                              ;   in Loop: Header=BB2_710 Depth=2
	s_and_not1_saveexec_b32 s27, s27
; %bb.753:                              ;   in Loop: Header=BB2_710 Depth=2
	v_cmp_lt_i16_e32 vcc_lo, -1, v14
	v_cndmask_b32_e32 v30, 0xff800000, v62, vcc_lo
	v_cmp_eq_u32_e32 vcc_lo, 0, v100
	s_delay_alu instid0(VALU_DEP_2)
	v_cndmask_b32_e32 v30, 0x7f800001, v30, vcc_lo
; %bb.754:                              ;   in Loop: Header=BB2_710 Depth=2
	s_or_b32 exec_lo, exec_lo, s27
.LBB2_755:                              ;   in Loop: Header=BB2_710 Depth=2
	s_delay_alu instid0(SALU_CYCLE_1)
	s_or_b32 exec_lo, exec_lo, s26
.LBB2_756:                              ;   in Loop: Header=BB2_710 Depth=2
	s_delay_alu instid0(SALU_CYCLE_1) | instskip(SKIP_3) | instid1(VALU_DEP_1)
	s_or_b32 exec_lo, exec_lo, s10
	v_lshrrev_b16 v48, 8, v10
	s_mov_b32 s26, 0
	s_mov_b32 s10, exec_lo
	v_cmpx_lt_i16_e32 0x7f, v48
	s_xor_b32 s10, exec_lo, s10
	s_cbranch_execz .LBB2_1263
; %bb.757:                              ;   in Loop: Header=BB2_710 Depth=2
	s_mov_b32 s26, -1
	s_mov_b32 s27, exec_lo
	v_cmpx_eq_u16_e32 0x80, v48
; %bb.758:                              ;   in Loop: Header=BB2_710 Depth=2
	s_xor_b32 s26, exec_lo, -1
; %bb.759:                              ;   in Loop: Header=BB2_710 Depth=2
	s_or_b32 exec_lo, exec_lo, s27
	s_delay_alu instid0(SALU_CYCLE_1)
	s_and_b32 s26, s26, exec_lo
	s_or_saveexec_b32 s10, s10
	v_bfrev_b32_e32 v100, 1
	s_xor_b32 exec_lo, exec_lo, s10
	s_cbranch_execnz .LBB2_1264
.LBB2_760:                              ;   in Loop: Header=BB2_710 Depth=2
	s_or_b32 exec_lo, exec_lo, s10
	s_and_saveexec_b32 s10, s26
	s_cbranch_execz .LBB2_762
.LBB2_761:                              ;   in Loop: Header=BB2_710 Depth=2
	v_and_b32_e32 v102, 0xffff, v48
	s_delay_alu instid0(VALU_DEP_1) | instskip(NEXT) | instid1(VALU_DEP_1)
	v_and_b32_e32 v103, 3, v102
	v_clz_i32_u32_e32 v100, v103
	s_delay_alu instid0(VALU_DEP_1) | instskip(NEXT) | instid1(VALU_DEP_1)
	v_min_u32_e32 v112, 32, v100
	v_subrev_nc_u32_e32 v100, 29, v112
	v_sub_nc_u32_e32 v112, 30, v112
	s_delay_alu instid0(VALU_DEP_2) | instskip(SKIP_2) | instid1(VALU_DEP_2)
	v_lshlrev_b64_e32 v[100:101], v100, v[48:49]
	v_bfe_u32 v101, v102, 2, 5
	v_lshlrev_b32_e32 v48, 24, v48
	v_cmp_eq_u32_e32 vcc_lo, 0, v101
	s_delay_alu instid0(VALU_DEP_2) | instskip(SKIP_2) | instid1(VALU_DEP_2)
	v_and_b32_e32 v48, 0x80000000, v48
	v_and_b32_e32 v100, 3, v100
	v_cndmask_b32_e32 v101, v101, v112, vcc_lo
	v_cndmask_b32_e32 v100, v103, v100, vcc_lo
	v_cmp_lt_i16_e32 vcc_lo, -1, v10
	s_delay_alu instid0(VALU_DEP_3) | instskip(SKIP_2) | instid1(VALU_DEP_3)
	v_lshl_add_u32 v48, v101, 23, v48
	v_cndmask_b32_e32 v101, 0xff800000, v62, vcc_lo
	v_cmp_eq_u32_e32 vcc_lo, 0, v103
	v_lshl_or_b32 v48, v100, 21, v48
	v_and_b32_e32 v100, 0x7c, v102
	s_delay_alu instid0(VALU_DEP_4) | instskip(NEXT) | instid1(VALU_DEP_3)
	v_cndmask_b32_e32 v101, 0x7f800001, v101, vcc_lo
	v_add_nc_u32_e32 v48, 0x38000000, v48
	s_delay_alu instid0(VALU_DEP_3) | instskip(NEXT) | instid1(VALU_DEP_2)
	v_cmp_eq_u32_e32 vcc_lo, 0x7c, v100
	v_cndmask_b32_e32 v100, v48, v101, vcc_lo
.LBB2_762:                              ;   in Loop: Header=BB2_710 Depth=2
	s_or_b32 exec_lo, exec_lo, s10
	s_delay_alu instid0(VALU_DEP_1) | instskip(SKIP_1) | instid1(VALU_DEP_1)
	v_dual_mul_f32 v100, v30, v100 :: v_dual_mov_b32 v103, v49
                                        ; implicit-def: $vgpr118
	s_mov_b32 s10, exec_lo
	v_and_b32_e32 v102, 0x7f800000, v100
	v_and_b32_e32 v48, 0x7fffff, v100
	v_lshrrev_b32_e32 v30, 24, v100
	s_delay_alu instid0(VALU_DEP_3)
	v_cmpx_ne_u64_e32 0x7f800000, v[102:103]
	s_xor_b32 s26, exec_lo, s10
	s_cbranch_execz .LBB2_776
; %bb.763:                              ;   in Loop: Header=BB2_710 Depth=2
	v_and_b32_e32 v102, 0x7fffffff, v100
	v_mov_b32_e32 v103, v49
	v_and_b32_e32 v30, 0x80, v30
                                        ; implicit-def: $vgpr118
	s_mov_b32 s10, exec_lo
	s_delay_alu instid0(VALU_DEP_2)
	v_cmpx_gt_u64_e32 0x47600001, v[102:103]
	s_xor_b32 s27, exec_lo, s10
	s_cbranch_execz .LBB2_773
; %bb.764:                              ;   in Loop: Header=BB2_710 Depth=2
	v_mov_b32_e32 v118, 0
	s_mov_b32 s28, exec_lo
	v_cmpx_ne_u32_e32 0, v100
	s_cbranch_execz .LBB2_772
; %bb.765:                              ;   in Loop: Header=BB2_710 Depth=2
	v_bfe_u32 v112, v100, 23, 8
	v_or_b32_e32 v102, 0x800000, v48
	s_delay_alu instid0(VALU_DEP_2) | instskip(SKIP_1) | instid1(VALU_DEP_2)
	v_sub_nc_u32_e32 v100, 0x71, v112
	v_cmp_gt_u32_e32 vcc_lo, 0x72, v112
	v_cndmask_b32_e32 v100, 0, v100, vcc_lo
	v_cmp_eq_u32_e32 vcc_lo, 0, v112
	s_delay_alu instid0(VALU_DEP_2) | instskip(NEXT) | instid1(VALU_DEP_1)
	v_cndmask_b32_e64 v113, v100, 0x70, vcc_lo
	v_dual_cndmask_b32 v48, v102, v48, vcc_lo :: v_dual_add_nc_u32 v100, 21, v113
	v_add_nc_u32_e32 v103, 20, v113
	s_delay_alu instid0(VALU_DEP_2) | instskip(NEXT) | instid1(VALU_DEP_2)
	v_lshlrev_b64_e64 v[100:101], v100, -1
	v_lshlrev_b64_e64 v[102:103], v103, 1
	s_delay_alu instid0(VALU_DEP_2) | instskip(NEXT) | instid1(VALU_DEP_3)
	v_bfi_b32 v119, v101, 0, 0
	v_bfi_b32 v118, v100, 0, v48
	v_lshrrev_b64 v[100:101], v113, v[48:49]
	s_delay_alu instid0(VALU_DEP_2) | instskip(NEXT) | instid1(VALU_DEP_2)
	v_cmp_eq_u64_e64 s10, v[118:119], v[102:103]
	v_mov_b64_e32 v[102:103], v[100:101]
	s_and_saveexec_b32 s29, s10
; %bb.766:                              ;   in Loop: Header=BB2_710 Depth=2
	v_bfe_u32 v48, v100, 21, 1
	s_delay_alu instid0(VALU_DEP_1) | instskip(NEXT) | instid1(VALU_DEP_1)
	v_add_nc_u64_e32 v[102:103], v[100:101], v[48:49]
	v_add_nc_u64_e32 v[102:103], -1, v[102:103]
; %bb.767:                              ;   in Loop: Header=BB2_710 Depth=2
	s_or_b32 exec_lo, exec_lo, s29
	v_add_nc_u32_e32 v48, 0xffffff81, v112
	v_lshrrev_b32_e32 v101, 23, v100
	s_mov_b32 s10, exec_lo
	s_delay_alu instid0(VALU_DEP_2) | instskip(NEXT) | instid1(VALU_DEP_1)
	v_cndmask_b32_e64 v48, v48, 0xffffff82, vcc_lo
	v_add3_u32 v103, v113, v48, v101
	v_and_b32_e32 v48, 0x1fffff, v102
                                        ; implicit-def: $vgpr102
	s_delay_alu instid0(VALU_DEP_1) | instskip(NEXT) | instid1(VALU_DEP_1)
	v_dual_add_nc_u32 v112, 14, v103 :: v_dual_add_nc_u32 v48, v48, v100
                                        ; implicit-def: $vgpr100_vgpr101
	v_cmpx_ne_u32_e32 0, v112
	s_xor_b32 s10, exec_lo, s10
; %bb.768:                              ;   in Loop: Header=BB2_710 Depth=2
	s_delay_alu instid0(VALU_DEP_2) | instskip(SKIP_1) | instid1(VALU_DEP_1)
	v_cmp_lt_u64_e32 vcc_lo, 0xffffff, v[48:49]
	v_add_nc_u32_e32 v100, 15, v103
	v_cndmask_b32_e32 v102, v112, v100, vcc_lo
	v_cndmask_b32_e64 v100, 0, 1, vcc_lo
	s_delay_alu instid0(VALU_DEP_1)
	v_lshrrev_b64 v[100:101], v100, v[48:49]
; %bb.769:                              ;   in Loop: Header=BB2_710 Depth=2
	s_and_not1_saveexec_b32 s10, s10
; %bb.770:                              ;   in Loop: Header=BB2_710 Depth=2
	v_mov_b64_e32 v[100:101], v[48:49]
	v_bfe_u32 v102, v48, 23, 1
; %bb.771:                              ;   in Loop: Header=BB2_710 Depth=2
	s_or_b32 exec_lo, exec_lo, s10
	s_delay_alu instid0(VALU_DEP_2) | instskip(NEXT) | instid1(VALU_DEP_2)
	v_lshrrev_b64 v[100:101], 21, v[100:101]
	v_cmp_gt_i32_e32 vcc_lo, 32, v102
	v_min_i32_e32 v48, 31, v102
	v_cmp_eq_u32_e64 s10, 0, v102
	s_delay_alu instid0(VALU_DEP_2) | instskip(SKIP_1) | instid1(VALU_DEP_2)
	v_dual_cndmask_b32 v101, 0, v101 :: v_dual_lshlrev_b32 v48, 2, v48
	v_cndmask_b32_e32 v100, 3, v100, vcc_lo
	v_and_b32_e32 v48, 0xfc, v48
	s_delay_alu instid0(VALU_DEP_2) | instskip(NEXT) | instid1(VALU_DEP_2)
	v_cmp_eq_u64_e32 vcc_lo, 0, v[100:101]
	v_and_or_b32 v48, v100, 3, v48
	s_and_b32 s10, s10, vcc_lo
	s_delay_alu instid0(VALU_DEP_1) | instid1(SALU_CYCLE_1)
	v_cndmask_b32_e64 v48, v48, 0, s10
	s_delay_alu instid0(VALU_DEP_1)
	v_or_b32_e32 v118, v48, v30
.LBB2_772:                              ;   in Loop: Header=BB2_710 Depth=2
	s_or_b32 exec_lo, exec_lo, s28
                                        ; implicit-def: $vgpr30
.LBB2_773:                              ;   in Loop: Header=BB2_710 Depth=2
	s_and_not1_saveexec_b32 s10, s27
; %bb.774:                              ;   in Loop: Header=BB2_710 Depth=2
	v_or_b32_e32 v118, 0x7b, v30
; %bb.775:                              ;   in Loop: Header=BB2_710 Depth=2
	s_or_b32 exec_lo, exec_lo, s10
                                        ; implicit-def: $vgpr100
                                        ; implicit-def: $vgpr30
.LBB2_776:                              ;   in Loop: Header=BB2_710 Depth=2
	s_and_not1_saveexec_b32 s10, s26
	s_cbranch_execz .LBB2_782
; %bb.777:                              ;   in Loop: Header=BB2_710 Depth=2
	s_mov_b32 s26, exec_lo
                                        ; implicit-def: $vgpr118
	v_cmpx_ne_u64_e32 0, v[48:49]
	s_xor_b32 s26, exec_lo, s26
; %bb.778:                              ;   in Loop: Header=BB2_710 Depth=2
	v_or_b32_e32 v118, 0x7f, v30
                                        ; implicit-def: $vgpr100
; %bb.779:                              ;   in Loop: Header=BB2_710 Depth=2
	s_and_not1_saveexec_b32 s26, s26
; %bb.780:                              ;   in Loop: Header=BB2_710 Depth=2
	v_cmp_lt_i32_e32 vcc_lo, -1, v100
	v_cndmask_b32_e32 v118, 0xfc, v63, vcc_lo
; %bb.781:                              ;   in Loop: Header=BB2_710 Depth=2
	s_or_b32 exec_lo, exec_lo, s26
.LBB2_782:                              ;   in Loop: Header=BB2_710 Depth=2
	s_delay_alu instid0(SALU_CYCLE_1) | instskip(SKIP_2) | instid1(VALU_DEP_1)
	s_or_b32 exec_lo, exec_lo, s10
	v_dual_lshrrev_b32 v30, 16, v14 :: v_dual_mov_b32 v48, 0
	s_mov_b32 s10, exec_lo
	v_and_b32_e32 v100, 0xff, v30
	s_delay_alu instid0(VALU_DEP_1)
	v_cmpx_ne_u16_e32 0, v100
	s_cbranch_execz .LBB2_792
; %bb.783:                              ;   in Loop: Header=BB2_710 Depth=2
	v_bfrev_b32_e32 v48, 1
	s_mov_b32 s26, exec_lo
	v_cmpx_ne_u16_e32 0x80, v100
	s_cbranch_execz .LBB2_791
; %bb.784:                              ;   in Loop: Header=BB2_710 Depth=2
	v_and_b32_e32 v48, 0x7c0000, v14
	v_bfe_u32 v100, v14, 16, 2
	s_delay_alu instid0(VALU_DEP_2) | instskip(SKIP_1) | instid1(SALU_CYCLE_1)
	v_cmp_ne_u32_e32 vcc_lo, 0x7c0000, v48
                                        ; implicit-def: $vgpr48
	s_and_saveexec_b32 s27, vcc_lo
	s_xor_b32 s27, exec_lo, s27
	s_cbranch_execz .LBB2_788
; %bb.785:                              ;   in Loop: Header=BB2_710 Depth=2
	v_bfe_u32 v48, v14, 18, 5
	s_mov_b32 s28, exec_lo
	s_delay_alu instid0(VALU_DEP_1)
	v_cmpx_eq_u32_e32 0, v48
; %bb.786:                              ;   in Loop: Header=BB2_710 Depth=2
	v_clz_i32_u32_e32 v48, v100
	s_delay_alu instid0(VALU_DEP_1) | instskip(NEXT) | instid1(VALU_DEP_1)
	v_min_u32_e32 v48, 32, v48
	v_subrev_nc_u32_e32 v100, 29, v48
	v_sub_nc_u32_e32 v48, 30, v48
	s_delay_alu instid0(VALU_DEP_2) | instskip(NEXT) | instid1(VALU_DEP_1)
	v_lshlrev_b64_e32 v[100:101], v100, v[30:31]
	v_and_b32_e32 v100, 3, v100
; %bb.787:                              ;   in Loop: Header=BB2_710 Depth=2
	s_or_b32 exec_lo, exec_lo, s28
	v_lshlrev_b32_e32 v30, 24, v30
	s_delay_alu instid0(VALU_DEP_1) | instskip(NEXT) | instid1(VALU_DEP_1)
	v_and_b32_e32 v30, 0x80000000, v30
	v_lshl_add_u32 v30, v48, 23, v30
	s_delay_alu instid0(VALU_DEP_1) | instskip(NEXT) | instid1(VALU_DEP_1)
	v_lshl_or_b32 v30, v100, 21, v30
                                        ; implicit-def: $vgpr100
	v_add_nc_u32_e32 v48, 0x38000000, v30
                                        ; implicit-def: $vgpr30
.LBB2_788:                              ;   in Loop: Header=BB2_710 Depth=2
	s_and_not1_saveexec_b32 s27, s27
; %bb.789:                              ;   in Loop: Header=BB2_710 Depth=2
	v_bfe_i32 v30, v30, 0, 8
	s_delay_alu instid0(VALU_DEP_1) | instskip(SKIP_2) | instid1(VALU_DEP_2)
	v_cmp_lt_i16_e32 vcc_lo, -1, v30
	v_cndmask_b32_e32 v30, 0xff800000, v62, vcc_lo
	v_cmp_eq_u32_e32 vcc_lo, 0, v100
	v_cndmask_b32_e32 v48, 0x7f800001, v30, vcc_lo
; %bb.790:                              ;   in Loop: Header=BB2_710 Depth=2
	s_or_b32 exec_lo, exec_lo, s27
.LBB2_791:                              ;   in Loop: Header=BB2_710 Depth=2
	s_delay_alu instid0(SALU_CYCLE_1)
	s_or_b32 exec_lo, exec_lo, s26
.LBB2_792:                              ;   in Loop: Header=BB2_710 Depth=2
	s_delay_alu instid0(SALU_CYCLE_1) | instskip(SKIP_3) | instid1(VALU_DEP_1)
	s_or_b32 exec_lo, exec_lo, s10
	v_lshrrev_b32_e32 v30, 16, v10
	s_mov_b32 s26, 0
	s_mov_b32 s10, exec_lo
	v_and_b32_e32 v101, 0xff, v30
	s_delay_alu instid0(VALU_DEP_1)
	v_cmpx_lt_i16_e32 0x7f, v101
	s_xor_b32 s10, exec_lo, s10
	s_cbranch_execz .LBB2_1265
; %bb.793:                              ;   in Loop: Header=BB2_710 Depth=2
	s_mov_b32 s26, -1
	s_mov_b32 s27, exec_lo
	v_cmpx_eq_u16_e32 0x80, v101
; %bb.794:                              ;   in Loop: Header=BB2_710 Depth=2
	s_xor_b32 s26, exec_lo, -1
; %bb.795:                              ;   in Loop: Header=BB2_710 Depth=2
	s_or_b32 exec_lo, exec_lo, s27
	s_delay_alu instid0(SALU_CYCLE_1)
	s_and_b32 s26, s26, exec_lo
                                        ; implicit-def: $vgpr101
	s_or_saveexec_b32 s10, s10
	v_bfrev_b32_e32 v100, 1
	s_xor_b32 exec_lo, exec_lo, s10
	s_cbranch_execnz .LBB2_1266
.LBB2_796:                              ;   in Loop: Header=BB2_710 Depth=2
	s_or_b32 exec_lo, exec_lo, s10
	s_and_saveexec_b32 s10, s26
	s_cbranch_execz .LBB2_798
.LBB2_797:                              ;   in Loop: Header=BB2_710 Depth=2
	v_and_b32_e32 v102, 3, v30
	v_bfe_u32 v112, v10, 18, 5
	s_delay_alu instid0(VALU_DEP_2) | instskip(NEXT) | instid1(VALU_DEP_2)
	v_clz_i32_u32_e32 v100, v102
	v_cmp_eq_u32_e32 vcc_lo, 0, v112
	s_delay_alu instid0(VALU_DEP_2) | instskip(NEXT) | instid1(VALU_DEP_1)
	v_min_u32_e32 v103, 32, v100
	v_subrev_nc_u32_e32 v100, 29, v103
	s_delay_alu instid0(VALU_DEP_1) | instskip(SKIP_2) | instid1(VALU_DEP_2)
	v_lshlrev_b64_e32 v[100:101], v100, v[30:31]
	v_dual_lshlrev_b32 v101, 24, v30 :: v_dual_sub_nc_u32 v103, 30, v103
	v_bfe_i32 v30, v30, 0, 8
	v_and_b32_e32 v101, 0x80000000, v101
	s_delay_alu instid0(VALU_DEP_3) | instskip(NEXT) | instid1(VALU_DEP_1)
	v_dual_cndmask_b32 v103, v112, v103, vcc_lo :: v_dual_bitop2_b32 v100, 3, v100 bitop3:0x40
	v_cndmask_b32_e32 v100, v102, v100, vcc_lo
	s_delay_alu instid0(VALU_DEP_2) | instskip(SKIP_1) | instid1(VALU_DEP_2)
	v_lshl_add_u32 v101, v103, 23, v101
	v_cmp_lt_i16_e32 vcc_lo, -1, v30
	v_lshl_or_b32 v100, v100, 21, v101
	v_cndmask_b32_e32 v30, 0xff800000, v62, vcc_lo
	v_and_b32_e32 v101, 0x7c0000, v10
	v_cmp_eq_u32_e32 vcc_lo, 0, v102
	s_delay_alu instid0(VALU_DEP_4) | instskip(NEXT) | instid1(VALU_DEP_4)
	v_add_nc_u32_e32 v100, 0x38000000, v100
	v_cndmask_b32_e32 v30, 0x7f800001, v30, vcc_lo
	s_delay_alu instid0(VALU_DEP_4) | instskip(NEXT) | instid1(VALU_DEP_2)
	v_cmp_eq_u32_e32 vcc_lo, 0x7c0000, v101
	v_cndmask_b32_e32 v100, v100, v30, vcc_lo
.LBB2_798:                              ;   in Loop: Header=BB2_710 Depth=2
	s_or_b32 exec_lo, exec_lo, s10
	s_delay_alu instid0(VALU_DEP_1) | instskip(SKIP_1) | instid1(VALU_DEP_1)
	v_dual_mul_f32 v100, v48, v100 :: v_dual_mov_b32 v103, v49
                                        ; implicit-def: $vgpr119
	s_mov_b32 s10, exec_lo
	v_and_b32_e32 v102, 0x7f800000, v100
	v_and_b32_e32 v48, 0x7fffff, v100
	v_lshrrev_b32_e32 v30, 24, v100
	s_delay_alu instid0(VALU_DEP_3)
	v_cmpx_ne_u64_e32 0x7f800000, v[102:103]
	s_xor_b32 s26, exec_lo, s10
	s_cbranch_execz .LBB2_812
; %bb.799:                              ;   in Loop: Header=BB2_710 Depth=2
	v_and_b32_e32 v102, 0x7fffffff, v100
	v_mov_b32_e32 v103, v49
	v_and_b32_e32 v30, 0x80, v30
                                        ; implicit-def: $vgpr119
	s_mov_b32 s10, exec_lo
	s_delay_alu instid0(VALU_DEP_2)
	v_cmpx_gt_u64_e32 0x47600001, v[102:103]
	s_xor_b32 s27, exec_lo, s10
	s_cbranch_execz .LBB2_809
; %bb.800:                              ;   in Loop: Header=BB2_710 Depth=2
	v_mov_b32_e32 v119, 0
	s_mov_b32 s28, exec_lo
	v_cmpx_ne_u32_e32 0, v100
	s_cbranch_execz .LBB2_808
; %bb.801:                              ;   in Loop: Header=BB2_710 Depth=2
	v_bfe_u32 v112, v100, 23, 8
	v_or_b32_e32 v102, 0x800000, v48
	s_delay_alu instid0(VALU_DEP_2) | instskip(SKIP_1) | instid1(VALU_DEP_2)
	v_sub_nc_u32_e32 v100, 0x71, v112
	v_cmp_gt_u32_e32 vcc_lo, 0x72, v112
	v_cndmask_b32_e32 v100, 0, v100, vcc_lo
	v_cmp_eq_u32_e32 vcc_lo, 0, v112
	s_delay_alu instid0(VALU_DEP_2) | instskip(NEXT) | instid1(VALU_DEP_1)
	v_cndmask_b32_e64 v113, v100, 0x70, vcc_lo
	v_dual_cndmask_b32 v48, v102, v48, vcc_lo :: v_dual_add_nc_u32 v100, 21, v113
	v_add_nc_u32_e32 v103, 20, v113
	s_delay_alu instid0(VALU_DEP_2) | instskip(NEXT) | instid1(VALU_DEP_2)
	v_lshlrev_b64_e64 v[100:101], v100, -1
	v_lshlrev_b64_e64 v[102:103], v103, 1
	s_delay_alu instid0(VALU_DEP_2) | instskip(NEXT) | instid1(VALU_DEP_3)
	v_bfi_b32 v41, v101, 0, 0
	v_bfi_b32 v40, v100, 0, v48
	v_lshrrev_b64 v[100:101], v113, v[48:49]
	s_delay_alu instid0(VALU_DEP_2) | instskip(NEXT) | instid1(VALU_DEP_2)
	v_cmp_eq_u64_e64 s10, v[40:41], v[102:103]
	v_mov_b64_e32 v[102:103], v[100:101]
	s_and_saveexec_b32 s29, s10
; %bb.802:                              ;   in Loop: Header=BB2_710 Depth=2
	v_bfe_u32 v48, v100, 21, 1
	s_delay_alu instid0(VALU_DEP_1) | instskip(NEXT) | instid1(VALU_DEP_1)
	v_add_nc_u64_e32 v[102:103], v[100:101], v[48:49]
	v_add_nc_u64_e32 v[102:103], -1, v[102:103]
; %bb.803:                              ;   in Loop: Header=BB2_710 Depth=2
	s_or_b32 exec_lo, exec_lo, s29
	v_add_nc_u32_e32 v48, 0xffffff81, v112
	v_lshrrev_b32_e32 v101, 23, v100
	s_mov_b32 s10, exec_lo
	s_delay_alu instid0(VALU_DEP_2) | instskip(NEXT) | instid1(VALU_DEP_1)
	v_cndmask_b32_e64 v48, v48, 0xffffff82, vcc_lo
	v_add3_u32 v103, v113, v48, v101
	v_and_b32_e32 v48, 0x1fffff, v102
                                        ; implicit-def: $vgpr102
	s_delay_alu instid0(VALU_DEP_1) | instskip(NEXT) | instid1(VALU_DEP_1)
	v_dual_add_nc_u32 v112, 14, v103 :: v_dual_add_nc_u32 v48, v48, v100
                                        ; implicit-def: $vgpr100_vgpr101
	v_cmpx_ne_u32_e32 0, v112
	s_xor_b32 s10, exec_lo, s10
; %bb.804:                              ;   in Loop: Header=BB2_710 Depth=2
	s_delay_alu instid0(VALU_DEP_2) | instskip(SKIP_1) | instid1(VALU_DEP_1)
	v_cmp_lt_u64_e32 vcc_lo, 0xffffff, v[48:49]
	v_add_nc_u32_e32 v100, 15, v103
	v_cndmask_b32_e32 v102, v112, v100, vcc_lo
	v_cndmask_b32_e64 v100, 0, 1, vcc_lo
	s_delay_alu instid0(VALU_DEP_1)
	v_lshrrev_b64 v[100:101], v100, v[48:49]
; %bb.805:                              ;   in Loop: Header=BB2_710 Depth=2
	s_and_not1_saveexec_b32 s10, s10
; %bb.806:                              ;   in Loop: Header=BB2_710 Depth=2
	v_mov_b64_e32 v[100:101], v[48:49]
	v_bfe_u32 v102, v48, 23, 1
; %bb.807:                              ;   in Loop: Header=BB2_710 Depth=2
	s_or_b32 exec_lo, exec_lo, s10
	s_delay_alu instid0(VALU_DEP_2) | instskip(NEXT) | instid1(VALU_DEP_2)
	v_lshrrev_b64 v[100:101], 21, v[100:101]
	v_cmp_gt_i32_e32 vcc_lo, 32, v102
	v_min_i32_e32 v48, 31, v102
	v_cmp_eq_u32_e64 s10, 0, v102
	s_delay_alu instid0(VALU_DEP_2) | instskip(SKIP_1) | instid1(VALU_DEP_2)
	v_dual_cndmask_b32 v101, 0, v101 :: v_dual_lshlrev_b32 v48, 2, v48
	v_cndmask_b32_e32 v100, 3, v100, vcc_lo
	v_and_b32_e32 v48, 0xfc, v48
	s_delay_alu instid0(VALU_DEP_2) | instskip(NEXT) | instid1(VALU_DEP_2)
	v_cmp_eq_u64_e32 vcc_lo, 0, v[100:101]
	v_and_or_b32 v48, v100, 3, v48
	s_and_b32 s10, s10, vcc_lo
	s_delay_alu instid0(VALU_DEP_1) | instid1(SALU_CYCLE_1)
	v_cndmask_b32_e64 v48, v48, 0, s10
	s_delay_alu instid0(VALU_DEP_1)
	v_or_b32_e32 v119, v48, v30
.LBB2_808:                              ;   in Loop: Header=BB2_710 Depth=2
	s_or_b32 exec_lo, exec_lo, s28
                                        ; implicit-def: $vgpr30
.LBB2_809:                              ;   in Loop: Header=BB2_710 Depth=2
	s_and_not1_saveexec_b32 s10, s27
; %bb.810:                              ;   in Loop: Header=BB2_710 Depth=2
	v_or_b32_e32 v119, 0x7b, v30
; %bb.811:                              ;   in Loop: Header=BB2_710 Depth=2
	s_or_b32 exec_lo, exec_lo, s10
                                        ; implicit-def: $vgpr100
                                        ; implicit-def: $vgpr30
.LBB2_812:                              ;   in Loop: Header=BB2_710 Depth=2
	s_and_not1_saveexec_b32 s10, s26
	s_cbranch_execz .LBB2_818
; %bb.813:                              ;   in Loop: Header=BB2_710 Depth=2
	s_mov_b32 s26, exec_lo
                                        ; implicit-def: $vgpr119
	v_cmpx_ne_u64_e32 0, v[48:49]
	s_xor_b32 s26, exec_lo, s26
; %bb.814:                              ;   in Loop: Header=BB2_710 Depth=2
	v_or_b32_e32 v119, 0x7f, v30
                                        ; implicit-def: $vgpr100
; %bb.815:                              ;   in Loop: Header=BB2_710 Depth=2
	s_and_not1_saveexec_b32 s26, s26
; %bb.816:                              ;   in Loop: Header=BB2_710 Depth=2
	v_cmp_lt_i32_e32 vcc_lo, -1, v100
	v_cndmask_b32_e32 v119, 0xfc, v63, vcc_lo
; %bb.817:                              ;   in Loop: Header=BB2_710 Depth=2
	s_or_b32 exec_lo, exec_lo, s26
.LBB2_818:                              ;   in Loop: Header=BB2_710 Depth=2
	s_delay_alu instid0(SALU_CYCLE_1)
	s_or_b32 exec_lo, exec_lo, s10
	v_mov_b32_e32 v48, 0
	s_mov_b32 s10, exec_lo
	v_cmpx_lt_u32_e32 0xffffff, v14
	s_cbranch_execz .LBB2_828
; %bb.819:                              ;   in Loop: Header=BB2_710 Depth=2
	v_lshrrev_b32_e32 v30, 24, v14
	v_bfrev_b32_e32 v48, 1
	s_mov_b32 s26, exec_lo
	s_delay_alu instid0(VALU_DEP_2)
	v_cmpx_ne_u32_e32 0x80, v30
	s_cbranch_execz .LBB2_827
; %bb.820:                              ;   in Loop: Header=BB2_710 Depth=2
	v_and_b32_e32 v48, 0x7c000000, v14
	v_bfe_u32 v100, v14, 24, 2
	s_delay_alu instid0(VALU_DEP_2) | instskip(SKIP_1) | instid1(SALU_CYCLE_1)
	v_cmp_ne_u32_e32 vcc_lo, 0x7c000000, v48
                                        ; implicit-def: $vgpr48
	s_and_saveexec_b32 s27, vcc_lo
	s_xor_b32 s27, exec_lo, s27
	s_cbranch_execz .LBB2_824
; %bb.821:                              ;   in Loop: Header=BB2_710 Depth=2
	v_bfe_u32 v48, v14, 26, 5
	s_mov_b32 s28, exec_lo
	s_delay_alu instid0(VALU_DEP_1)
	v_cmpx_eq_u32_e32 0, v48
; %bb.822:                              ;   in Loop: Header=BB2_710 Depth=2
	v_clz_i32_u32_e32 v48, v100
	s_delay_alu instid0(VALU_DEP_1) | instskip(NEXT) | instid1(VALU_DEP_1)
	v_min_u32_e32 v48, 32, v48
	v_subrev_nc_u32_e32 v100, 29, v48
	v_sub_nc_u32_e32 v48, 30, v48
	s_delay_alu instid0(VALU_DEP_2) | instskip(NEXT) | instid1(VALU_DEP_1)
	v_lshlrev_b64_e32 v[100:101], v100, v[30:31]
	v_and_b32_e32 v100, 3, v100
; %bb.823:                              ;   in Loop: Header=BB2_710 Depth=2
	s_or_b32 exec_lo, exec_lo, s28
	v_and_b32_e32 v30, 0x80000000, v14
	s_delay_alu instid0(VALU_DEP_1) | instskip(NEXT) | instid1(VALU_DEP_1)
	v_lshl_add_u32 v30, v48, 23, v30
	v_lshl_or_b32 v30, v100, 21, v30
                                        ; implicit-def: $vgpr100
	s_delay_alu instid0(VALU_DEP_1)
	v_add_nc_u32_e32 v48, 0x38000000, v30
.LBB2_824:                              ;   in Loop: Header=BB2_710 Depth=2
	s_and_not1_saveexec_b32 s27, s27
; %bb.825:                              ;   in Loop: Header=BB2_710 Depth=2
	v_cmp_lt_i32_e32 vcc_lo, -1, v14
	v_cndmask_b32_e32 v30, 0xff800000, v62, vcc_lo
	v_cmp_eq_u32_e32 vcc_lo, 0, v100
	s_delay_alu instid0(VALU_DEP_2)
	v_cndmask_b32_e32 v48, 0x7f800001, v30, vcc_lo
; %bb.826:                              ;   in Loop: Header=BB2_710 Depth=2
	s_or_b32 exec_lo, exec_lo, s27
.LBB2_827:                              ;   in Loop: Header=BB2_710 Depth=2
	s_delay_alu instid0(SALU_CYCLE_1)
	s_or_b32 exec_lo, exec_lo, s26
.LBB2_828:                              ;   in Loop: Header=BB2_710 Depth=2
	s_delay_alu instid0(SALU_CYCLE_1) | instskip(SKIP_3) | instid1(VALU_DEP_2)
	s_or_b32 exec_lo, exec_lo, s10
	v_bfe_u32 v102, v10, 24, 2
	v_bfe_u32 v112, v10, 26, 5
                                        ; implicit-def: $vgpr40
	s_mov_b32 s10, exec_lo
	v_clz_i32_u32_e32 v30, v102
	s_delay_alu instid0(VALU_DEP_2) | instskip(NEXT) | instid1(VALU_DEP_2)
	v_cmp_eq_u32_e32 vcc_lo, 0, v112
	v_min_u32_e32 v103, 32, v30
	v_lshrrev_b32_e32 v30, 24, v10
	s_delay_alu instid0(VALU_DEP_2) | instskip(NEXT) | instid1(VALU_DEP_1)
	v_subrev_nc_u32_e32 v100, 29, v103
	v_lshlrev_b64_e32 v[100:101], v100, v[30:31]
	v_sub_nc_u32_e32 v101, 30, v103
	v_and_b32_e32 v103, 0x80000000, v10
	s_delay_alu instid0(VALU_DEP_2) | instskip(NEXT) | instid1(VALU_DEP_1)
	v_dual_cndmask_b32 v101, v112, v101, vcc_lo :: v_dual_bitop2_b32 v100, 3, v100 bitop3:0x40
	v_lshl_add_u32 v101, v101, 23, v103
	s_delay_alu instid0(VALU_DEP_2) | instskip(SKIP_1) | instid1(VALU_DEP_2)
	v_cndmask_b32_e32 v100, v102, v100, vcc_lo
	v_cmp_lt_i32_e32 vcc_lo, -1, v10
	v_lshl_or_b32 v100, v100, 21, v101
	v_cndmask_b32_e32 v103, 0xff800000, v62, vcc_lo
	v_and_b32_e32 v101, 0x7c000000, v10
	v_cmp_eq_u32_e32 vcc_lo, 0, v102
	s_delay_alu instid0(VALU_DEP_4) | instskip(NEXT) | instid1(VALU_DEP_4)
	v_add_nc_u32_e32 v100, 0x38000000, v100
	v_dual_cndmask_b32 v102, 0x7f800001, v103 :: v_dual_mov_b32 v103, v49
	s_delay_alu instid0(VALU_DEP_4) | instskip(NEXT) | instid1(VALU_DEP_2)
	v_cmp_eq_u32_e32 vcc_lo, 0x7c000000, v101
	v_cndmask_b32_e32 v100, v100, v102, vcc_lo
	v_cmp_ne_u32_e32 vcc_lo, 0x80, v30
	s_delay_alu instid0(VALU_DEP_2) | instskip(SKIP_1) | instid1(VALU_DEP_2)
	v_cndmask_b32_e32 v30, 0x80000000, v100, vcc_lo
	v_cmp_lt_u32_e32 vcc_lo, 0xffffff, v10
	v_cndmask_b32_e32 v30, 0, v30, vcc_lo
	s_delay_alu instid0(VALU_DEP_1) | instskip(NEXT) | instid1(VALU_DEP_1)
	v_mul_f32_e32 v100, v30, v48
	v_and_b32_e32 v102, 0x7f800000, v100
	v_and_b32_e32 v48, 0x7fffff, v100
	v_lshrrev_b32_e32 v30, 24, v100
	s_delay_alu instid0(VALU_DEP_3)
	v_cmpx_ne_u64_e32 0x7f800000, v[102:103]
	s_xor_b32 s26, exec_lo, s10
	s_cbranch_execz .LBB2_842
; %bb.829:                              ;   in Loop: Header=BB2_710 Depth=2
	v_and_b32_e32 v102, 0x7fffffff, v100
	v_mov_b32_e32 v103, v49
	v_and_b32_e32 v30, 0x80, v30
                                        ; implicit-def: $vgpr40
	s_mov_b32 s10, exec_lo
	s_delay_alu instid0(VALU_DEP_2)
	v_cmpx_gt_u64_e32 0x47600001, v[102:103]
	s_xor_b32 s27, exec_lo, s10
	s_cbranch_execz .LBB2_839
; %bb.830:                              ;   in Loop: Header=BB2_710 Depth=2
	v_mov_b32_e32 v40, 0
	s_mov_b32 s28, exec_lo
	v_cmpx_ne_u32_e32 0, v100
	s_cbranch_execz .LBB2_838
; %bb.831:                              ;   in Loop: Header=BB2_710 Depth=2
	v_bfe_u32 v112, v100, 23, 8
	v_or_b32_e32 v102, 0x800000, v48
	s_delay_alu instid0(VALU_DEP_2) | instskip(SKIP_1) | instid1(VALU_DEP_2)
	v_sub_nc_u32_e32 v100, 0x71, v112
	v_cmp_gt_u32_e32 vcc_lo, 0x72, v112
	v_cndmask_b32_e32 v100, 0, v100, vcc_lo
	v_cmp_eq_u32_e32 vcc_lo, 0, v112
	s_delay_alu instid0(VALU_DEP_2) | instskip(NEXT) | instid1(VALU_DEP_1)
	v_cndmask_b32_e64 v113, v100, 0x70, vcc_lo
	v_dual_cndmask_b32 v48, v102, v48, vcc_lo :: v_dual_add_nc_u32 v100, 21, v113
	v_add_nc_u32_e32 v103, 20, v113
	s_delay_alu instid0(VALU_DEP_2) | instskip(NEXT) | instid1(VALU_DEP_2)
	v_lshlrev_b64_e64 v[100:101], v100, -1
	v_lshlrev_b64_e64 v[102:103], v103, 1
	s_delay_alu instid0(VALU_DEP_2) | instskip(NEXT) | instid1(VALU_DEP_3)
	v_bfi_b32 v41, v101, 0, 0
	v_bfi_b32 v40, v100, 0, v48
	v_lshrrev_b64 v[100:101], v113, v[48:49]
	s_delay_alu instid0(VALU_DEP_2) | instskip(NEXT) | instid1(VALU_DEP_2)
	v_cmp_eq_u64_e64 s10, v[40:41], v[102:103]
	v_mov_b64_e32 v[102:103], v[100:101]
	s_and_saveexec_b32 s29, s10
; %bb.832:                              ;   in Loop: Header=BB2_710 Depth=2
	v_bfe_u32 v48, v100, 21, 1
	s_delay_alu instid0(VALU_DEP_1) | instskip(NEXT) | instid1(VALU_DEP_1)
	v_add_nc_u64_e32 v[102:103], v[100:101], v[48:49]
	v_add_nc_u64_e32 v[102:103], -1, v[102:103]
; %bb.833:                              ;   in Loop: Header=BB2_710 Depth=2
	s_or_b32 exec_lo, exec_lo, s29
	v_add_nc_u32_e32 v48, 0xffffff81, v112
	v_lshrrev_b32_e32 v101, 23, v100
	s_mov_b32 s10, exec_lo
	s_delay_alu instid0(VALU_DEP_2) | instskip(NEXT) | instid1(VALU_DEP_1)
	v_cndmask_b32_e64 v48, v48, 0xffffff82, vcc_lo
	v_add3_u32 v103, v113, v48, v101
	v_and_b32_e32 v48, 0x1fffff, v102
                                        ; implicit-def: $vgpr102
	s_delay_alu instid0(VALU_DEP_1) | instskip(NEXT) | instid1(VALU_DEP_1)
	v_dual_add_nc_u32 v112, 14, v103 :: v_dual_add_nc_u32 v48, v48, v100
                                        ; implicit-def: $vgpr100_vgpr101
	v_cmpx_ne_u32_e32 0, v112
	s_xor_b32 s10, exec_lo, s10
; %bb.834:                              ;   in Loop: Header=BB2_710 Depth=2
	s_delay_alu instid0(VALU_DEP_2) | instskip(SKIP_1) | instid1(VALU_DEP_1)
	v_cmp_lt_u64_e32 vcc_lo, 0xffffff, v[48:49]
	v_add_nc_u32_e32 v100, 15, v103
	v_cndmask_b32_e32 v102, v112, v100, vcc_lo
	v_cndmask_b32_e64 v100, 0, 1, vcc_lo
	s_delay_alu instid0(VALU_DEP_1)
	v_lshrrev_b64 v[100:101], v100, v[48:49]
; %bb.835:                              ;   in Loop: Header=BB2_710 Depth=2
	s_and_not1_saveexec_b32 s10, s10
; %bb.836:                              ;   in Loop: Header=BB2_710 Depth=2
	v_mov_b64_e32 v[100:101], v[48:49]
	v_bfe_u32 v102, v48, 23, 1
; %bb.837:                              ;   in Loop: Header=BB2_710 Depth=2
	s_or_b32 exec_lo, exec_lo, s10
	s_delay_alu instid0(VALU_DEP_2) | instskip(NEXT) | instid1(VALU_DEP_2)
	v_lshrrev_b64 v[100:101], 21, v[100:101]
	v_cmp_gt_i32_e32 vcc_lo, 32, v102
	v_min_i32_e32 v48, 31, v102
	v_cmp_eq_u32_e64 s10, 0, v102
	s_delay_alu instid0(VALU_DEP_2) | instskip(SKIP_1) | instid1(VALU_DEP_2)
	v_dual_cndmask_b32 v101, 0, v101 :: v_dual_lshlrev_b32 v48, 2, v48
	v_cndmask_b32_e32 v100, 3, v100, vcc_lo
	v_and_b32_e32 v48, 0xfc, v48
	s_delay_alu instid0(VALU_DEP_2) | instskip(NEXT) | instid1(VALU_DEP_2)
	v_cmp_eq_u64_e32 vcc_lo, 0, v[100:101]
	v_and_or_b32 v48, v100, 3, v48
	s_and_b32 s10, s10, vcc_lo
	s_delay_alu instid0(VALU_DEP_1) | instid1(SALU_CYCLE_1)
	v_cndmask_b32_e64 v48, v48, 0, s10
	s_delay_alu instid0(VALU_DEP_1)
	v_or_b32_e32 v40, v48, v30
.LBB2_838:                              ;   in Loop: Header=BB2_710 Depth=2
	s_or_b32 exec_lo, exec_lo, s28
                                        ; implicit-def: $vgpr30
.LBB2_839:                              ;   in Loop: Header=BB2_710 Depth=2
	s_and_not1_saveexec_b32 s10, s27
; %bb.840:                              ;   in Loop: Header=BB2_710 Depth=2
	v_or_b32_e32 v40, 0x7b, v30
; %bb.841:                              ;   in Loop: Header=BB2_710 Depth=2
	s_or_b32 exec_lo, exec_lo, s10
                                        ; implicit-def: $vgpr100
                                        ; implicit-def: $vgpr30
.LBB2_842:                              ;   in Loop: Header=BB2_710 Depth=2
	s_and_not1_saveexec_b32 s10, s26
	s_cbranch_execz .LBB2_848
; %bb.843:                              ;   in Loop: Header=BB2_710 Depth=2
	s_mov_b32 s26, exec_lo
                                        ; implicit-def: $vgpr40
	v_cmpx_ne_u64_e32 0, v[48:49]
	s_xor_b32 s26, exec_lo, s26
; %bb.844:                              ;   in Loop: Header=BB2_710 Depth=2
	v_or_b32_e32 v40, 0x7f, v30
                                        ; implicit-def: $vgpr100
; %bb.845:                              ;   in Loop: Header=BB2_710 Depth=2
	s_and_not1_saveexec_b32 s26, s26
; %bb.846:                              ;   in Loop: Header=BB2_710 Depth=2
	v_cmp_lt_i32_e32 vcc_lo, -1, v100
	v_cndmask_b32_e32 v40, 0xfc, v63, vcc_lo
; %bb.847:                              ;   in Loop: Header=BB2_710 Depth=2
	s_or_b32 exec_lo, exec_lo, s26
.LBB2_848:                              ;   in Loop: Header=BB2_710 Depth=2
	s_delay_alu instid0(SALU_CYCLE_1) | instskip(SKIP_3) | instid1(VALU_DEP_2)
	s_or_b32 exec_lo, exec_lo, s10
	v_and_b32_e32 v100, 0xff, v15
	v_dual_mov_b32 v48, v15 :: v_dual_mov_b32 v30, 0
	s_mov_b32 s10, exec_lo
	v_cmpx_ne_u16_e32 0, v100
	s_cbranch_execz .LBB2_858
; %bb.849:                              ;   in Loop: Header=BB2_710 Depth=2
	v_bfrev_b32_e32 v30, 1
	s_mov_b32 s26, exec_lo
	v_cmpx_ne_u16_e32 0x80, v100
	s_cbranch_execz .LBB2_857
; %bb.850:                              ;   in Loop: Header=BB2_710 Depth=2
	v_and_b32_e32 v30, 0x7c, v15
	v_and_b32_e32 v100, 3, v15
	s_delay_alu instid0(VALU_DEP_2) | instskip(SKIP_1) | instid1(SALU_CYCLE_1)
	v_cmp_ne_u32_e32 vcc_lo, 0x7c, v30
                                        ; implicit-def: $vgpr30
	s_and_saveexec_b32 s27, vcc_lo
	s_xor_b32 s27, exec_lo, s27
	s_cbranch_execz .LBB2_854
; %bb.851:                              ;   in Loop: Header=BB2_710 Depth=2
	v_bfe_u32 v30, v15, 2, 5
	s_mov_b32 s28, exec_lo
	s_delay_alu instid0(VALU_DEP_1)
	v_cmpx_eq_u32_e32 0, v30
; %bb.852:                              ;   in Loop: Header=BB2_710 Depth=2
	v_clz_i32_u32_e32 v30, v100
	s_delay_alu instid0(VALU_DEP_1) | instskip(NEXT) | instid1(VALU_DEP_1)
	v_min_u32_e32 v30, 32, v30
	v_subrev_nc_u32_e32 v100, 29, v30
	s_delay_alu instid0(VALU_DEP_1) | instskip(NEXT) | instid1(VALU_DEP_1)
	v_lshlrev_b64_e32 v[100:101], v100, v[48:49]
	v_dual_sub_nc_u32 v30, 30, v30 :: v_dual_bitop2_b32 v100, 3, v100 bitop3:0x40
; %bb.853:                              ;   in Loop: Header=BB2_710 Depth=2
	s_or_b32 exec_lo, exec_lo, s28
	v_lshlrev_b32_e32 v101, 24, v15
	s_delay_alu instid0(VALU_DEP_1) | instskip(NEXT) | instid1(VALU_DEP_1)
	v_and_b32_e32 v101, 0x80000000, v101
	v_lshl_add_u32 v30, v30, 23, v101
	s_delay_alu instid0(VALU_DEP_1) | instskip(NEXT) | instid1(VALU_DEP_1)
	v_lshl_or_b32 v30, v100, 21, v30
                                        ; implicit-def: $vgpr100
	v_add_nc_u32_e32 v30, 0x38000000, v30
.LBB2_854:                              ;   in Loop: Header=BB2_710 Depth=2
	s_and_not1_saveexec_b32 s27, s27
; %bb.855:                              ;   in Loop: Header=BB2_710 Depth=2
	v_bfe_i32 v30, v15, 0, 8
	s_delay_alu instid0(VALU_DEP_1) | instskip(SKIP_2) | instid1(VALU_DEP_2)
	v_cmp_lt_i16_e32 vcc_lo, -1, v30
	v_cndmask_b32_e32 v30, 0xff800000, v62, vcc_lo
	v_cmp_eq_u32_e32 vcc_lo, 0, v100
	v_cndmask_b32_e32 v30, 0x7f800001, v30, vcc_lo
; %bb.856:                              ;   in Loop: Header=BB2_710 Depth=2
	s_or_b32 exec_lo, exec_lo, s27
.LBB2_857:                              ;   in Loop: Header=BB2_710 Depth=2
	s_delay_alu instid0(SALU_CYCLE_1)
	s_or_b32 exec_lo, exec_lo, s26
.LBB2_858:                              ;   in Loop: Header=BB2_710 Depth=2
	s_delay_alu instid0(SALU_CYCLE_1) | instskip(SKIP_4) | instid1(VALU_DEP_2)
	s_or_b32 exec_lo, exec_lo, s10
	v_and_b32_e32 v101, 0xff, v11
	v_mov_b32_e32 v100, v11
	s_mov_b32 s26, 0
	s_mov_b32 s10, exec_lo
	v_cmpx_lt_i16_e32 0x7f, v101
	s_xor_b32 s10, exec_lo, s10
	s_cbranch_execz .LBB2_1267
; %bb.859:                              ;   in Loop: Header=BB2_710 Depth=2
	s_mov_b32 s26, -1
	s_mov_b32 s27, exec_lo
	v_cmpx_eq_u16_e32 0x80, v101
; %bb.860:                              ;   in Loop: Header=BB2_710 Depth=2
	s_xor_b32 s26, exec_lo, -1
; %bb.861:                              ;   in Loop: Header=BB2_710 Depth=2
	s_or_b32 exec_lo, exec_lo, s27
	s_delay_alu instid0(SALU_CYCLE_1)
	s_and_b32 s26, s26, exec_lo
                                        ; implicit-def: $vgpr101
	s_or_saveexec_b32 s10, s10
	v_bfrev_b32_e32 v102, 1
	s_xor_b32 exec_lo, exec_lo, s10
	s_cbranch_execnz .LBB2_1268
.LBB2_862:                              ;   in Loop: Header=BB2_710 Depth=2
	s_or_b32 exec_lo, exec_lo, s10
	v_mov_b32_e32 v101, v49
	s_and_saveexec_b32 s10, s26
	s_cbranch_execz .LBB2_864
.LBB2_863:                              ;   in Loop: Header=BB2_710 Depth=2
	v_and_b32_e32 v112, 3, v11
	s_delay_alu instid0(VALU_DEP_1) | instskip(NEXT) | instid1(VALU_DEP_1)
	v_clz_i32_u32_e32 v102, v112
	v_min_u32_e32 v113, 32, v102
	s_delay_alu instid0(VALU_DEP_1) | instskip(NEXT) | instid1(VALU_DEP_1)
	v_subrev_nc_u32_e32 v102, 29, v113
	v_lshlrev_b64_e32 v[102:103], v102, v[100:101]
	v_bfe_u32 v103, v11, 2, 5
	v_dual_lshlrev_b32 v101, 24, v11 :: v_dual_sub_nc_u32 v113, 30, v113
	s_delay_alu instid0(VALU_DEP_2) | instskip(NEXT) | instid1(VALU_DEP_2)
	v_cmp_eq_u32_e32 vcc_lo, 0, v103
	v_and_b32_e32 v101, 0x80000000, v101
	s_delay_alu instid0(VALU_DEP_3) | instskip(SKIP_1) | instid1(VALU_DEP_2)
	v_dual_cndmask_b32 v103, v103, v113, vcc_lo :: v_dual_bitop2_b32 v102, 3, v102 bitop3:0x40
	v_bfe_i32 v113, v11, 0, 8
	v_cndmask_b32_e32 v102, v112, v102, vcc_lo
	s_delay_alu instid0(VALU_DEP_3) | instskip(NEXT) | instid1(VALU_DEP_3)
	v_lshl_add_u32 v101, v103, 23, v101
	v_cmp_lt_i16_e32 vcc_lo, -1, v113
	s_delay_alu instid0(VALU_DEP_2) | instskip(SKIP_3) | instid1(VALU_DEP_4)
	v_lshl_or_b32 v101, v102, 21, v101
	v_cndmask_b32_e32 v103, 0xff800000, v62, vcc_lo
	v_and_b32_e32 v102, 0x7c, v11
	v_cmp_eq_u32_e32 vcc_lo, 0, v112
	v_add_nc_u32_e32 v101, 0x38000000, v101
	s_delay_alu instid0(VALU_DEP_4) | instskip(NEXT) | instid1(VALU_DEP_4)
	v_cndmask_b32_e32 v103, 0x7f800001, v103, vcc_lo
	v_cmp_eq_u32_e32 vcc_lo, 0x7c, v102
	s_delay_alu instid0(VALU_DEP_2)
	v_cndmask_b32_e32 v102, v101, v103, vcc_lo
.LBB2_864:                              ;   in Loop: Header=BB2_710 Depth=2
	s_or_b32 exec_lo, exec_lo, s10
	s_delay_alu instid0(VALU_DEP_1) | instskip(NEXT) | instid1(VALU_DEP_1)
	v_dual_mul_f32 v101, v30, v102 :: v_dual_mov_b32 v113, v49
	v_dual_mov_b32 v103, v49 :: v_dual_lshrrev_b32 v30, 24, v101
	v_and_b32_e32 v112, 0x7f800000, v101
	v_and_b32_e32 v102, 0x7fffff, v101
	s_delay_alu instid0(VALU_DEP_2) | instskip(SKIP_1) | instid1(SALU_CYCLE_1)
	v_cmp_ne_u64_e32 vcc_lo, 0x7f800000, v[112:113]
                                        ; implicit-def: $vgpr112
	s_and_saveexec_b32 s10, vcc_lo
	s_xor_b32 s26, exec_lo, s10
	s_cbranch_execz .LBB2_878
; %bb.865:                              ;   in Loop: Header=BB2_710 Depth=2
	v_and_b32_e32 v112, 0x7fffffff, v101
	v_mov_b32_e32 v113, v49
	v_and_b32_e32 v30, 0x80, v30
	s_delay_alu instid0(VALU_DEP_2) | instskip(SKIP_1) | instid1(SALU_CYCLE_1)
	v_cmp_gt_u64_e32 vcc_lo, 0x47600001, v[112:113]
                                        ; implicit-def: $vgpr112
	s_and_saveexec_b32 s10, vcc_lo
	s_xor_b32 s27, exec_lo, s10
	s_cbranch_execz .LBB2_875
; %bb.866:                              ;   in Loop: Header=BB2_710 Depth=2
	v_mov_b32_e32 v112, 0
	s_mov_b32 s28, exec_lo
	v_cmpx_ne_u32_e32 0, v101
	s_cbranch_execz .LBB2_874
; %bb.867:                              ;   in Loop: Header=BB2_710 Depth=2
	v_bfe_u32 v101, v101, 23, 8
	v_or_b32_e32 v42, 0x800000, v102
	s_delay_alu instid0(VALU_DEP_2) | instskip(SKIP_1) | instid1(VALU_DEP_2)
	v_sub_nc_u32_e32 v112, 0x71, v101
	v_cmp_gt_u32_e32 vcc_lo, 0x72, v101
	v_cndmask_b32_e32 v112, 0, v112, vcc_lo
	v_cmp_eq_u32_e32 vcc_lo, 0, v101
	s_delay_alu instid0(VALU_DEP_2) | instskip(NEXT) | instid1(VALU_DEP_1)
	v_cndmask_b32_e64 v41, v112, 0x70, vcc_lo
	v_dual_cndmask_b32 v102, v42, v102, vcc_lo :: v_dual_add_nc_u32 v112, 21, v41
	v_add_nc_u32_e32 v43, 20, v41
	s_delay_alu instid0(VALU_DEP_2) | instskip(NEXT) | instid1(VALU_DEP_2)
	v_lshlrev_b64_e64 v[112:113], v112, -1
	v_lshlrev_b64_e64 v[42:43], v43, 1
	s_delay_alu instid0(VALU_DEP_2) | instskip(SKIP_1) | instid1(VALU_DEP_4)
	v_bfi_b32 v112, v112, 0, v102
	v_lshrrev_b64 v[102:103], v41, v[102:103]
	v_bfi_b32 v113, v113, 0, 0
	s_delay_alu instid0(VALU_DEP_1) | instskip(NEXT) | instid1(VALU_DEP_3)
	v_cmp_eq_u64_e64 s10, v[112:113], v[42:43]
	v_mov_b64_e32 v[112:113], v[102:103]
	s_and_saveexec_b32 s29, s10
; %bb.868:                              ;   in Loop: Header=BB2_710 Depth=2
	v_bfe_u32 v112, v102, 21, 1
	v_mov_b32_e32 v113, v49
	s_delay_alu instid0(VALU_DEP_1) | instskip(NEXT) | instid1(VALU_DEP_1)
	v_add_nc_u64_e32 v[112:113], v[102:103], v[112:113]
	v_add_nc_u64_e32 v[112:113], -1, v[112:113]
; %bb.869:                              ;   in Loop: Header=BB2_710 Depth=2
	s_or_b32 exec_lo, exec_lo, s29
	v_add_nc_u32_e32 v101, 0xffffff81, v101
	v_lshrrev_b32_e32 v103, 23, v102
	s_mov_b32 s10, exec_lo
	s_delay_alu instid0(VALU_DEP_2) | instskip(NEXT) | instid1(VALU_DEP_1)
	v_cndmask_b32_e64 v101, v101, 0xffffff82, vcc_lo
	v_add3_u32 v113, v41, v101, v103
	v_and_b32_e32 v101, 0x1fffff, v112
	s_delay_alu instid0(VALU_DEP_2) | instskip(NEXT) | instid1(VALU_DEP_2)
	v_dual_mov_b32 v103, v49 :: v_dual_add_nc_u32 v112, 14, v113
	v_add_nc_u32_e32 v102, v101, v102
                                        ; implicit-def: $vgpr101
	s_delay_alu instid0(VALU_DEP_2)
	v_cmpx_ne_u32_e32 0, v112
	s_xor_b32 s10, exec_lo, s10
; %bb.870:                              ;   in Loop: Header=BB2_710 Depth=2
	s_delay_alu instid0(VALU_DEP_2) | instskip(SKIP_1) | instid1(VALU_DEP_1)
	v_cmp_lt_u64_e32 vcc_lo, 0xffffff, v[102:103]
	v_add_nc_u32_e32 v101, 15, v113
	v_cndmask_b32_e32 v101, v112, v101, vcc_lo
	v_cndmask_b32_e64 v112, 0, 1, vcc_lo
	s_delay_alu instid0(VALU_DEP_1)
	v_lshrrev_b64 v[102:103], v112, v[102:103]
; %bb.871:                              ;   in Loop: Header=BB2_710 Depth=2
	s_and_not1_saveexec_b32 s10, s10
; %bb.872:                              ;   in Loop: Header=BB2_710 Depth=2
	s_delay_alu instid0(VALU_DEP_1)
	v_bfe_u32 v101, v102, 23, 1
; %bb.873:                              ;   in Loop: Header=BB2_710 Depth=2
	s_or_b32 exec_lo, exec_lo, s10
	s_delay_alu instid0(VALU_DEP_2) | instskip(NEXT) | instid1(VALU_DEP_2)
	v_lshrrev_b64 v[102:103], 21, v[102:103]
	v_cmp_gt_i32_e32 vcc_lo, 32, v101
	v_min_i32_e32 v112, 31, v101
	v_cmp_eq_u32_e64 s10, 0, v101
	s_delay_alu instid0(VALU_DEP_2) | instskip(SKIP_1) | instid1(VALU_DEP_2)
	v_dual_cndmask_b32 v103, 0, v103 :: v_dual_lshlrev_b32 v112, 2, v112
	v_cndmask_b32_e32 v102, 3, v102, vcc_lo
	v_and_b32_e32 v112, 0xfc, v112
	s_delay_alu instid0(VALU_DEP_2) | instskip(NEXT) | instid1(VALU_DEP_2)
	v_cmp_eq_u64_e32 vcc_lo, 0, v[102:103]
	v_and_or_b32 v101, v102, 3, v112
	s_and_b32 s10, s10, vcc_lo
	s_delay_alu instid0(VALU_DEP_1) | instid1(SALU_CYCLE_1)
	v_cndmask_b32_e64 v101, v101, 0, s10
	s_delay_alu instid0(VALU_DEP_1)
	v_or_b32_e32 v112, v101, v30
.LBB2_874:                              ;   in Loop: Header=BB2_710 Depth=2
	s_or_b32 exec_lo, exec_lo, s28
                                        ; implicit-def: $vgpr30
.LBB2_875:                              ;   in Loop: Header=BB2_710 Depth=2
	s_and_not1_saveexec_b32 s10, s27
; %bb.876:                              ;   in Loop: Header=BB2_710 Depth=2
	v_or_b32_e32 v112, 0x7b, v30
; %bb.877:                              ;   in Loop: Header=BB2_710 Depth=2
	s_or_b32 exec_lo, exec_lo, s10
                                        ; implicit-def: $vgpr101
                                        ; implicit-def: $vgpr102_vgpr103
                                        ; implicit-def: $vgpr30
.LBB2_878:                              ;   in Loop: Header=BB2_710 Depth=2
	s_and_not1_saveexec_b32 s10, s26
	s_cbranch_execz .LBB2_884
; %bb.879:                              ;   in Loop: Header=BB2_710 Depth=2
	s_mov_b32 s26, exec_lo
                                        ; implicit-def: $vgpr112
	v_cmpx_ne_u64_e32 0, v[102:103]
	s_xor_b32 s26, exec_lo, s26
; %bb.880:                              ;   in Loop: Header=BB2_710 Depth=2
	v_or_b32_e32 v112, 0x7f, v30
                                        ; implicit-def: $vgpr101
; %bb.881:                              ;   in Loop: Header=BB2_710 Depth=2
	s_and_not1_saveexec_b32 s26, s26
; %bb.882:                              ;   in Loop: Header=BB2_710 Depth=2
	v_cmp_lt_i32_e32 vcc_lo, -1, v101
	v_cndmask_b32_e32 v112, 0xfc, v63, vcc_lo
; %bb.883:                              ;   in Loop: Header=BB2_710 Depth=2
	s_or_b32 exec_lo, exec_lo, s26
.LBB2_884:                              ;   in Loop: Header=BB2_710 Depth=2
	s_delay_alu instid0(SALU_CYCLE_1) | instskip(SKIP_3) | instid1(VALU_DEP_2)
	s_or_b32 exec_lo, exec_lo, s10
	v_lshrrev_b16 v102, 8, v48
	v_mov_b32_e32 v30, 0
	s_mov_b32 s10, exec_lo
	v_cmpx_ne_u16_e32 0, v102
	s_cbranch_execz .LBB2_894
; %bb.885:                              ;   in Loop: Header=BB2_710 Depth=2
	v_bfrev_b32_e32 v30, 1
	s_mov_b32 s26, exec_lo
	v_cmpx_ne_u16_e32 0x80, v102
	s_cbranch_execz .LBB2_893
; %bb.886:                              ;   in Loop: Header=BB2_710 Depth=2
	v_and_b32_e32 v103, 0xffff, v102
	s_delay_alu instid0(VALU_DEP_1) | instskip(SKIP_1) | instid1(VALU_DEP_2)
	v_and_b32_e32 v30, 0x7c, v103
	v_and_b32_e32 v101, 3, v103
	v_cmp_ne_u32_e32 vcc_lo, 0x7c, v30
                                        ; implicit-def: $vgpr30
	s_and_saveexec_b32 s27, vcc_lo
	s_delay_alu instid0(SALU_CYCLE_1)
	s_xor_b32 s27, exec_lo, s27
	s_cbranch_execz .LBB2_890
; %bb.887:                              ;   in Loop: Header=BB2_710 Depth=2
	v_bfe_u32 v30, v103, 2, 5
	s_mov_b32 s28, exec_lo
	s_delay_alu instid0(VALU_DEP_1)
	v_cmpx_eq_u32_e32 0, v30
	s_cbranch_execz .LBB2_889
; %bb.888:                              ;   in Loop: Header=BB2_710 Depth=2
	v_clz_i32_u32_e32 v30, v101
	s_delay_alu instid0(VALU_DEP_1) | instskip(SKIP_1) | instid1(VALU_DEP_2)
	v_min_u32_e32 v30, 32, v30
	v_mov_b32_e32 v103, v49
	v_subrev_nc_u32_e32 v101, 29, v30
	v_sub_nc_u32_e32 v30, 30, v30
	s_delay_alu instid0(VALU_DEP_2) | instskip(NEXT) | instid1(VALU_DEP_1)
	v_lshlrev_b64_e32 v[102:103], v101, v[102:103]
	v_and_b32_e32 v101, 3, v102
.LBB2_889:                              ;   in Loop: Header=BB2_710 Depth=2
	s_or_b32 exec_lo, exec_lo, s28
	v_lshlrev_b32_e32 v48, 16, v48
	s_delay_alu instid0(VALU_DEP_1) | instskip(NEXT) | instid1(VALU_DEP_1)
	v_and_b32_e32 v48, 0x80000000, v48
	v_lshl_add_u32 v30, v30, 23, v48
	s_delay_alu instid0(VALU_DEP_1) | instskip(NEXT) | instid1(VALU_DEP_1)
	v_lshl_or_b32 v30, v101, 21, v30
                                        ; implicit-def: $vgpr101
	v_add_nc_u32_e32 v30, 0x38000000, v30
.LBB2_890:                              ;   in Loop: Header=BB2_710 Depth=2
	s_and_not1_saveexec_b32 s27, s27
; %bb.891:                              ;   in Loop: Header=BB2_710 Depth=2
	v_cmp_lt_i16_e32 vcc_lo, -1, v48
	v_cndmask_b32_e32 v30, 0xff800000, v62, vcc_lo
	v_cmp_eq_u32_e32 vcc_lo, 0, v101
	s_delay_alu instid0(VALU_DEP_2)
	v_cndmask_b32_e32 v30, 0x7f800001, v30, vcc_lo
; %bb.892:                              ;   in Loop: Header=BB2_710 Depth=2
	s_or_b32 exec_lo, exec_lo, s27
.LBB2_893:                              ;   in Loop: Header=BB2_710 Depth=2
	s_delay_alu instid0(SALU_CYCLE_1)
	s_or_b32 exec_lo, exec_lo, s26
.LBB2_894:                              ;   in Loop: Header=BB2_710 Depth=2
	s_delay_alu instid0(SALU_CYCLE_1) | instskip(SKIP_3) | instid1(VALU_DEP_1)
	s_or_b32 exec_lo, exec_lo, s10
	v_lshrrev_b16 v48, 8, v100
	s_mov_b32 s26, 0
	s_mov_b32 s10, exec_lo
	v_cmpx_lt_i16_e32 0x7f, v48
	s_xor_b32 s10, exec_lo, s10
	s_cbranch_execz .LBB2_1269
; %bb.895:                              ;   in Loop: Header=BB2_710 Depth=2
	s_mov_b32 s26, -1
	s_mov_b32 s27, exec_lo
	v_cmpx_eq_u16_e32 0x80, v48
; %bb.896:                              ;   in Loop: Header=BB2_710 Depth=2
	s_xor_b32 s26, exec_lo, -1
; %bb.897:                              ;   in Loop: Header=BB2_710 Depth=2
	s_or_b32 exec_lo, exec_lo, s27
	s_delay_alu instid0(SALU_CYCLE_1)
	s_and_b32 s26, s26, exec_lo
	s_or_saveexec_b32 s10, s10
	v_bfrev_b32_e32 v101, 1
	s_xor_b32 exec_lo, exec_lo, s10
	s_cbranch_execnz .LBB2_1270
.LBB2_898:                              ;   in Loop: Header=BB2_710 Depth=2
	s_or_b32 exec_lo, exec_lo, s10
	s_and_saveexec_b32 s10, s26
	s_cbranch_execz .LBB2_900
.LBB2_899:                              ;   in Loop: Header=BB2_710 Depth=2
	v_and_b32_e32 v101, 0xffff, v48
	s_delay_alu instid0(VALU_DEP_1) | instskip(NEXT) | instid1(VALU_DEP_1)
	v_and_b32_e32 v113, 3, v101
	v_clz_i32_u32_e32 v102, v113
	s_delay_alu instid0(VALU_DEP_1) | instskip(NEXT) | instid1(VALU_DEP_1)
	v_min_u32_e32 v41, 32, v102
	v_subrev_nc_u32_e32 v102, 29, v41
	s_delay_alu instid0(VALU_DEP_1) | instskip(SKIP_3) | instid1(VALU_DEP_3)
	v_lshlrev_b64_e32 v[102:103], v102, v[48:49]
	v_bfe_u32 v103, v101, 2, 5
	v_dual_lshlrev_b32 v48, 24, v48 :: v_dual_sub_nc_u32 v41, 30, v41
	v_and_b32_e32 v101, 0x7c, v101
	v_cmp_eq_u32_e32 vcc_lo, 0, v103
	s_delay_alu instid0(VALU_DEP_3) | instskip(NEXT) | instid1(VALU_DEP_4)
	v_and_b32_e32 v48, 0x80000000, v48
	v_dual_cndmask_b32 v103, v103, v41, vcc_lo :: v_dual_bitop2_b32 v102, 3, v102 bitop3:0x40
	s_delay_alu instid0(VALU_DEP_1) | instskip(SKIP_1) | instid1(VALU_DEP_3)
	v_cndmask_b32_e32 v102, v113, v102, vcc_lo
	v_cmp_lt_i16_e32 vcc_lo, -1, v100
	v_lshl_add_u32 v48, v103, 23, v48
	v_cndmask_b32_e32 v100, 0xff800000, v62, vcc_lo
	v_cmp_eq_u32_e32 vcc_lo, 0, v113
	s_delay_alu instid0(VALU_DEP_3) | instskip(NEXT) | instid1(VALU_DEP_3)
	v_lshl_or_b32 v48, v102, 21, v48
	v_cndmask_b32_e32 v100, 0x7f800001, v100, vcc_lo
	s_delay_alu instid0(VALU_DEP_2) | instskip(SKIP_1) | instid1(VALU_DEP_2)
	v_add_nc_u32_e32 v48, 0x38000000, v48
	v_cmp_eq_u32_e32 vcc_lo, 0x7c, v101
	v_cndmask_b32_e32 v101, v48, v100, vcc_lo
.LBB2_900:                              ;   in Loop: Header=BB2_710 Depth=2
	s_or_b32 exec_lo, exec_lo, s10
	s_delay_alu instid0(VALU_DEP_1) | instskip(SKIP_1) | instid1(VALU_DEP_1)
	v_dual_mul_f32 v100, v30, v101 :: v_dual_mov_b32 v103, v49
                                        ; implicit-def: $vgpr113
	s_mov_b32 s10, exec_lo
	v_and_b32_e32 v102, 0x7f800000, v100
	v_and_b32_e32 v48, 0x7fffff, v100
	v_lshrrev_b32_e32 v30, 24, v100
	s_delay_alu instid0(VALU_DEP_3)
	v_cmpx_ne_u64_e32 0x7f800000, v[102:103]
	s_xor_b32 s26, exec_lo, s10
	s_cbranch_execz .LBB2_914
; %bb.901:                              ;   in Loop: Header=BB2_710 Depth=2
	v_and_b32_e32 v102, 0x7fffffff, v100
	v_mov_b32_e32 v103, v49
	v_and_b32_e32 v30, 0x80, v30
                                        ; implicit-def: $vgpr113
	s_mov_b32 s10, exec_lo
	s_delay_alu instid0(VALU_DEP_2)
	v_cmpx_gt_u64_e32 0x47600001, v[102:103]
	s_xor_b32 s27, exec_lo, s10
	s_cbranch_execz .LBB2_911
; %bb.902:                              ;   in Loop: Header=BB2_710 Depth=2
	v_mov_b32_e32 v113, 0
	s_mov_b32 s28, exec_lo
	v_cmpx_ne_u32_e32 0, v100
	s_cbranch_execz .LBB2_910
; %bb.903:                              ;   in Loop: Header=BB2_710 Depth=2
	v_bfe_u32 v113, v100, 23, 8
	v_or_b32_e32 v102, 0x800000, v48
	s_delay_alu instid0(VALU_DEP_2) | instskip(SKIP_1) | instid1(VALU_DEP_2)
	v_sub_nc_u32_e32 v100, 0x71, v113
	v_cmp_gt_u32_e32 vcc_lo, 0x72, v113
	v_cndmask_b32_e32 v100, 0, v100, vcc_lo
	v_cmp_eq_u32_e32 vcc_lo, 0, v113
	s_delay_alu instid0(VALU_DEP_2) | instskip(NEXT) | instid1(VALU_DEP_1)
	v_cndmask_b32_e64 v41, v100, 0x70, vcc_lo
	v_dual_cndmask_b32 v48, v102, v48, vcc_lo :: v_dual_add_nc_u32 v100, 21, v41
	v_add_nc_u32_e32 v103, 20, v41
	s_delay_alu instid0(VALU_DEP_2) | instskip(NEXT) | instid1(VALU_DEP_2)
	v_lshlrev_b64_e64 v[100:101], v100, -1
	v_lshlrev_b64_e64 v[102:103], v103, 1
	s_delay_alu instid0(VALU_DEP_2) | instskip(NEXT) | instid1(VALU_DEP_3)
	v_bfi_b32 v43, v101, 0, 0
	v_bfi_b32 v42, v100, 0, v48
	v_lshrrev_b64 v[100:101], v41, v[48:49]
	s_delay_alu instid0(VALU_DEP_2) | instskip(NEXT) | instid1(VALU_DEP_2)
	v_cmp_eq_u64_e64 s10, v[42:43], v[102:103]
	v_mov_b64_e32 v[102:103], v[100:101]
	s_and_saveexec_b32 s29, s10
; %bb.904:                              ;   in Loop: Header=BB2_710 Depth=2
	v_bfe_u32 v48, v100, 21, 1
	s_delay_alu instid0(VALU_DEP_1) | instskip(NEXT) | instid1(VALU_DEP_1)
	v_add_nc_u64_e32 v[102:103], v[100:101], v[48:49]
	v_add_nc_u64_e32 v[102:103], -1, v[102:103]
; %bb.905:                              ;   in Loop: Header=BB2_710 Depth=2
	s_or_b32 exec_lo, exec_lo, s29
	v_add_nc_u32_e32 v48, 0xffffff81, v113
	v_lshrrev_b32_e32 v101, 23, v100
	s_mov_b32 s10, exec_lo
	s_delay_alu instid0(VALU_DEP_2) | instskip(NEXT) | instid1(VALU_DEP_1)
	v_cndmask_b32_e64 v48, v48, 0xffffff82, vcc_lo
	v_add3_u32 v103, v41, v48, v101
	v_and_b32_e32 v48, 0x1fffff, v102
                                        ; implicit-def: $vgpr102
	s_delay_alu instid0(VALU_DEP_1) | instskip(NEXT) | instid1(VALU_DEP_1)
	v_dual_add_nc_u32 v113, 14, v103 :: v_dual_add_nc_u32 v48, v48, v100
                                        ; implicit-def: $vgpr100_vgpr101
	v_cmpx_ne_u32_e32 0, v113
	s_xor_b32 s10, exec_lo, s10
; %bb.906:                              ;   in Loop: Header=BB2_710 Depth=2
	s_delay_alu instid0(VALU_DEP_2) | instskip(SKIP_1) | instid1(VALU_DEP_1)
	v_cmp_lt_u64_e32 vcc_lo, 0xffffff, v[48:49]
	v_add_nc_u32_e32 v100, 15, v103
	v_cndmask_b32_e32 v102, v113, v100, vcc_lo
	v_cndmask_b32_e64 v100, 0, 1, vcc_lo
	s_delay_alu instid0(VALU_DEP_1)
	v_lshrrev_b64 v[100:101], v100, v[48:49]
; %bb.907:                              ;   in Loop: Header=BB2_710 Depth=2
	s_and_not1_saveexec_b32 s10, s10
; %bb.908:                              ;   in Loop: Header=BB2_710 Depth=2
	v_mov_b64_e32 v[100:101], v[48:49]
	v_bfe_u32 v102, v48, 23, 1
; %bb.909:                              ;   in Loop: Header=BB2_710 Depth=2
	s_or_b32 exec_lo, exec_lo, s10
	s_delay_alu instid0(VALU_DEP_2) | instskip(NEXT) | instid1(VALU_DEP_2)
	v_lshrrev_b64 v[100:101], 21, v[100:101]
	v_cmp_gt_i32_e32 vcc_lo, 32, v102
	v_min_i32_e32 v48, 31, v102
	v_cmp_eq_u32_e64 s10, 0, v102
	s_delay_alu instid0(VALU_DEP_2) | instskip(SKIP_1) | instid1(VALU_DEP_2)
	v_dual_cndmask_b32 v101, 0, v101 :: v_dual_lshlrev_b32 v48, 2, v48
	v_cndmask_b32_e32 v100, 3, v100, vcc_lo
	v_and_b32_e32 v48, 0xfc, v48
	s_delay_alu instid0(VALU_DEP_2) | instskip(NEXT) | instid1(VALU_DEP_2)
	v_cmp_eq_u64_e32 vcc_lo, 0, v[100:101]
	v_and_or_b32 v48, v100, 3, v48
	s_and_b32 s10, s10, vcc_lo
	s_delay_alu instid0(VALU_DEP_1) | instid1(SALU_CYCLE_1)
	v_cndmask_b32_e64 v48, v48, 0, s10
	s_delay_alu instid0(VALU_DEP_1)
	v_or_b32_e32 v113, v48, v30
.LBB2_910:                              ;   in Loop: Header=BB2_710 Depth=2
	s_or_b32 exec_lo, exec_lo, s28
                                        ; implicit-def: $vgpr30
.LBB2_911:                              ;   in Loop: Header=BB2_710 Depth=2
	s_and_not1_saveexec_b32 s10, s27
; %bb.912:                              ;   in Loop: Header=BB2_710 Depth=2
	v_or_b32_e32 v113, 0x7b, v30
; %bb.913:                              ;   in Loop: Header=BB2_710 Depth=2
	s_or_b32 exec_lo, exec_lo, s10
                                        ; implicit-def: $vgpr100
                                        ; implicit-def: $vgpr30
.LBB2_914:                              ;   in Loop: Header=BB2_710 Depth=2
	s_and_not1_saveexec_b32 s10, s26
	s_cbranch_execz .LBB2_920
; %bb.915:                              ;   in Loop: Header=BB2_710 Depth=2
	s_mov_b32 s26, exec_lo
                                        ; implicit-def: $vgpr113
	v_cmpx_ne_u64_e32 0, v[48:49]
	s_xor_b32 s26, exec_lo, s26
; %bb.916:                              ;   in Loop: Header=BB2_710 Depth=2
	v_or_b32_e32 v113, 0x7f, v30
                                        ; implicit-def: $vgpr100
; %bb.917:                              ;   in Loop: Header=BB2_710 Depth=2
	s_and_not1_saveexec_b32 s26, s26
; %bb.918:                              ;   in Loop: Header=BB2_710 Depth=2
	v_cmp_lt_i32_e32 vcc_lo, -1, v100
	v_cndmask_b32_e32 v113, 0xfc, v63, vcc_lo
; %bb.919:                              ;   in Loop: Header=BB2_710 Depth=2
	s_or_b32 exec_lo, exec_lo, s26
.LBB2_920:                              ;   in Loop: Header=BB2_710 Depth=2
	s_delay_alu instid0(SALU_CYCLE_1) | instskip(SKIP_2) | instid1(VALU_DEP_1)
	s_or_b32 exec_lo, exec_lo, s10
	v_dual_lshrrev_b32 v30, 16, v15 :: v_dual_mov_b32 v48, 0
	s_mov_b32 s10, exec_lo
	v_and_b32_e32 v100, 0xff, v30
	s_delay_alu instid0(VALU_DEP_1)
	v_cmpx_ne_u16_e32 0, v100
	s_cbranch_execz .LBB2_930
; %bb.921:                              ;   in Loop: Header=BB2_710 Depth=2
	v_bfrev_b32_e32 v48, 1
	s_mov_b32 s26, exec_lo
	v_cmpx_ne_u16_e32 0x80, v100
	s_cbranch_execz .LBB2_929
; %bb.922:                              ;   in Loop: Header=BB2_710 Depth=2
	v_and_b32_e32 v48, 0x7c0000, v15
	v_bfe_u32 v100, v15, 16, 2
	s_delay_alu instid0(VALU_DEP_2) | instskip(SKIP_1) | instid1(SALU_CYCLE_1)
	v_cmp_ne_u32_e32 vcc_lo, 0x7c0000, v48
                                        ; implicit-def: $vgpr48
	s_and_saveexec_b32 s27, vcc_lo
	s_xor_b32 s27, exec_lo, s27
	s_cbranch_execz .LBB2_926
; %bb.923:                              ;   in Loop: Header=BB2_710 Depth=2
	v_bfe_u32 v48, v15, 18, 5
	s_mov_b32 s28, exec_lo
	s_delay_alu instid0(VALU_DEP_1)
	v_cmpx_eq_u32_e32 0, v48
; %bb.924:                              ;   in Loop: Header=BB2_710 Depth=2
	v_clz_i32_u32_e32 v48, v100
	s_delay_alu instid0(VALU_DEP_1) | instskip(NEXT) | instid1(VALU_DEP_1)
	v_min_u32_e32 v48, 32, v48
	v_subrev_nc_u32_e32 v100, 29, v48
	v_sub_nc_u32_e32 v48, 30, v48
	s_delay_alu instid0(VALU_DEP_2) | instskip(NEXT) | instid1(VALU_DEP_1)
	v_lshlrev_b64_e32 v[100:101], v100, v[30:31]
	v_and_b32_e32 v100, 3, v100
; %bb.925:                              ;   in Loop: Header=BB2_710 Depth=2
	s_or_b32 exec_lo, exec_lo, s28
	v_lshlrev_b32_e32 v30, 24, v30
	s_delay_alu instid0(VALU_DEP_1) | instskip(NEXT) | instid1(VALU_DEP_1)
	v_and_b32_e32 v30, 0x80000000, v30
	v_lshl_add_u32 v30, v48, 23, v30
	s_delay_alu instid0(VALU_DEP_1) | instskip(NEXT) | instid1(VALU_DEP_1)
	v_lshl_or_b32 v30, v100, 21, v30
                                        ; implicit-def: $vgpr100
	v_add_nc_u32_e32 v48, 0x38000000, v30
                                        ; implicit-def: $vgpr30
.LBB2_926:                              ;   in Loop: Header=BB2_710 Depth=2
	s_and_not1_saveexec_b32 s27, s27
; %bb.927:                              ;   in Loop: Header=BB2_710 Depth=2
	v_bfe_i32 v30, v30, 0, 8
	s_delay_alu instid0(VALU_DEP_1) | instskip(SKIP_2) | instid1(VALU_DEP_2)
	v_cmp_lt_i16_e32 vcc_lo, -1, v30
	v_cndmask_b32_e32 v30, 0xff800000, v62, vcc_lo
	v_cmp_eq_u32_e32 vcc_lo, 0, v100
	v_cndmask_b32_e32 v48, 0x7f800001, v30, vcc_lo
; %bb.928:                              ;   in Loop: Header=BB2_710 Depth=2
	s_or_b32 exec_lo, exec_lo, s27
.LBB2_929:                              ;   in Loop: Header=BB2_710 Depth=2
	s_delay_alu instid0(SALU_CYCLE_1)
	s_or_b32 exec_lo, exec_lo, s26
.LBB2_930:                              ;   in Loop: Header=BB2_710 Depth=2
	s_delay_alu instid0(SALU_CYCLE_1) | instskip(SKIP_3) | instid1(VALU_DEP_1)
	s_or_b32 exec_lo, exec_lo, s10
	v_lshrrev_b32_e32 v30, 16, v11
	s_mov_b32 s26, 0
	s_mov_b32 s10, exec_lo
	v_and_b32_e32 v101, 0xff, v30
	s_delay_alu instid0(VALU_DEP_1)
	v_cmpx_lt_i16_e32 0x7f, v101
	s_xor_b32 s10, exec_lo, s10
	s_cbranch_execz .LBB2_1271
; %bb.931:                              ;   in Loop: Header=BB2_710 Depth=2
	s_mov_b32 s26, -1
	s_mov_b32 s27, exec_lo
	v_cmpx_eq_u16_e32 0x80, v101
; %bb.932:                              ;   in Loop: Header=BB2_710 Depth=2
	s_xor_b32 s26, exec_lo, -1
; %bb.933:                              ;   in Loop: Header=BB2_710 Depth=2
	s_or_b32 exec_lo, exec_lo, s27
	s_delay_alu instid0(SALU_CYCLE_1)
	s_and_b32 s26, s26, exec_lo
                                        ; implicit-def: $vgpr101
	s_or_saveexec_b32 s10, s10
	v_bfrev_b32_e32 v100, 1
	s_xor_b32 exec_lo, exec_lo, s10
	s_cbranch_execnz .LBB2_1272
.LBB2_934:                              ;   in Loop: Header=BB2_710 Depth=2
	s_or_b32 exec_lo, exec_lo, s10
	s_and_saveexec_b32 s10, s26
	s_cbranch_execz .LBB2_936
.LBB2_935:                              ;   in Loop: Header=BB2_710 Depth=2
	v_and_b32_e32 v102, 3, v30
	v_bfe_u32 v41, v11, 18, 5
	s_delay_alu instid0(VALU_DEP_2) | instskip(NEXT) | instid1(VALU_DEP_2)
	v_clz_i32_u32_e32 v100, v102
	v_cmp_eq_u32_e32 vcc_lo, 0, v41
	s_delay_alu instid0(VALU_DEP_2) | instskip(NEXT) | instid1(VALU_DEP_1)
	v_min_u32_e32 v103, 32, v100
	v_subrev_nc_u32_e32 v100, 29, v103
	s_delay_alu instid0(VALU_DEP_1) | instskip(SKIP_2) | instid1(VALU_DEP_2)
	v_lshlrev_b64_e32 v[100:101], v100, v[30:31]
	v_dual_lshlrev_b32 v101, 24, v30 :: v_dual_sub_nc_u32 v103, 30, v103
	v_bfe_i32 v30, v30, 0, 8
	v_and_b32_e32 v101, 0x80000000, v101
	s_delay_alu instid0(VALU_DEP_3) | instskip(NEXT) | instid1(VALU_DEP_1)
	v_dual_cndmask_b32 v103, v41, v103, vcc_lo :: v_dual_bitop2_b32 v100, 3, v100 bitop3:0x40
	v_cndmask_b32_e32 v100, v102, v100, vcc_lo
	s_delay_alu instid0(VALU_DEP_2) | instskip(SKIP_1) | instid1(VALU_DEP_2)
	v_lshl_add_u32 v101, v103, 23, v101
	v_cmp_lt_i16_e32 vcc_lo, -1, v30
	v_lshl_or_b32 v100, v100, 21, v101
	v_cndmask_b32_e32 v30, 0xff800000, v62, vcc_lo
	v_and_b32_e32 v101, 0x7c0000, v11
	v_cmp_eq_u32_e32 vcc_lo, 0, v102
	s_delay_alu instid0(VALU_DEP_4) | instskip(NEXT) | instid1(VALU_DEP_4)
	v_add_nc_u32_e32 v100, 0x38000000, v100
	v_cndmask_b32_e32 v30, 0x7f800001, v30, vcc_lo
	s_delay_alu instid0(VALU_DEP_4) | instskip(NEXT) | instid1(VALU_DEP_2)
	v_cmp_eq_u32_e32 vcc_lo, 0x7c0000, v101
	v_cndmask_b32_e32 v100, v100, v30, vcc_lo
.LBB2_936:                              ;   in Loop: Header=BB2_710 Depth=2
	s_or_b32 exec_lo, exec_lo, s10
	s_delay_alu instid0(VALU_DEP_1) | instskip(NEXT) | instid1(VALU_DEP_1)
	v_dual_mul_f32 v100, v48, v100 :: v_dual_mov_b32 v103, v49
	v_and_b32_e32 v102, 0x7f800000, v100
	v_and_b32_e32 v48, 0x7fffff, v100
	v_lshrrev_b32_e32 v30, 24, v100
	s_delay_alu instid0(VALU_DEP_3) | instskip(SKIP_1) | instid1(SALU_CYCLE_1)
	v_cmp_ne_u64_e32 vcc_lo, 0x7f800000, v[102:103]
                                        ; implicit-def: $vgpr102
	s_and_saveexec_b32 s10, vcc_lo
	s_xor_b32 s26, exec_lo, s10
	s_cbranch_execz .LBB2_950
; %bb.937:                              ;   in Loop: Header=BB2_710 Depth=2
	v_and_b32_e32 v102, 0x7fffffff, v100
	v_mov_b32_e32 v103, v49
	v_and_b32_e32 v30, 0x80, v30
	s_delay_alu instid0(VALU_DEP_2) | instskip(SKIP_1) | instid1(SALU_CYCLE_1)
	v_cmp_gt_u64_e32 vcc_lo, 0x47600001, v[102:103]
                                        ; implicit-def: $vgpr102
	s_and_saveexec_b32 s10, vcc_lo
	s_xor_b32 s27, exec_lo, s10
	s_cbranch_execz .LBB2_947
; %bb.938:                              ;   in Loop: Header=BB2_710 Depth=2
	v_mov_b32_e32 v102, 0
	s_mov_b32 s28, exec_lo
	v_cmpx_ne_u32_e32 0, v100
	s_cbranch_execz .LBB2_946
; %bb.939:                              ;   in Loop: Header=BB2_710 Depth=2
	v_bfe_u32 v41, v100, 23, 8
	v_or_b32_e32 v102, 0x800000, v48
	s_delay_alu instid0(VALU_DEP_2) | instskip(SKIP_1) | instid1(VALU_DEP_2)
	v_sub_nc_u32_e32 v100, 0x71, v41
	v_cmp_gt_u32_e32 vcc_lo, 0x72, v41
	v_cndmask_b32_e32 v100, 0, v100, vcc_lo
	v_cmp_eq_u32_e32 vcc_lo, 0, v41
	s_delay_alu instid0(VALU_DEP_2) | instskip(NEXT) | instid1(VALU_DEP_1)
	v_cndmask_b32_e64 v42, v100, 0x70, vcc_lo
	v_dual_cndmask_b32 v48, v102, v48, vcc_lo :: v_dual_add_nc_u32 v100, 21, v42
	v_add_nc_u32_e32 v103, 20, v42
	s_delay_alu instid0(VALU_DEP_2) | instskip(NEXT) | instid1(VALU_DEP_2)
	v_lshlrev_b64_e64 v[100:101], v100, -1
	v_lshlrev_b64_e64 v[102:103], v103, 1
	s_delay_alu instid0(VALU_DEP_2) | instskip(NEXT) | instid1(VALU_DEP_3)
	v_bfi_b32 v45, v101, 0, 0
	v_bfi_b32 v44, v100, 0, v48
	v_lshrrev_b64 v[100:101], v42, v[48:49]
	s_delay_alu instid0(VALU_DEP_2) | instskip(NEXT) | instid1(VALU_DEP_2)
	v_cmp_eq_u64_e64 s10, v[44:45], v[102:103]
	v_mov_b64_e32 v[102:103], v[100:101]
	s_and_saveexec_b32 s29, s10
; %bb.940:                              ;   in Loop: Header=BB2_710 Depth=2
	v_bfe_u32 v48, v100, 21, 1
	s_delay_alu instid0(VALU_DEP_1) | instskip(NEXT) | instid1(VALU_DEP_1)
	v_add_nc_u64_e32 v[102:103], v[100:101], v[48:49]
	v_add_nc_u64_e32 v[102:103], -1, v[102:103]
; %bb.941:                              ;   in Loop: Header=BB2_710 Depth=2
	s_or_b32 exec_lo, exec_lo, s29
	v_add_nc_u32_e32 v48, 0xffffff81, v41
	v_lshrrev_b32_e32 v101, 23, v100
	s_mov_b32 s10, exec_lo
	s_delay_alu instid0(VALU_DEP_2) | instskip(NEXT) | instid1(VALU_DEP_1)
	v_cndmask_b32_e64 v48, v48, 0xffffff82, vcc_lo
	v_add3_u32 v103, v42, v48, v101
	v_and_b32_e32 v48, 0x1fffff, v102
                                        ; implicit-def: $vgpr102
	s_delay_alu instid0(VALU_DEP_1) | instskip(NEXT) | instid1(VALU_DEP_1)
	v_dual_add_nc_u32 v41, 14, v103 :: v_dual_add_nc_u32 v48, v48, v100
                                        ; implicit-def: $vgpr100_vgpr101
	v_cmpx_ne_u32_e32 0, v41
	s_xor_b32 s10, exec_lo, s10
; %bb.942:                              ;   in Loop: Header=BB2_710 Depth=2
	s_delay_alu instid0(VALU_DEP_2) | instskip(SKIP_1) | instid1(VALU_DEP_1)
	v_cmp_lt_u64_e32 vcc_lo, 0xffffff, v[48:49]
	v_add_nc_u32_e32 v100, 15, v103
	v_cndmask_b32_e32 v102, v41, v100, vcc_lo
	v_cndmask_b32_e64 v100, 0, 1, vcc_lo
	s_delay_alu instid0(VALU_DEP_1)
	v_lshrrev_b64 v[100:101], v100, v[48:49]
; %bb.943:                              ;   in Loop: Header=BB2_710 Depth=2
	s_and_not1_saveexec_b32 s10, s10
; %bb.944:                              ;   in Loop: Header=BB2_710 Depth=2
	v_mov_b64_e32 v[100:101], v[48:49]
	v_bfe_u32 v102, v48, 23, 1
; %bb.945:                              ;   in Loop: Header=BB2_710 Depth=2
	s_or_b32 exec_lo, exec_lo, s10
	s_delay_alu instid0(VALU_DEP_2) | instskip(NEXT) | instid1(VALU_DEP_2)
	v_lshrrev_b64 v[100:101], 21, v[100:101]
	v_cmp_gt_i32_e32 vcc_lo, 32, v102
	v_min_i32_e32 v48, 31, v102
	v_cmp_eq_u32_e64 s10, 0, v102
	s_delay_alu instid0(VALU_DEP_2) | instskip(SKIP_1) | instid1(VALU_DEP_2)
	v_dual_cndmask_b32 v101, 0, v101 :: v_dual_lshlrev_b32 v48, 2, v48
	v_cndmask_b32_e32 v100, 3, v100, vcc_lo
	v_and_b32_e32 v48, 0xfc, v48
	s_delay_alu instid0(VALU_DEP_2) | instskip(NEXT) | instid1(VALU_DEP_2)
	v_cmp_eq_u64_e32 vcc_lo, 0, v[100:101]
	v_and_or_b32 v48, v100, 3, v48
	s_and_b32 s10, s10, vcc_lo
	s_delay_alu instid0(VALU_DEP_1) | instid1(SALU_CYCLE_1)
	v_cndmask_b32_e64 v48, v48, 0, s10
	s_delay_alu instid0(VALU_DEP_1)
	v_or_b32_e32 v102, v48, v30
.LBB2_946:                              ;   in Loop: Header=BB2_710 Depth=2
	s_or_b32 exec_lo, exec_lo, s28
                                        ; implicit-def: $vgpr30
.LBB2_947:                              ;   in Loop: Header=BB2_710 Depth=2
	s_and_not1_saveexec_b32 s10, s27
; %bb.948:                              ;   in Loop: Header=BB2_710 Depth=2
	v_or_b32_e32 v102, 0x7b, v30
; %bb.949:                              ;   in Loop: Header=BB2_710 Depth=2
	s_or_b32 exec_lo, exec_lo, s10
                                        ; implicit-def: $vgpr100
                                        ; implicit-def: $vgpr30
.LBB2_950:                              ;   in Loop: Header=BB2_710 Depth=2
	s_and_not1_saveexec_b32 s10, s26
	s_cbranch_execz .LBB2_956
; %bb.951:                              ;   in Loop: Header=BB2_710 Depth=2
	s_mov_b32 s26, exec_lo
                                        ; implicit-def: $vgpr102
	v_cmpx_ne_u64_e32 0, v[48:49]
	s_xor_b32 s26, exec_lo, s26
; %bb.952:                              ;   in Loop: Header=BB2_710 Depth=2
	v_or_b32_e32 v102, 0x7f, v30
                                        ; implicit-def: $vgpr100
; %bb.953:                              ;   in Loop: Header=BB2_710 Depth=2
	s_and_not1_saveexec_b32 s26, s26
; %bb.954:                              ;   in Loop: Header=BB2_710 Depth=2
	v_cmp_lt_i32_e32 vcc_lo, -1, v100
	v_cndmask_b32_e32 v102, 0xfc, v63, vcc_lo
; %bb.955:                              ;   in Loop: Header=BB2_710 Depth=2
	s_or_b32 exec_lo, exec_lo, s26
.LBB2_956:                              ;   in Loop: Header=BB2_710 Depth=2
	s_delay_alu instid0(SALU_CYCLE_1)
	s_or_b32 exec_lo, exec_lo, s10
	v_mov_b32_e32 v48, 0
	s_mov_b32 s10, exec_lo
	v_cmpx_lt_u64_e64 s[12:13], v[14:15]
	s_cbranch_execz .LBB2_966
; %bb.957:                              ;   in Loop: Header=BB2_710 Depth=2
	v_lshrrev_b32_e32 v30, 24, v15
	v_bfrev_b32_e32 v48, 1
	s_mov_b32 s26, exec_lo
	s_delay_alu instid0(VALU_DEP_2)
	v_cmpx_ne_u32_e32 0x80, v30
	s_cbranch_execz .LBB2_965
; %bb.958:                              ;   in Loop: Header=BB2_710 Depth=2
	v_and_b32_e32 v48, 0x7c000000, v15
	v_bfe_u32 v100, v15, 24, 2
	s_delay_alu instid0(VALU_DEP_2) | instskip(SKIP_1) | instid1(SALU_CYCLE_1)
	v_cmp_ne_u32_e32 vcc_lo, 0x7c000000, v48
                                        ; implicit-def: $vgpr48
	s_and_saveexec_b32 s27, vcc_lo
	s_xor_b32 s27, exec_lo, s27
	s_cbranch_execz .LBB2_962
; %bb.959:                              ;   in Loop: Header=BB2_710 Depth=2
	v_bfe_u32 v48, v15, 26, 5
	s_mov_b32 s28, exec_lo
	s_delay_alu instid0(VALU_DEP_1)
	v_cmpx_eq_u32_e32 0, v48
; %bb.960:                              ;   in Loop: Header=BB2_710 Depth=2
	v_clz_i32_u32_e32 v48, v100
	s_delay_alu instid0(VALU_DEP_1) | instskip(NEXT) | instid1(VALU_DEP_1)
	v_min_u32_e32 v48, 32, v48
	v_subrev_nc_u32_e32 v100, 29, v48
	v_sub_nc_u32_e32 v48, 30, v48
	s_delay_alu instid0(VALU_DEP_2) | instskip(NEXT) | instid1(VALU_DEP_1)
	v_lshlrev_b64_e32 v[100:101], v100, v[30:31]
	v_and_b32_e32 v100, 3, v100
; %bb.961:                              ;   in Loop: Header=BB2_710 Depth=2
	s_or_b32 exec_lo, exec_lo, s28
	v_and_b32_e32 v30, 0x80000000, v15
	s_delay_alu instid0(VALU_DEP_1) | instskip(NEXT) | instid1(VALU_DEP_1)
	v_lshl_add_u32 v30, v48, 23, v30
	v_lshl_or_b32 v30, v100, 21, v30
                                        ; implicit-def: $vgpr100
	s_delay_alu instid0(VALU_DEP_1)
	v_add_nc_u32_e32 v48, 0x38000000, v30
.LBB2_962:                              ;   in Loop: Header=BB2_710 Depth=2
	s_and_not1_saveexec_b32 s27, s27
; %bb.963:                              ;   in Loop: Header=BB2_710 Depth=2
	v_cmp_lt_i64_e32 vcc_lo, -1, v[14:15]
	v_cndmask_b32_e32 v14, 0xff800000, v62, vcc_lo
	v_cmp_eq_u32_e32 vcc_lo, 0, v100
	s_delay_alu instid0(VALU_DEP_2)
	v_cndmask_b32_e32 v48, 0x7f800001, v14, vcc_lo
; %bb.964:                              ;   in Loop: Header=BB2_710 Depth=2
	s_or_b32 exec_lo, exec_lo, s27
.LBB2_965:                              ;   in Loop: Header=BB2_710 Depth=2
	s_delay_alu instid0(SALU_CYCLE_1)
	s_or_b32 exec_lo, exec_lo, s26
.LBB2_966:                              ;   in Loop: Header=BB2_710 Depth=2
	s_delay_alu instid0(SALU_CYCLE_1) | instskip(SKIP_3) | instid1(VALU_DEP_2)
	s_or_b32 exec_lo, exec_lo, s10
	v_bfe_u32 v15, v11, 24, 2
	v_bfe_u32 v103, v11, 26, 5
	s_mov_b32 s10, exec_lo
	v_clz_i32_u32_e32 v14, v15
	s_delay_alu instid0(VALU_DEP_2) | instskip(NEXT) | instid1(VALU_DEP_2)
	v_cmp_eq_u32_e32 vcc_lo, 0, v103
	v_min_u32_e32 v30, 32, v14
	v_lshrrev_b32_e32 v14, 24, v11
	s_delay_alu instid0(VALU_DEP_2) | instskip(SKIP_1) | instid1(VALU_DEP_2)
	v_subrev_nc_u32_e32 v100, 29, v30
	v_sub_nc_u32_e32 v30, 30, v30
	v_lshlrev_b64_e32 v[100:101], v100, v[14:15]
	s_delay_alu instid0(VALU_DEP_2) | instskip(SKIP_1) | instid1(VALU_DEP_3)
	v_cndmask_b32_e32 v30, v103, v30, vcc_lo
	v_and_b32_e32 v101, 0x80000000, v11
	v_and_b32_e32 v100, 3, v100
	s_delay_alu instid0(VALU_DEP_2) | instskip(NEXT) | instid1(VALU_DEP_2)
	v_lshl_add_u32 v30, v30, 23, v101
	v_cndmask_b32_e32 v100, v15, v100, vcc_lo
	v_cmp_lt_i64_e32 vcc_lo, -1, v[10:11]
	s_delay_alu instid0(VALU_DEP_2) | instskip(SKIP_3) | instid1(VALU_DEP_4)
	v_lshl_or_b32 v30, v100, 21, v30
	v_and_b32_e32 v100, 0x7c000000, v11
	v_cndmask_b32_e32 v101, 0xff800000, v62, vcc_lo
	v_cmp_eq_u32_e32 vcc_lo, 0, v15
	v_add_nc_u32_e32 v30, 0x38000000, v30
	s_delay_alu instid0(VALU_DEP_3) | instskip(SKIP_1) | instid1(VALU_DEP_2)
	v_cndmask_b32_e32 v15, 0x7f800001, v101, vcc_lo
	v_cmp_eq_u32_e32 vcc_lo, 0x7c000000, v100
	v_cndmask_b32_e32 v15, v30, v15, vcc_lo
	v_cmp_ne_u32_e32 vcc_lo, 0x80, v14
                                        ; implicit-def: $vgpr30
	s_delay_alu instid0(VALU_DEP_2) | instskip(SKIP_1) | instid1(VALU_DEP_2)
	v_cndmask_b32_e32 v14, 0x80000000, v15, vcc_lo
	v_cmp_lt_u64_e32 vcc_lo, s[12:13], v[10:11]
	v_dual_mov_b32 v15, v49 :: v_dual_cndmask_b32 v10, 0, v14
	s_delay_alu instid0(VALU_DEP_1) | instskip(NEXT) | instid1(VALU_DEP_1)
	v_mul_f32_e32 v10, v10, v48
	v_and_b32_e32 v14, 0x7f800000, v10
	v_and_b32_e32 v48, 0x7fffff, v10
	v_lshrrev_b32_e32 v11, 24, v10
	s_delay_alu instid0(VALU_DEP_3)
	v_cmpx_ne_u64_e32 0x7f800000, v[14:15]
	s_xor_b32 s26, exec_lo, s10
	s_cbranch_execz .LBB2_980
; %bb.967:                              ;   in Loop: Header=BB2_710 Depth=2
	v_and_b32_e32 v14, 0x7fffffff, v10
	v_mov_b32_e32 v15, v49
	v_and_b32_e32 v100, 0x80, v11
                                        ; implicit-def: $vgpr30
	s_mov_b32 s10, exec_lo
	s_delay_alu instid0(VALU_DEP_2)
	v_cmpx_gt_u64_e32 0x47600001, v[14:15]
	s_xor_b32 s27, exec_lo, s10
	s_cbranch_execz .LBB2_977
; %bb.968:                              ;   in Loop: Header=BB2_710 Depth=2
	v_mov_b32_e32 v30, 0
	s_mov_b32 s28, exec_lo
	v_cmpx_ne_u32_e32 0, v10
	s_cbranch_execz .LBB2_976
; %bb.969:                              ;   in Loop: Header=BB2_710 Depth=2
	v_bfe_u32 v30, v10, 23, 8
	v_or_b32_e32 v14, 0x800000, v48
	s_delay_alu instid0(VALU_DEP_2) | instskip(SKIP_1) | instid1(VALU_DEP_2)
	v_sub_nc_u32_e32 v10, 0x71, v30
	v_cmp_gt_u32_e32 vcc_lo, 0x72, v30
	v_cndmask_b32_e32 v10, 0, v10, vcc_lo
	v_cmp_eq_u32_e32 vcc_lo, 0, v30
	s_delay_alu instid0(VALU_DEP_2) | instskip(NEXT) | instid1(VALU_DEP_1)
	v_cndmask_b32_e64 v101, v10, 0x70, vcc_lo
	v_dual_cndmask_b32 v48, v14, v48, vcc_lo :: v_dual_add_nc_u32 v10, 21, v101
	v_add_nc_u32_e32 v15, 20, v101
	s_delay_alu instid0(VALU_DEP_2) | instskip(NEXT) | instid1(VALU_DEP_2)
	v_lshlrev_b64_e64 v[10:11], v10, -1
	v_lshlrev_b64_e64 v[14:15], v15, 1
	s_delay_alu instid0(VALU_DEP_2) | instskip(NEXT) | instid1(VALU_DEP_3)
	v_bfi_b32 v43, v11, 0, 0
	v_bfi_b32 v42, v10, 0, v48
	v_lshrrev_b64 v[10:11], v101, v[48:49]
	s_delay_alu instid0(VALU_DEP_2) | instskip(NEXT) | instid1(VALU_DEP_2)
	v_cmp_eq_u64_e64 s10, v[42:43], v[14:15]
	v_mov_b64_e32 v[14:15], v[10:11]
	s_and_saveexec_b32 s29, s10
; %bb.970:                              ;   in Loop: Header=BB2_710 Depth=2
	v_bfe_u32 v48, v10, 21, 1
	s_delay_alu instid0(VALU_DEP_1) | instskip(NEXT) | instid1(VALU_DEP_1)
	v_add_nc_u64_e32 v[14:15], v[10:11], v[48:49]
	v_add_nc_u64_e32 v[14:15], -1, v[14:15]
; %bb.971:                              ;   in Loop: Header=BB2_710 Depth=2
	s_or_b32 exec_lo, exec_lo, s29
	v_add_nc_u32_e32 v11, 0xffffff81, v30
	v_lshrrev_b32_e32 v15, 23, v10
	s_mov_b32 s10, exec_lo
	s_delay_alu instid0(VALU_DEP_2) | instskip(NEXT) | instid1(VALU_DEP_1)
	v_cndmask_b32_e64 v11, v11, 0xffffff82, vcc_lo
	v_add3_u32 v15, v101, v11, v15
	v_and_b32_e32 v11, 0x1fffff, v14
                                        ; implicit-def: $vgpr14
	s_delay_alu instid0(VALU_DEP_1) | instskip(NEXT) | instid1(VALU_DEP_1)
	v_dual_add_nc_u32 v30, 14, v15 :: v_dual_add_nc_u32 v48, v11, v10
                                        ; implicit-def: $vgpr10_vgpr11
	v_cmpx_ne_u32_e32 0, v30
	s_xor_b32 s10, exec_lo, s10
; %bb.972:                              ;   in Loop: Header=BB2_710 Depth=2
	s_delay_alu instid0(VALU_DEP_2) | instskip(SKIP_1) | instid1(VALU_DEP_1)
	v_cmp_lt_u64_e32 vcc_lo, 0xffffff, v[48:49]
	v_add_nc_u32_e32 v10, 15, v15
	v_cndmask_b32_e32 v14, v30, v10, vcc_lo
	v_cndmask_b32_e64 v10, 0, 1, vcc_lo
	s_delay_alu instid0(VALU_DEP_1)
	v_lshrrev_b64 v[10:11], v10, v[48:49]
; %bb.973:                              ;   in Loop: Header=BB2_710 Depth=2
	s_and_not1_saveexec_b32 s10, s10
; %bb.974:                              ;   in Loop: Header=BB2_710 Depth=2
	v_mov_b64_e32 v[10:11], v[48:49]
	v_bfe_u32 v14, v48, 23, 1
; %bb.975:                              ;   in Loop: Header=BB2_710 Depth=2
	s_or_b32 exec_lo, exec_lo, s10
	s_delay_alu instid0(VALU_DEP_2) | instskip(NEXT) | instid1(VALU_DEP_2)
	v_lshrrev_b64 v[10:11], 21, v[10:11]
	v_cmp_gt_i32_e32 vcc_lo, 32, v14
	v_min_i32_e32 v15, 31, v14
	v_cmp_eq_u32_e64 s10, 0, v14
	s_delay_alu instid0(VALU_DEP_4) | instskip(NEXT) | instid1(VALU_DEP_3)
	v_cndmask_b32_e32 v11, 0, v11, vcc_lo
	v_dual_cndmask_b32 v10, 3, v10 :: v_dual_lshlrev_b32 v15, 2, v15
	s_delay_alu instid0(VALU_DEP_1) | instskip(NEXT) | instid1(VALU_DEP_2)
	v_and_b32_e32 v15, 0xfc, v15
	v_cmp_eq_u64_e32 vcc_lo, 0, v[10:11]
	s_delay_alu instid0(VALU_DEP_2)
	v_and_or_b32 v10, v10, 3, v15
	s_and_b32 s10, s10, vcc_lo
	s_delay_alu instid0(VALU_DEP_1) | instid1(SALU_CYCLE_1)
	v_cndmask_b32_e64 v10, v10, 0, s10
	s_delay_alu instid0(VALU_DEP_1)
	v_or_b32_e32 v30, v10, v100
.LBB2_976:                              ;   in Loop: Header=BB2_710 Depth=2
	s_or_b32 exec_lo, exec_lo, s28
                                        ; implicit-def: $vgpr100
.LBB2_977:                              ;   in Loop: Header=BB2_710 Depth=2
	s_and_not1_saveexec_b32 s10, s27
; %bb.978:                              ;   in Loop: Header=BB2_710 Depth=2
	v_or_b32_e32 v30, 0x7b, v100
; %bb.979:                              ;   in Loop: Header=BB2_710 Depth=2
	s_or_b32 exec_lo, exec_lo, s10
                                        ; implicit-def: $vgpr10
                                        ; implicit-def: $vgpr11
.LBB2_980:                              ;   in Loop: Header=BB2_710 Depth=2
	s_and_not1_saveexec_b32 s10, s26
	s_cbranch_execz .LBB2_986
; %bb.981:                              ;   in Loop: Header=BB2_710 Depth=2
	s_mov_b32 s26, exec_lo
                                        ; implicit-def: $vgpr30
	v_cmpx_ne_u64_e32 0, v[48:49]
	s_xor_b32 s26, exec_lo, s26
; %bb.982:                              ;   in Loop: Header=BB2_710 Depth=2
	v_or_b32_e32 v30, 0x7f, v11
                                        ; implicit-def: $vgpr10
; %bb.983:                              ;   in Loop: Header=BB2_710 Depth=2
	s_and_not1_saveexec_b32 s26, s26
; %bb.984:                              ;   in Loop: Header=BB2_710 Depth=2
	v_cmp_lt_i32_e32 vcc_lo, -1, v10
	v_cndmask_b32_e32 v30, 0xfc, v63, vcc_lo
; %bb.985:                              ;   in Loop: Header=BB2_710 Depth=2
	s_or_b32 exec_lo, exec_lo, s26
.LBB2_986:                              ;   in Loop: Header=BB2_710 Depth=2
	s_delay_alu instid0(SALU_CYCLE_1) | instskip(SKIP_1) | instid1(VALU_DEP_1)
	s_or_b32 exec_lo, exec_lo, s10
	v_and_b32_e32 v10, 0xff, v16
	v_cmp_ne_u16_e32 vcc_lo, 0, v10
	v_mov_b32_e32 v10, 0
	s_and_saveexec_b32 s10, vcc_lo
	s_cbranch_execz .LBB2_996
; %bb.987:                              ;   in Loop: Header=BB2_710 Depth=2
	v_bfe_i32 v14, v16, 0, 8
	v_bfrev_b32_e32 v10, 1
	s_mov_b32 s26, exec_lo
	s_delay_alu instid0(VALU_DEP_2)
	v_cmpx_ne_u16_e32 0xff80, v14
	s_cbranch_execz .LBB2_995
; %bb.988:                              ;   in Loop: Header=BB2_710 Depth=2
	v_and_b32_e32 v10, 0x7c, v16
	v_and_b32_e32 v11, 3, v16
	s_delay_alu instid0(VALU_DEP_2) | instskip(SKIP_1) | instid1(SALU_CYCLE_1)
	v_cmp_ne_u32_e32 vcc_lo, 0x7c, v10
                                        ; implicit-def: $vgpr10
	s_and_saveexec_b32 s27, vcc_lo
	s_xor_b32 s27, exec_lo, s27
	s_cbranch_execz .LBB2_992
; %bb.989:                              ;   in Loop: Header=BB2_710 Depth=2
	v_bfe_u32 v10, v16, 2, 5
	s_mov_b32 s28, exec_lo
	s_delay_alu instid0(VALU_DEP_1)
	v_cmpx_eq_u32_e32 0, v10
; %bb.990:                              ;   in Loop: Header=BB2_710 Depth=2
	v_clz_i32_u32_e32 v10, v11
	s_delay_alu instid0(VALU_DEP_1) | instskip(NEXT) | instid1(VALU_DEP_1)
	v_min_u32_e32 v10, 32, v10
	v_subrev_nc_u32_e32 v11, 29, v10
	v_sub_nc_u32_e32 v10, 30, v10
	s_delay_alu instid0(VALU_DEP_2) | instskip(NEXT) | instid1(VALU_DEP_1)
	v_lshlrev_b64_e32 v[14:15], v11, v[16:17]
	v_and_b32_e32 v11, 3, v14
; %bb.991:                              ;   in Loop: Header=BB2_710 Depth=2
	s_or_b32 exec_lo, exec_lo, s28
	v_lshlrev_b32_e32 v14, 24, v16
	s_delay_alu instid0(VALU_DEP_1) | instskip(NEXT) | instid1(VALU_DEP_1)
	v_and_b32_e32 v14, 0x80000000, v14
	v_lshl_add_u32 v10, v10, 23, v14
                                        ; implicit-def: $vgpr14
	s_delay_alu instid0(VALU_DEP_1) | instskip(NEXT) | instid1(VALU_DEP_1)
	v_lshl_or_b32 v10, v11, 21, v10
                                        ; implicit-def: $vgpr11
	v_add_nc_u32_e32 v10, 0x38000000, v10
.LBB2_992:                              ;   in Loop: Header=BB2_710 Depth=2
	s_and_not1_saveexec_b32 s27, s27
; %bb.993:                              ;   in Loop: Header=BB2_710 Depth=2
	v_cmp_lt_i16_e32 vcc_lo, -1, v14
	v_cndmask_b32_e32 v10, 0xff800000, v62, vcc_lo
	v_cmp_eq_u32_e32 vcc_lo, 0, v11
	s_delay_alu instid0(VALU_DEP_2)
	v_cndmask_b32_e32 v10, 0x7f800001, v10, vcc_lo
; %bb.994:                              ;   in Loop: Header=BB2_710 Depth=2
	s_or_b32 exec_lo, exec_lo, s27
.LBB2_995:                              ;   in Loop: Header=BB2_710 Depth=2
	s_delay_alu instid0(SALU_CYCLE_1)
	s_or_b32 exec_lo, exec_lo, s26
.LBB2_996:                              ;   in Loop: Header=BB2_710 Depth=2
	s_delay_alu instid0(SALU_CYCLE_1) | instskip(SKIP_3) | instid1(VALU_DEP_1)
	s_or_b32 exec_lo, exec_lo, s10
	v_and_b32_e32 v14, 0xff, v12
	s_mov_b32 s26, 0
	s_mov_b32 s10, exec_lo
	v_cmpx_lt_i16_e32 0x7f, v14
	s_xor_b32 s10, exec_lo, s10
	s_cbranch_execz .LBB2_1273
; %bb.997:                              ;   in Loop: Header=BB2_710 Depth=2
	s_mov_b32 s26, -1
	s_mov_b32 s27, exec_lo
	v_cmpx_eq_u16_e32 0x80, v14
; %bb.998:                              ;   in Loop: Header=BB2_710 Depth=2
	s_xor_b32 s26, exec_lo, -1
; %bb.999:                              ;   in Loop: Header=BB2_710 Depth=2
	s_or_b32 exec_lo, exec_lo, s27
	s_delay_alu instid0(SALU_CYCLE_1)
	s_and_b32 s26, s26, exec_lo
                                        ; implicit-def: $vgpr14
	s_or_saveexec_b32 s10, s10
	v_bfrev_b32_e32 v11, 1
	s_xor_b32 exec_lo, exec_lo, s10
	s_cbranch_execnz .LBB2_1274
.LBB2_1000:                             ;   in Loop: Header=BB2_710 Depth=2
	s_or_b32 exec_lo, exec_lo, s10
	s_and_saveexec_b32 s10, s26
	s_cbranch_execz .LBB2_1002
.LBB2_1001:                             ;   in Loop: Header=BB2_710 Depth=2
	v_and_b32_e32 v11, 3, v12
	v_bfe_u32 v100, v12, 2, 5
	s_delay_alu instid0(VALU_DEP_2) | instskip(NEXT) | instid1(VALU_DEP_2)
	v_clz_i32_u32_e32 v14, v11
	v_cmp_eq_u32_e32 vcc_lo, 0, v100
	s_delay_alu instid0(VALU_DEP_2) | instskip(NEXT) | instid1(VALU_DEP_1)
	v_min_u32_e32 v48, 32, v14
	v_subrev_nc_u32_e32 v14, 29, v48
	s_delay_alu instid0(VALU_DEP_1) | instskip(SKIP_2) | instid1(VALU_DEP_2)
	v_lshlrev_b64_e32 v[14:15], v14, v[12:13]
	v_lshlrev_b32_e32 v15, 24, v12
	v_sub_nc_u32_e32 v48, 30, v48
	v_and_b32_e32 v15, 0x80000000, v15
	s_delay_alu instid0(VALU_DEP_2) | instskip(SKIP_1) | instid1(VALU_DEP_2)
	v_dual_cndmask_b32 v48, v100, v48, vcc_lo :: v_dual_bitop2_b32 v14, 3, v14 bitop3:0x40
	v_bfe_i32 v100, v12, 0, 8
	v_cndmask_b32_e32 v14, v11, v14, vcc_lo
	s_delay_alu instid0(VALU_DEP_3) | instskip(NEXT) | instid1(VALU_DEP_3)
	v_lshl_add_u32 v15, v48, 23, v15
	v_cmp_lt_i16_e32 vcc_lo, -1, v100
	s_delay_alu instid0(VALU_DEP_2) | instskip(SKIP_3) | instid1(VALU_DEP_4)
	v_lshl_or_b32 v14, v14, 21, v15
	v_cndmask_b32_e32 v48, 0xff800000, v62, vcc_lo
	v_and_b32_e32 v15, 0x7c, v12
	v_cmp_eq_u32_e32 vcc_lo, 0, v11
	v_add_nc_u32_e32 v14, 0x38000000, v14
	s_delay_alu instid0(VALU_DEP_4) | instskip(NEXT) | instid1(VALU_DEP_4)
	v_cndmask_b32_e32 v11, 0x7f800001, v48, vcc_lo
	v_cmp_eq_u32_e32 vcc_lo, 0x7c, v15
	s_delay_alu instid0(VALU_DEP_2)
	v_cndmask_b32_e32 v11, v14, v11, vcc_lo
.LBB2_1002:                             ;   in Loop: Header=BB2_710 Depth=2
	s_or_b32 exec_lo, exec_lo, s10
	s_delay_alu instid0(VALU_DEP_1) | instskip(SKIP_1) | instid1(VALU_DEP_1)
	v_dual_mul_f32 v10, v10, v11 :: v_dual_mov_b32 v15, v49
                                        ; implicit-def: $vgpr103
	s_mov_b32 s10, exec_lo
	v_and_b32_e32 v14, 0x7f800000, v10
	v_and_b32_e32 v48, 0x7fffff, v10
	v_lshrrev_b32_e32 v11, 24, v10
	s_delay_alu instid0(VALU_DEP_3)
	v_cmpx_ne_u64_e32 0x7f800000, v[14:15]
	s_xor_b32 s26, exec_lo, s10
	s_cbranch_execz .LBB2_1016
; %bb.1003:                             ;   in Loop: Header=BB2_710 Depth=2
	v_and_b32_e32 v14, 0x7fffffff, v10
	v_mov_b32_e32 v15, v49
	v_and_b32_e32 v100, 0x80, v11
                                        ; implicit-def: $vgpr103
	s_mov_b32 s10, exec_lo
	s_delay_alu instid0(VALU_DEP_2)
	v_cmpx_gt_u64_e32 0x47600001, v[14:15]
	s_xor_b32 s27, exec_lo, s10
	s_cbranch_execz .LBB2_1013
; %bb.1004:                             ;   in Loop: Header=BB2_710 Depth=2
	v_mov_b32_e32 v103, 0
	s_mov_b32 s28, exec_lo
	v_cmpx_ne_u32_e32 0, v10
	s_cbranch_execz .LBB2_1012
; %bb.1005:                             ;   in Loop: Header=BB2_710 Depth=2
	v_bfe_u32 v101, v10, 23, 8
	v_or_b32_e32 v14, 0x800000, v48
	s_delay_alu instid0(VALU_DEP_2) | instskip(SKIP_1) | instid1(VALU_DEP_2)
	v_sub_nc_u32_e32 v10, 0x71, v101
	v_cmp_gt_u32_e32 vcc_lo, 0x72, v101
	v_cndmask_b32_e32 v10, 0, v10, vcc_lo
	v_cmp_eq_u32_e32 vcc_lo, 0, v101
	s_delay_alu instid0(VALU_DEP_2) | instskip(NEXT) | instid1(VALU_DEP_1)
	v_cndmask_b32_e64 v103, v10, 0x70, vcc_lo
	v_dual_cndmask_b32 v48, v14, v48, vcc_lo :: v_dual_add_nc_u32 v10, 21, v103
	v_add_nc_u32_e32 v15, 20, v103
	s_delay_alu instid0(VALU_DEP_2) | instskip(NEXT) | instid1(VALU_DEP_2)
	v_lshlrev_b64_e64 v[10:11], v10, -1
	v_lshlrev_b64_e64 v[14:15], v15, 1
	s_delay_alu instid0(VALU_DEP_2) | instskip(NEXT) | instid1(VALU_DEP_3)
	v_bfi_b32 v43, v11, 0, 0
	v_bfi_b32 v42, v10, 0, v48
	v_lshrrev_b64 v[10:11], v103, v[48:49]
	s_delay_alu instid0(VALU_DEP_2) | instskip(NEXT) | instid1(VALU_DEP_2)
	v_cmp_eq_u64_e64 s10, v[42:43], v[14:15]
	v_mov_b64_e32 v[14:15], v[10:11]
	s_and_saveexec_b32 s29, s10
; %bb.1006:                             ;   in Loop: Header=BB2_710 Depth=2
	v_bfe_u32 v48, v10, 21, 1
	s_delay_alu instid0(VALU_DEP_1) | instskip(NEXT) | instid1(VALU_DEP_1)
	v_add_nc_u64_e32 v[14:15], v[10:11], v[48:49]
	v_add_nc_u64_e32 v[14:15], -1, v[14:15]
; %bb.1007:                             ;   in Loop: Header=BB2_710 Depth=2
	s_or_b32 exec_lo, exec_lo, s29
	v_add_nc_u32_e32 v11, 0xffffff81, v101
	v_lshrrev_b32_e32 v15, 23, v10
	s_mov_b32 s10, exec_lo
	s_delay_alu instid0(VALU_DEP_2) | instskip(NEXT) | instid1(VALU_DEP_1)
	v_cndmask_b32_e64 v11, v11, 0xffffff82, vcc_lo
	v_add3_u32 v15, v103, v11, v15
	v_and_b32_e32 v11, 0x1fffff, v14
                                        ; implicit-def: $vgpr14
	s_delay_alu instid0(VALU_DEP_1) | instskip(NEXT) | instid1(VALU_DEP_1)
	v_dual_add_nc_u32 v101, 14, v15 :: v_dual_add_nc_u32 v48, v11, v10
                                        ; implicit-def: $vgpr10_vgpr11
	v_cmpx_ne_u32_e32 0, v101
	s_xor_b32 s10, exec_lo, s10
; %bb.1008:                             ;   in Loop: Header=BB2_710 Depth=2
	s_delay_alu instid0(VALU_DEP_2) | instskip(SKIP_1) | instid1(VALU_DEP_1)
	v_cmp_lt_u64_e32 vcc_lo, 0xffffff, v[48:49]
	v_add_nc_u32_e32 v10, 15, v15
	v_cndmask_b32_e32 v14, v101, v10, vcc_lo
	v_cndmask_b32_e64 v10, 0, 1, vcc_lo
	s_delay_alu instid0(VALU_DEP_1)
	v_lshrrev_b64 v[10:11], v10, v[48:49]
; %bb.1009:                             ;   in Loop: Header=BB2_710 Depth=2
	s_and_not1_saveexec_b32 s10, s10
; %bb.1010:                             ;   in Loop: Header=BB2_710 Depth=2
	v_mov_b64_e32 v[10:11], v[48:49]
	v_bfe_u32 v14, v48, 23, 1
; %bb.1011:                             ;   in Loop: Header=BB2_710 Depth=2
	s_or_b32 exec_lo, exec_lo, s10
	s_delay_alu instid0(VALU_DEP_2) | instskip(NEXT) | instid1(VALU_DEP_2)
	v_lshrrev_b64 v[10:11], 21, v[10:11]
	v_cmp_gt_i32_e32 vcc_lo, 32, v14
	v_min_i32_e32 v15, 31, v14
	v_cmp_eq_u32_e64 s10, 0, v14
	s_delay_alu instid0(VALU_DEP_4) | instskip(NEXT) | instid1(VALU_DEP_3)
	v_cndmask_b32_e32 v11, 0, v11, vcc_lo
	v_dual_cndmask_b32 v10, 3, v10 :: v_dual_lshlrev_b32 v15, 2, v15
	s_delay_alu instid0(VALU_DEP_1) | instskip(NEXT) | instid1(VALU_DEP_2)
	v_and_b32_e32 v15, 0xfc, v15
	v_cmp_eq_u64_e32 vcc_lo, 0, v[10:11]
	s_delay_alu instid0(VALU_DEP_2)
	v_and_or_b32 v10, v10, 3, v15
	s_and_b32 s10, s10, vcc_lo
	s_delay_alu instid0(VALU_DEP_1) | instid1(SALU_CYCLE_1)
	v_cndmask_b32_e64 v10, v10, 0, s10
	s_delay_alu instid0(VALU_DEP_1)
	v_or_b32_e32 v103, v10, v100
.LBB2_1012:                             ;   in Loop: Header=BB2_710 Depth=2
	s_or_b32 exec_lo, exec_lo, s28
                                        ; implicit-def: $vgpr100
.LBB2_1013:                             ;   in Loop: Header=BB2_710 Depth=2
	s_and_not1_saveexec_b32 s10, s27
; %bb.1014:                             ;   in Loop: Header=BB2_710 Depth=2
	v_or_b32_e32 v103, 0x7b, v100
; %bb.1015:                             ;   in Loop: Header=BB2_710 Depth=2
	s_or_b32 exec_lo, exec_lo, s10
                                        ; implicit-def: $vgpr10
                                        ; implicit-def: $vgpr11
.LBB2_1016:                             ;   in Loop: Header=BB2_710 Depth=2
	s_and_not1_saveexec_b32 s10, s26
	s_cbranch_execz .LBB2_1022
; %bb.1017:                             ;   in Loop: Header=BB2_710 Depth=2
	s_mov_b32 s26, exec_lo
                                        ; implicit-def: $vgpr103
	v_cmpx_ne_u64_e32 0, v[48:49]
	s_xor_b32 s26, exec_lo, s26
; %bb.1018:                             ;   in Loop: Header=BB2_710 Depth=2
	v_or_b32_e32 v103, 0x7f, v11
                                        ; implicit-def: $vgpr10
; %bb.1019:                             ;   in Loop: Header=BB2_710 Depth=2
	s_and_not1_saveexec_b32 s26, s26
; %bb.1020:                             ;   in Loop: Header=BB2_710 Depth=2
	v_cmp_lt_i32_e32 vcc_lo, -1, v10
	v_cndmask_b32_e32 v103, 0xfc, v63, vcc_lo
; %bb.1021:                             ;   in Loop: Header=BB2_710 Depth=2
	s_or_b32 exec_lo, exec_lo, s26
.LBB2_1022:                             ;   in Loop: Header=BB2_710 Depth=2
	s_delay_alu instid0(SALU_CYCLE_1) | instskip(SKIP_3) | instid1(VALU_DEP_2)
	s_or_b32 exec_lo, exec_lo, s10
	v_lshrrev_b16 v48, 8, v16
	v_mov_b32_e32 v10, 0
	s_mov_b32 s10, exec_lo
	v_cmpx_ne_u16_e32 0, v48
	s_cbranch_execz .LBB2_1032
; %bb.1023:                             ;   in Loop: Header=BB2_710 Depth=2
	v_bfrev_b32_e32 v10, 1
	s_mov_b32 s26, exec_lo
	v_cmpx_ne_u16_e32 0x80, v48
	s_cbranch_execz .LBB2_1031
; %bb.1024:                             ;   in Loop: Header=BB2_710 Depth=2
	v_and_b32_e32 v14, 0xffff, v48
	s_delay_alu instid0(VALU_DEP_1) | instskip(SKIP_1) | instid1(VALU_DEP_2)
	v_and_b32_e32 v10, 0x7c, v14
	v_and_b32_e32 v11, 3, v14
	v_cmp_ne_u32_e32 vcc_lo, 0x7c, v10
                                        ; implicit-def: $vgpr10
	s_and_saveexec_b32 s27, vcc_lo
	s_delay_alu instid0(SALU_CYCLE_1)
	s_xor_b32 s27, exec_lo, s27
	s_cbranch_execz .LBB2_1028
; %bb.1025:                             ;   in Loop: Header=BB2_710 Depth=2
	v_bfe_u32 v10, v14, 2, 5
	s_mov_b32 s28, exec_lo
	s_delay_alu instid0(VALU_DEP_1)
	v_cmpx_eq_u32_e32 0, v10
; %bb.1026:                             ;   in Loop: Header=BB2_710 Depth=2
	v_clz_i32_u32_e32 v10, v11
	s_delay_alu instid0(VALU_DEP_1) | instskip(NEXT) | instid1(VALU_DEP_1)
	v_min_u32_e32 v10, 32, v10
	v_subrev_nc_u32_e32 v11, 29, v10
	v_sub_nc_u32_e32 v10, 30, v10
	s_delay_alu instid0(VALU_DEP_2) | instskip(NEXT) | instid1(VALU_DEP_1)
	v_lshlrev_b64_e32 v[14:15], v11, v[48:49]
	v_and_b32_e32 v11, 3, v14
; %bb.1027:                             ;   in Loop: Header=BB2_710 Depth=2
	s_or_b32 exec_lo, exec_lo, s28
	v_lshlrev_b32_e32 v14, 16, v16
	s_delay_alu instid0(VALU_DEP_1) | instskip(NEXT) | instid1(VALU_DEP_1)
	v_and_b32_e32 v14, 0x80000000, v14
	v_lshl_add_u32 v10, v10, 23, v14
	s_delay_alu instid0(VALU_DEP_1) | instskip(NEXT) | instid1(VALU_DEP_1)
	v_lshl_or_b32 v10, v11, 21, v10
                                        ; implicit-def: $vgpr11
	v_add_nc_u32_e32 v10, 0x38000000, v10
.LBB2_1028:                             ;   in Loop: Header=BB2_710 Depth=2
	s_and_not1_saveexec_b32 s27, s27
; %bb.1029:                             ;   in Loop: Header=BB2_710 Depth=2
	v_cmp_lt_i16_e32 vcc_lo, -1, v16
	v_cndmask_b32_e32 v10, 0xff800000, v62, vcc_lo
	v_cmp_eq_u32_e32 vcc_lo, 0, v11
	s_delay_alu instid0(VALU_DEP_2)
	v_cndmask_b32_e32 v10, 0x7f800001, v10, vcc_lo
; %bb.1030:                             ;   in Loop: Header=BB2_710 Depth=2
	s_or_b32 exec_lo, exec_lo, s27
.LBB2_1031:                             ;   in Loop: Header=BB2_710 Depth=2
	s_delay_alu instid0(SALU_CYCLE_1)
	s_or_b32 exec_lo, exec_lo, s26
.LBB2_1032:                             ;   in Loop: Header=BB2_710 Depth=2
	s_delay_alu instid0(SALU_CYCLE_1) | instskip(SKIP_3) | instid1(VALU_DEP_1)
	s_or_b32 exec_lo, exec_lo, s10
	v_lshrrev_b16 v48, 8, v12
	s_mov_b32 s26, 0
	s_mov_b32 s10, exec_lo
	v_cmpx_lt_i16_e32 0x7f, v48
	s_xor_b32 s10, exec_lo, s10
	s_cbranch_execz .LBB2_1275
; %bb.1033:                             ;   in Loop: Header=BB2_710 Depth=2
	s_mov_b32 s26, -1
	s_mov_b32 s27, exec_lo
	v_cmpx_eq_u16_e32 0x80, v48
; %bb.1034:                             ;   in Loop: Header=BB2_710 Depth=2
	s_xor_b32 s26, exec_lo, -1
; %bb.1035:                             ;   in Loop: Header=BB2_710 Depth=2
	s_or_b32 exec_lo, exec_lo, s27
	s_delay_alu instid0(SALU_CYCLE_1)
	s_and_b32 s26, s26, exec_lo
	s_or_saveexec_b32 s10, s10
	v_bfrev_b32_e32 v11, 1
	s_xor_b32 exec_lo, exec_lo, s10
	s_cbranch_execnz .LBB2_1276
.LBB2_1036:                             ;   in Loop: Header=BB2_710 Depth=2
	s_or_b32 exec_lo, exec_lo, s10
	s_and_saveexec_b32 s10, s26
	s_cbranch_execz .LBB2_1038
.LBB2_1037:                             ;   in Loop: Header=BB2_710 Depth=2
	v_and_b32_e32 v11, 0xffff, v48
	s_delay_alu instid0(VALU_DEP_1) | instskip(NEXT) | instid1(VALU_DEP_1)
	v_and_b32_e32 v100, 3, v11
	v_clz_i32_u32_e32 v14, v100
	s_delay_alu instid0(VALU_DEP_1) | instskip(NEXT) | instid1(VALU_DEP_1)
	v_min_u32_e32 v101, 32, v14
	v_subrev_nc_u32_e32 v14, 29, v101
	s_delay_alu instid0(VALU_DEP_1) | instskip(SKIP_4) | instid1(VALU_DEP_4)
	v_lshlrev_b64_e32 v[14:15], v14, v[48:49]
	v_lshlrev_b32_e32 v15, 24, v48
	v_bfe_u32 v48, v11, 2, 5
	v_sub_nc_u32_e32 v101, 30, v101
	v_and_b32_e32 v11, 0x7c, v11
	v_and_b32_e32 v15, 0x80000000, v15
	s_delay_alu instid0(VALU_DEP_4) | instskip(NEXT) | instid1(VALU_DEP_4)
	v_cmp_eq_u32_e32 vcc_lo, 0, v48
	v_dual_cndmask_b32 v48, v48, v101, vcc_lo :: v_dual_bitop2_b32 v14, 3, v14 bitop3:0x40
	s_delay_alu instid0(VALU_DEP_1) | instskip(SKIP_1) | instid1(VALU_DEP_3)
	v_cndmask_b32_e32 v14, v100, v14, vcc_lo
	v_cmp_lt_i16_e32 vcc_lo, -1, v12
	v_lshl_add_u32 v15, v48, 23, v15
	v_cndmask_b32_e32 v48, 0xff800000, v62, vcc_lo
	v_cmp_eq_u32_e32 vcc_lo, 0, v100
	s_delay_alu instid0(VALU_DEP_3) | instskip(NEXT) | instid1(VALU_DEP_3)
	v_lshl_or_b32 v14, v14, 21, v15
	v_cndmask_b32_e32 v15, 0x7f800001, v48, vcc_lo
	v_cmp_eq_u32_e32 vcc_lo, 0x7c, v11
	s_delay_alu instid0(VALU_DEP_3) | instskip(NEXT) | instid1(VALU_DEP_1)
	v_add_nc_u32_e32 v14, 0x38000000, v14
	v_cndmask_b32_e32 v11, v14, v15, vcc_lo
.LBB2_1038:                             ;   in Loop: Header=BB2_710 Depth=2
	s_or_b32 exec_lo, exec_lo, s10
	s_delay_alu instid0(VALU_DEP_1) | instskip(SKIP_1) | instid1(VALU_DEP_1)
	v_dual_mul_f32 v10, v10, v11 :: v_dual_mov_b32 v15, v49
                                        ; implicit-def: $vgpr41
	s_mov_b32 s10, exec_lo
	v_and_b32_e32 v14, 0x7f800000, v10
	v_and_b32_e32 v48, 0x7fffff, v10
	v_lshrrev_b32_e32 v11, 24, v10
	s_delay_alu instid0(VALU_DEP_3)
	v_cmpx_ne_u64_e32 0x7f800000, v[14:15]
	s_xor_b32 s26, exec_lo, s10
	s_cbranch_execz .LBB2_1052
; %bb.1039:                             ;   in Loop: Header=BB2_710 Depth=2
	v_and_b32_e32 v14, 0x7fffffff, v10
	v_mov_b32_e32 v15, v49
	v_and_b32_e32 v100, 0x80, v11
                                        ; implicit-def: $vgpr41
	s_mov_b32 s10, exec_lo
	s_delay_alu instid0(VALU_DEP_2)
	v_cmpx_gt_u64_e32 0x47600001, v[14:15]
	s_xor_b32 s27, exec_lo, s10
	s_cbranch_execz .LBB2_1049
; %bb.1040:                             ;   in Loop: Header=BB2_710 Depth=2
	v_mov_b32_e32 v41, 0
	s_mov_b32 s28, exec_lo
	v_cmpx_ne_u32_e32 0, v10
	s_cbranch_execz .LBB2_1048
; %bb.1041:                             ;   in Loop: Header=BB2_710 Depth=2
	v_bfe_u32 v101, v10, 23, 8
	v_or_b32_e32 v14, 0x800000, v48
	s_delay_alu instid0(VALU_DEP_2) | instskip(SKIP_1) | instid1(VALU_DEP_2)
	v_sub_nc_u32_e32 v10, 0x71, v101
	v_cmp_gt_u32_e32 vcc_lo, 0x72, v101
	v_cndmask_b32_e32 v10, 0, v10, vcc_lo
	v_cmp_eq_u32_e32 vcc_lo, 0, v101
	s_delay_alu instid0(VALU_DEP_2) | instskip(NEXT) | instid1(VALU_DEP_1)
	v_cndmask_b32_e64 v41, v10, 0x70, vcc_lo
	v_dual_cndmask_b32 v48, v14, v48, vcc_lo :: v_dual_add_nc_u32 v10, 21, v41
	v_add_nc_u32_e32 v15, 20, v41
	s_delay_alu instid0(VALU_DEP_2) | instskip(NEXT) | instid1(VALU_DEP_2)
	v_lshlrev_b64_e64 v[10:11], v10, -1
	v_lshlrev_b64_e64 v[14:15], v15, 1
	s_delay_alu instid0(VALU_DEP_2) | instskip(NEXT) | instid1(VALU_DEP_3)
	v_bfi_b32 v43, v11, 0, 0
	v_bfi_b32 v42, v10, 0, v48
	v_lshrrev_b64 v[10:11], v41, v[48:49]
	s_delay_alu instid0(VALU_DEP_2) | instskip(NEXT) | instid1(VALU_DEP_2)
	v_cmp_eq_u64_e64 s10, v[42:43], v[14:15]
	v_mov_b64_e32 v[14:15], v[10:11]
	s_and_saveexec_b32 s29, s10
; %bb.1042:                             ;   in Loop: Header=BB2_710 Depth=2
	v_bfe_u32 v48, v10, 21, 1
	s_delay_alu instid0(VALU_DEP_1) | instskip(NEXT) | instid1(VALU_DEP_1)
	v_add_nc_u64_e32 v[14:15], v[10:11], v[48:49]
	v_add_nc_u64_e32 v[14:15], -1, v[14:15]
; %bb.1043:                             ;   in Loop: Header=BB2_710 Depth=2
	s_or_b32 exec_lo, exec_lo, s29
	v_add_nc_u32_e32 v11, 0xffffff81, v101
	v_lshrrev_b32_e32 v15, 23, v10
	s_mov_b32 s10, exec_lo
	s_delay_alu instid0(VALU_DEP_2) | instskip(NEXT) | instid1(VALU_DEP_1)
	v_cndmask_b32_e64 v11, v11, 0xffffff82, vcc_lo
	v_add3_u32 v15, v41, v11, v15
	v_and_b32_e32 v11, 0x1fffff, v14
                                        ; implicit-def: $vgpr14
	s_delay_alu instid0(VALU_DEP_1) | instskip(NEXT) | instid1(VALU_DEP_1)
	v_dual_add_nc_u32 v101, 14, v15 :: v_dual_add_nc_u32 v48, v11, v10
                                        ; implicit-def: $vgpr10_vgpr11
	v_cmpx_ne_u32_e32 0, v101
	s_xor_b32 s10, exec_lo, s10
; %bb.1044:                             ;   in Loop: Header=BB2_710 Depth=2
	s_delay_alu instid0(VALU_DEP_2) | instskip(SKIP_1) | instid1(VALU_DEP_1)
	v_cmp_lt_u64_e32 vcc_lo, 0xffffff, v[48:49]
	v_add_nc_u32_e32 v10, 15, v15
	v_cndmask_b32_e32 v14, v101, v10, vcc_lo
	v_cndmask_b32_e64 v10, 0, 1, vcc_lo
	s_delay_alu instid0(VALU_DEP_1)
	v_lshrrev_b64 v[10:11], v10, v[48:49]
; %bb.1045:                             ;   in Loop: Header=BB2_710 Depth=2
	s_and_not1_saveexec_b32 s10, s10
; %bb.1046:                             ;   in Loop: Header=BB2_710 Depth=2
	v_mov_b64_e32 v[10:11], v[48:49]
	v_bfe_u32 v14, v48, 23, 1
; %bb.1047:                             ;   in Loop: Header=BB2_710 Depth=2
	s_or_b32 exec_lo, exec_lo, s10
	s_delay_alu instid0(VALU_DEP_2) | instskip(NEXT) | instid1(VALU_DEP_2)
	v_lshrrev_b64 v[10:11], 21, v[10:11]
	v_cmp_gt_i32_e32 vcc_lo, 32, v14
	v_min_i32_e32 v15, 31, v14
	v_cmp_eq_u32_e64 s10, 0, v14
	s_delay_alu instid0(VALU_DEP_4) | instskip(NEXT) | instid1(VALU_DEP_3)
	v_cndmask_b32_e32 v11, 0, v11, vcc_lo
	v_dual_cndmask_b32 v10, 3, v10 :: v_dual_lshlrev_b32 v15, 2, v15
	s_delay_alu instid0(VALU_DEP_1) | instskip(NEXT) | instid1(VALU_DEP_2)
	v_and_b32_e32 v15, 0xfc, v15
	v_cmp_eq_u64_e32 vcc_lo, 0, v[10:11]
	s_delay_alu instid0(VALU_DEP_2)
	v_and_or_b32 v10, v10, 3, v15
	s_and_b32 s10, s10, vcc_lo
	s_delay_alu instid0(VALU_DEP_1) | instid1(SALU_CYCLE_1)
	v_cndmask_b32_e64 v10, v10, 0, s10
	s_delay_alu instid0(VALU_DEP_1)
	v_or_b32_e32 v41, v10, v100
.LBB2_1048:                             ;   in Loop: Header=BB2_710 Depth=2
	s_or_b32 exec_lo, exec_lo, s28
                                        ; implicit-def: $vgpr100
.LBB2_1049:                             ;   in Loop: Header=BB2_710 Depth=2
	s_and_not1_saveexec_b32 s10, s27
; %bb.1050:                             ;   in Loop: Header=BB2_710 Depth=2
	v_or_b32_e32 v41, 0x7b, v100
; %bb.1051:                             ;   in Loop: Header=BB2_710 Depth=2
	s_or_b32 exec_lo, exec_lo, s10
                                        ; implicit-def: $vgpr10
                                        ; implicit-def: $vgpr11
.LBB2_1052:                             ;   in Loop: Header=BB2_710 Depth=2
	s_and_not1_saveexec_b32 s10, s26
	s_cbranch_execz .LBB2_1058
; %bb.1053:                             ;   in Loop: Header=BB2_710 Depth=2
	s_mov_b32 s26, exec_lo
                                        ; implicit-def: $vgpr41
	v_cmpx_ne_u64_e32 0, v[48:49]
	s_xor_b32 s26, exec_lo, s26
; %bb.1054:                             ;   in Loop: Header=BB2_710 Depth=2
	v_or_b32_e32 v41, 0x7f, v11
                                        ; implicit-def: $vgpr10
; %bb.1055:                             ;   in Loop: Header=BB2_710 Depth=2
	s_and_not1_saveexec_b32 s26, s26
; %bb.1056:                             ;   in Loop: Header=BB2_710 Depth=2
	v_cmp_lt_i32_e32 vcc_lo, -1, v10
	v_cndmask_b32_e32 v41, 0xfc, v63, vcc_lo
; %bb.1057:                             ;   in Loop: Header=BB2_710 Depth=2
	s_or_b32 exec_lo, exec_lo, s26
.LBB2_1058:                             ;   in Loop: Header=BB2_710 Depth=2
	s_delay_alu instid0(SALU_CYCLE_1) | instskip(SKIP_2) | instid1(VALU_DEP_1)
	s_or_b32 exec_lo, exec_lo, s10
	v_dual_mov_b32 v11, 0 :: v_dual_lshrrev_b32 v10, 16, v16
	s_mov_b32 s10, exec_lo
	v_and_b32_e32 v14, 0xff, v10
	s_delay_alu instid0(VALU_DEP_1)
	v_cmpx_ne_u16_e32 0, v14
	s_cbranch_execz .LBB2_1068
; %bb.1059:                             ;   in Loop: Header=BB2_710 Depth=2
	v_bfrev_b32_e32 v11, 1
	s_mov_b32 s26, exec_lo
	v_cmpx_ne_u16_e32 0x80, v14
	s_cbranch_execz .LBB2_1067
; %bb.1060:                             ;   in Loop: Header=BB2_710 Depth=2
	v_and_b32_e32 v11, 0x7c0000, v16
	v_bfe_u32 v14, v16, 16, 2
	s_delay_alu instid0(VALU_DEP_2) | instskip(SKIP_1) | instid1(SALU_CYCLE_1)
	v_cmp_ne_u32_e32 vcc_lo, 0x7c0000, v11
                                        ; implicit-def: $vgpr11
	s_and_saveexec_b32 s27, vcc_lo
	s_xor_b32 s27, exec_lo, s27
	s_cbranch_execz .LBB2_1064
; %bb.1061:                             ;   in Loop: Header=BB2_710 Depth=2
	v_bfe_u32 v11, v16, 18, 5
	s_mov_b32 s28, exec_lo
	s_delay_alu instid0(VALU_DEP_1)
	v_cmpx_eq_u32_e32 0, v11
; %bb.1062:                             ;   in Loop: Header=BB2_710 Depth=2
	v_clz_i32_u32_e32 v11, v14
	s_delay_alu instid0(VALU_DEP_1) | instskip(NEXT) | instid1(VALU_DEP_1)
	v_min_u32_e32 v11, 32, v11
	v_subrev_nc_u32_e32 v14, 29, v11
	s_delay_alu instid0(VALU_DEP_1) | instskip(NEXT) | instid1(VALU_DEP_1)
	v_lshlrev_b64_e32 v[14:15], v14, v[10:11]
	v_dual_sub_nc_u32 v11, 30, v11 :: v_dual_bitop2_b32 v14, 3, v14 bitop3:0x40
; %bb.1063:                             ;   in Loop: Header=BB2_710 Depth=2
	s_or_b32 exec_lo, exec_lo, s28
	v_lshlrev_b32_e32 v10, 24, v10
	s_delay_alu instid0(VALU_DEP_1) | instskip(NEXT) | instid1(VALU_DEP_1)
	v_and_b32_e32 v10, 0x80000000, v10
	v_lshl_add_u32 v10, v11, 23, v10
	s_delay_alu instid0(VALU_DEP_1) | instskip(NEXT) | instid1(VALU_DEP_1)
	v_lshl_or_b32 v10, v14, 21, v10
                                        ; implicit-def: $vgpr14
	v_add_nc_u32_e32 v11, 0x38000000, v10
                                        ; implicit-def: $vgpr10
.LBB2_1064:                             ;   in Loop: Header=BB2_710 Depth=2
	s_and_not1_saveexec_b32 s27, s27
; %bb.1065:                             ;   in Loop: Header=BB2_710 Depth=2
	v_bfe_i32 v10, v10, 0, 8
	s_delay_alu instid0(VALU_DEP_1) | instskip(SKIP_2) | instid1(VALU_DEP_2)
	v_cmp_lt_i16_e32 vcc_lo, -1, v10
	v_cndmask_b32_e32 v10, 0xff800000, v62, vcc_lo
	v_cmp_eq_u32_e32 vcc_lo, 0, v14
	v_cndmask_b32_e32 v11, 0x7f800001, v10, vcc_lo
; %bb.1066:                             ;   in Loop: Header=BB2_710 Depth=2
	s_or_b32 exec_lo, exec_lo, s27
.LBB2_1067:                             ;   in Loop: Header=BB2_710 Depth=2
	s_delay_alu instid0(SALU_CYCLE_1)
	s_or_b32 exec_lo, exec_lo, s26
.LBB2_1068:                             ;   in Loop: Header=BB2_710 Depth=2
	s_delay_alu instid0(SALU_CYCLE_1) | instskip(SKIP_3) | instid1(VALU_DEP_1)
	s_or_b32 exec_lo, exec_lo, s10
	v_lshrrev_b32_e32 v10, 16, v12
	s_mov_b32 s26, 0
	s_mov_b32 s10, exec_lo
	v_and_b32_e32 v15, 0xff, v10
	s_delay_alu instid0(VALU_DEP_1)
	v_cmpx_lt_i16_e32 0x7f, v15
	s_xor_b32 s10, exec_lo, s10
	s_cbranch_execz .LBB2_1277
; %bb.1069:                             ;   in Loop: Header=BB2_710 Depth=2
	s_mov_b32 s26, -1
	s_mov_b32 s27, exec_lo
	v_cmpx_eq_u16_e32 0x80, v15
; %bb.1070:                             ;   in Loop: Header=BB2_710 Depth=2
	s_xor_b32 s26, exec_lo, -1
; %bb.1071:                             ;   in Loop: Header=BB2_710 Depth=2
	s_or_b32 exec_lo, exec_lo, s27
	s_delay_alu instid0(SALU_CYCLE_1)
	s_and_b32 s26, s26, exec_lo
                                        ; implicit-def: $vgpr15
	s_or_saveexec_b32 s10, s10
	v_bfrev_b32_e32 v14, 1
	s_xor_b32 exec_lo, exec_lo, s10
	s_cbranch_execnz .LBB2_1278
.LBB2_1072:                             ;   in Loop: Header=BB2_710 Depth=2
	s_or_b32 exec_lo, exec_lo, s10
	s_and_saveexec_b32 s10, s26
	s_cbranch_execz .LBB2_1074
.LBB2_1073:                             ;   in Loop: Header=BB2_710 Depth=2
	v_and_b32_e32 v48, 3, v10
	v_bfe_u32 v101, v12, 18, 5
	s_delay_alu instid0(VALU_DEP_2) | instskip(NEXT) | instid1(VALU_DEP_2)
	v_clz_i32_u32_e32 v14, v48
	v_cmp_eq_u32_e32 vcc_lo, 0, v101
	s_delay_alu instid0(VALU_DEP_2) | instskip(NEXT) | instid1(VALU_DEP_1)
	v_min_u32_e32 v100, 32, v14
	v_subrev_nc_u32_e32 v14, 29, v100
	s_delay_alu instid0(VALU_DEP_1) | instskip(SKIP_2) | instid1(VALU_DEP_2)
	v_lshlrev_b64_e32 v[14:15], v14, v[10:11]
	v_dual_lshlrev_b32 v15, 24, v10 :: v_dual_sub_nc_u32 v100, 30, v100
	v_bfe_i32 v10, v10, 0, 8
	v_and_b32_e32 v15, 0x80000000, v15
	s_delay_alu instid0(VALU_DEP_3) | instskip(NEXT) | instid1(VALU_DEP_1)
	v_dual_cndmask_b32 v100, v101, v100, vcc_lo :: v_dual_bitop2_b32 v14, 3, v14 bitop3:0x40
	v_cndmask_b32_e32 v14, v48, v14, vcc_lo
	s_delay_alu instid0(VALU_DEP_2) | instskip(SKIP_1) | instid1(VALU_DEP_2)
	v_lshl_add_u32 v15, v100, 23, v15
	v_cmp_lt_i16_e32 vcc_lo, -1, v10
	v_lshl_or_b32 v14, v14, 21, v15
	v_cndmask_b32_e32 v10, 0xff800000, v62, vcc_lo
	v_and_b32_e32 v15, 0x7c0000, v12
	v_cmp_eq_u32_e32 vcc_lo, 0, v48
	s_delay_alu instid0(VALU_DEP_4) | instskip(NEXT) | instid1(VALU_DEP_4)
	v_add_nc_u32_e32 v14, 0x38000000, v14
	v_cndmask_b32_e32 v10, 0x7f800001, v10, vcc_lo
	s_delay_alu instid0(VALU_DEP_4) | instskip(NEXT) | instid1(VALU_DEP_2)
	v_cmp_eq_u32_e32 vcc_lo, 0x7c0000, v15
	v_cndmask_b32_e32 v14, v14, v10, vcc_lo
.LBB2_1074:                             ;   in Loop: Header=BB2_710 Depth=2
	s_or_b32 exec_lo, exec_lo, s10
	s_delay_alu instid0(VALU_DEP_1) | instskip(SKIP_1) | instid1(VALU_DEP_1)
	v_dual_mul_f32 v10, v11, v14 :: v_dual_mov_b32 v15, v49
                                        ; implicit-def: $vgpr42
	s_mov_b32 s10, exec_lo
	v_and_b32_e32 v14, 0x7f800000, v10
	v_and_b32_e32 v48, 0x7fffff, v10
	v_lshrrev_b32_e32 v11, 24, v10
	s_delay_alu instid0(VALU_DEP_3)
	v_cmpx_ne_u64_e32 0x7f800000, v[14:15]
	s_xor_b32 s26, exec_lo, s10
	s_cbranch_execz .LBB2_1088
; %bb.1075:                             ;   in Loop: Header=BB2_710 Depth=2
	v_and_b32_e32 v14, 0x7fffffff, v10
	v_mov_b32_e32 v15, v49
	v_and_b32_e32 v100, 0x80, v11
                                        ; implicit-def: $vgpr42
	s_mov_b32 s10, exec_lo
	s_delay_alu instid0(VALU_DEP_2)
	v_cmpx_gt_u64_e32 0x47600001, v[14:15]
	s_xor_b32 s27, exec_lo, s10
	s_cbranch_execz .LBB2_1085
; %bb.1076:                             ;   in Loop: Header=BB2_710 Depth=2
	v_mov_b32_e32 v42, 0
	s_mov_b32 s28, exec_lo
	v_cmpx_ne_u32_e32 0, v10
	s_cbranch_execz .LBB2_1084
; %bb.1077:                             ;   in Loop: Header=BB2_710 Depth=2
	v_bfe_u32 v101, v10, 23, 8
	v_or_b32_e32 v14, 0x800000, v48
	s_delay_alu instid0(VALU_DEP_2) | instskip(SKIP_1) | instid1(VALU_DEP_2)
	v_sub_nc_u32_e32 v10, 0x71, v101
	v_cmp_gt_u32_e32 vcc_lo, 0x72, v101
	v_cndmask_b32_e32 v10, 0, v10, vcc_lo
	v_cmp_eq_u32_e32 vcc_lo, 0, v101
	v_cndmask_b32_e32 v48, v14, v48, vcc_lo
	s_delay_alu instid0(VALU_DEP_3) | instskip(NEXT) | instid1(VALU_DEP_1)
	v_cndmask_b32_e64 v42, v10, 0x70, vcc_lo
	v_dual_add_nc_u32 v10, 21, v42 :: v_dual_add_nc_u32 v15, 20, v42
	s_delay_alu instid0(VALU_DEP_1) | instskip(NEXT) | instid1(VALU_DEP_2)
	v_lshlrev_b64_e64 v[10:11], v10, -1
	v_lshlrev_b64_e64 v[14:15], v15, 1
	s_delay_alu instid0(VALU_DEP_2) | instskip(NEXT) | instid1(VALU_DEP_3)
	v_bfi_b32 v45, v11, 0, 0
	v_bfi_b32 v44, v10, 0, v48
	v_lshrrev_b64 v[10:11], v42, v[48:49]
	s_delay_alu instid0(VALU_DEP_2) | instskip(NEXT) | instid1(VALU_DEP_2)
	v_cmp_eq_u64_e64 s10, v[44:45], v[14:15]
	v_mov_b64_e32 v[14:15], v[10:11]
	s_and_saveexec_b32 s29, s10
; %bb.1078:                             ;   in Loop: Header=BB2_710 Depth=2
	v_bfe_u32 v48, v10, 21, 1
	s_delay_alu instid0(VALU_DEP_1) | instskip(NEXT) | instid1(VALU_DEP_1)
	v_add_nc_u64_e32 v[14:15], v[10:11], v[48:49]
	v_add_nc_u64_e32 v[14:15], -1, v[14:15]
; %bb.1079:                             ;   in Loop: Header=BB2_710 Depth=2
	s_or_b32 exec_lo, exec_lo, s29
	v_add_nc_u32_e32 v11, 0xffffff81, v101
	v_lshrrev_b32_e32 v15, 23, v10
	s_mov_b32 s10, exec_lo
	s_delay_alu instid0(VALU_DEP_2) | instskip(NEXT) | instid1(VALU_DEP_1)
	v_cndmask_b32_e64 v11, v11, 0xffffff82, vcc_lo
	v_add3_u32 v15, v42, v11, v15
	v_and_b32_e32 v11, 0x1fffff, v14
                                        ; implicit-def: $vgpr14
	s_delay_alu instid0(VALU_DEP_1) | instskip(NEXT) | instid1(VALU_DEP_1)
	v_dual_add_nc_u32 v101, 14, v15 :: v_dual_add_nc_u32 v48, v11, v10
                                        ; implicit-def: $vgpr10_vgpr11
	v_cmpx_ne_u32_e32 0, v101
	s_xor_b32 s10, exec_lo, s10
; %bb.1080:                             ;   in Loop: Header=BB2_710 Depth=2
	s_delay_alu instid0(VALU_DEP_2) | instskip(SKIP_1) | instid1(VALU_DEP_1)
	v_cmp_lt_u64_e32 vcc_lo, 0xffffff, v[48:49]
	v_add_nc_u32_e32 v10, 15, v15
	v_cndmask_b32_e32 v14, v101, v10, vcc_lo
	v_cndmask_b32_e64 v10, 0, 1, vcc_lo
	s_delay_alu instid0(VALU_DEP_1)
	v_lshrrev_b64 v[10:11], v10, v[48:49]
; %bb.1081:                             ;   in Loop: Header=BB2_710 Depth=2
	s_and_not1_saveexec_b32 s10, s10
; %bb.1082:                             ;   in Loop: Header=BB2_710 Depth=2
	v_mov_b64_e32 v[10:11], v[48:49]
	v_bfe_u32 v14, v48, 23, 1
; %bb.1083:                             ;   in Loop: Header=BB2_710 Depth=2
	s_or_b32 exec_lo, exec_lo, s10
	s_delay_alu instid0(VALU_DEP_2) | instskip(NEXT) | instid1(VALU_DEP_2)
	v_lshrrev_b64 v[10:11], 21, v[10:11]
	v_cmp_gt_i32_e32 vcc_lo, 32, v14
	v_min_i32_e32 v15, 31, v14
	v_cmp_eq_u32_e64 s10, 0, v14
	s_delay_alu instid0(VALU_DEP_4) | instskip(NEXT) | instid1(VALU_DEP_3)
	v_cndmask_b32_e32 v11, 0, v11, vcc_lo
	v_dual_cndmask_b32 v10, 3, v10 :: v_dual_lshlrev_b32 v15, 2, v15
	s_delay_alu instid0(VALU_DEP_1) | instskip(NEXT) | instid1(VALU_DEP_2)
	v_and_b32_e32 v15, 0xfc, v15
	v_cmp_eq_u64_e32 vcc_lo, 0, v[10:11]
	s_delay_alu instid0(VALU_DEP_2)
	v_and_or_b32 v10, v10, 3, v15
	s_and_b32 s10, s10, vcc_lo
	s_delay_alu instid0(VALU_DEP_1) | instid1(SALU_CYCLE_1)
	v_cndmask_b32_e64 v10, v10, 0, s10
	s_delay_alu instid0(VALU_DEP_1)
	v_or_b32_e32 v42, v10, v100
.LBB2_1084:                             ;   in Loop: Header=BB2_710 Depth=2
	s_or_b32 exec_lo, exec_lo, s28
                                        ; implicit-def: $vgpr100
.LBB2_1085:                             ;   in Loop: Header=BB2_710 Depth=2
	s_and_not1_saveexec_b32 s10, s27
; %bb.1086:                             ;   in Loop: Header=BB2_710 Depth=2
	v_or_b32_e32 v42, 0x7b, v100
; %bb.1087:                             ;   in Loop: Header=BB2_710 Depth=2
	s_or_b32 exec_lo, exec_lo, s10
                                        ; implicit-def: $vgpr10
                                        ; implicit-def: $vgpr11
.LBB2_1088:                             ;   in Loop: Header=BB2_710 Depth=2
	s_and_not1_saveexec_b32 s10, s26
	s_cbranch_execz .LBB2_1094
; %bb.1089:                             ;   in Loop: Header=BB2_710 Depth=2
	s_mov_b32 s26, exec_lo
                                        ; implicit-def: $vgpr42
	v_cmpx_ne_u64_e32 0, v[48:49]
	s_xor_b32 s26, exec_lo, s26
; %bb.1090:                             ;   in Loop: Header=BB2_710 Depth=2
	v_or_b32_e32 v42, 0x7f, v11
                                        ; implicit-def: $vgpr10
; %bb.1091:                             ;   in Loop: Header=BB2_710 Depth=2
	s_and_not1_saveexec_b32 s26, s26
; %bb.1092:                             ;   in Loop: Header=BB2_710 Depth=2
	v_cmp_lt_i32_e32 vcc_lo, -1, v10
	v_cndmask_b32_e32 v42, 0xfc, v63, vcc_lo
; %bb.1093:                             ;   in Loop: Header=BB2_710 Depth=2
	s_or_b32 exec_lo, exec_lo, s26
.LBB2_1094:                             ;   in Loop: Header=BB2_710 Depth=2
	s_delay_alu instid0(SALU_CYCLE_1)
	s_or_b32 exec_lo, exec_lo, s10
	v_mov_b32_e32 v11, 0
	s_mov_b32 s10, exec_lo
	v_cmpx_lt_u32_e32 0xffffff, v16
	s_cbranch_execz .LBB2_1104
; %bb.1095:                             ;   in Loop: Header=BB2_710 Depth=2
	v_lshrrev_b32_e32 v10, 24, v16
	v_bfrev_b32_e32 v11, 1
	s_mov_b32 s26, exec_lo
	s_delay_alu instid0(VALU_DEP_2)
	v_cmpx_ne_u32_e32 0x80, v10
	s_cbranch_execz .LBB2_1103
; %bb.1096:                             ;   in Loop: Header=BB2_710 Depth=2
	v_and_b32_e32 v11, 0x7c000000, v16
	v_bfe_u32 v14, v16, 24, 2
	s_delay_alu instid0(VALU_DEP_2) | instskip(SKIP_1) | instid1(SALU_CYCLE_1)
	v_cmp_ne_u32_e32 vcc_lo, 0x7c000000, v11
                                        ; implicit-def: $vgpr11
	s_and_saveexec_b32 s27, vcc_lo
	s_xor_b32 s27, exec_lo, s27
	s_cbranch_execz .LBB2_1100
; %bb.1097:                             ;   in Loop: Header=BB2_710 Depth=2
	v_bfe_u32 v11, v16, 26, 5
	s_mov_b32 s28, exec_lo
	s_delay_alu instid0(VALU_DEP_1)
	v_cmpx_eq_u32_e32 0, v11
; %bb.1098:                             ;   in Loop: Header=BB2_710 Depth=2
	v_clz_i32_u32_e32 v11, v14
	s_delay_alu instid0(VALU_DEP_1) | instskip(NEXT) | instid1(VALU_DEP_1)
	v_min_u32_e32 v14, 32, v11
	v_subrev_nc_u32_e32 v11, 29, v14
	s_delay_alu instid0(VALU_DEP_1) | instskip(SKIP_1) | instid1(VALU_DEP_2)
	v_lshlrev_b64_e32 v[10:11], v11, v[10:11]
	v_sub_nc_u32_e32 v11, 30, v14
	v_and_b32_e32 v14, 3, v10
; %bb.1099:                             ;   in Loop: Header=BB2_710 Depth=2
	s_or_b32 exec_lo, exec_lo, s28
	v_and_b32_e32 v10, 0x80000000, v16
	s_delay_alu instid0(VALU_DEP_1) | instskip(NEXT) | instid1(VALU_DEP_1)
	v_lshl_add_u32 v10, v11, 23, v10
	v_lshl_or_b32 v10, v14, 21, v10
                                        ; implicit-def: $vgpr14
	s_delay_alu instid0(VALU_DEP_1)
	v_add_nc_u32_e32 v11, 0x38000000, v10
.LBB2_1100:                             ;   in Loop: Header=BB2_710 Depth=2
	s_and_not1_saveexec_b32 s27, s27
; %bb.1101:                             ;   in Loop: Header=BB2_710 Depth=2
	v_cmp_lt_i32_e32 vcc_lo, -1, v16
	v_cndmask_b32_e32 v10, 0xff800000, v62, vcc_lo
	v_cmp_eq_u32_e32 vcc_lo, 0, v14
	s_delay_alu instid0(VALU_DEP_2)
	v_cndmask_b32_e32 v11, 0x7f800001, v10, vcc_lo
; %bb.1102:                             ;   in Loop: Header=BB2_710 Depth=2
	s_or_b32 exec_lo, exec_lo, s27
.LBB2_1103:                             ;   in Loop: Header=BB2_710 Depth=2
	s_delay_alu instid0(SALU_CYCLE_1)
	s_or_b32 exec_lo, exec_lo, s26
.LBB2_1104:                             ;   in Loop: Header=BB2_710 Depth=2
	s_delay_alu instid0(SALU_CYCLE_1) | instskip(SKIP_3) | instid1(VALU_DEP_2)
	s_or_b32 exec_lo, exec_lo, s10
	v_bfe_u32 v48, v12, 24, 2
	v_bfe_u32 v101, v12, 26, 5
                                        ; implicit-def: $vgpr43
	s_mov_b32 s10, exec_lo
	v_clz_i32_u32_e32 v10, v48
	s_delay_alu instid0(VALU_DEP_2) | instskip(NEXT) | instid1(VALU_DEP_2)
	v_cmp_eq_u32_e32 vcc_lo, 0, v101
	v_min_u32_e32 v100, 32, v10
	v_lshrrev_b32_e32 v10, 24, v12
	s_delay_alu instid0(VALU_DEP_2) | instskip(NEXT) | instid1(VALU_DEP_1)
	v_subrev_nc_u32_e32 v14, 29, v100
	v_lshlrev_b64_e32 v[14:15], v14, v[10:11]
	v_sub_nc_u32_e32 v15, 30, v100
	v_and_b32_e32 v100, 0x80000000, v12
	s_delay_alu instid0(VALU_DEP_2) | instskip(NEXT) | instid1(VALU_DEP_1)
	v_dual_cndmask_b32 v15, v101, v15, vcc_lo :: v_dual_bitop2_b32 v14, 3, v14 bitop3:0x40
	v_cndmask_b32_e32 v14, v48, v14, vcc_lo
	s_delay_alu instid0(VALU_DEP_2) | instskip(SKIP_1) | instid1(VALU_DEP_2)
	v_lshl_add_u32 v15, v15, 23, v100
	v_cmp_lt_i32_e32 vcc_lo, -1, v12
	v_lshl_or_b32 v14, v14, 21, v15
	v_cndmask_b32_e32 v100, 0xff800000, v62, vcc_lo
	v_and_b32_e32 v15, 0x7c000000, v12
	v_cmp_eq_u32_e32 vcc_lo, 0, v48
	s_delay_alu instid0(VALU_DEP_4) | instskip(NEXT) | instid1(VALU_DEP_4)
	v_add_nc_u32_e32 v14, 0x38000000, v14
	v_cndmask_b32_e32 v48, 0x7f800001, v100, vcc_lo
	s_delay_alu instid0(VALU_DEP_4) | instskip(NEXT) | instid1(VALU_DEP_2)
	v_cmp_eq_u32_e32 vcc_lo, 0x7c000000, v15
	v_dual_mov_b32 v15, v49 :: v_dual_cndmask_b32 v14, v14, v48
	v_cmp_ne_u32_e32 vcc_lo, 0x80, v10
	s_delay_alu instid0(VALU_DEP_2) | instskip(SKIP_1) | instid1(VALU_DEP_2)
	v_cndmask_b32_e32 v10, 0x80000000, v14, vcc_lo
	v_cmp_lt_u32_e32 vcc_lo, 0xffffff, v12
	v_cndmask_b32_e32 v10, 0, v10, vcc_lo
	s_delay_alu instid0(VALU_DEP_1) | instskip(NEXT) | instid1(VALU_DEP_1)
	v_mul_f32_e32 v10, v10, v11
	v_and_b32_e32 v14, 0x7f800000, v10
	v_and_b32_e32 v48, 0x7fffff, v10
	v_lshrrev_b32_e32 v11, 24, v10
	s_delay_alu instid0(VALU_DEP_3)
	v_cmpx_ne_u64_e32 0x7f800000, v[14:15]
	s_xor_b32 s26, exec_lo, s10
	s_cbranch_execz .LBB2_1118
; %bb.1105:                             ;   in Loop: Header=BB2_710 Depth=2
	v_and_b32_e32 v14, 0x7fffffff, v10
	v_mov_b32_e32 v15, v49
	v_and_b32_e32 v100, 0x80, v11
                                        ; implicit-def: $vgpr43
	s_mov_b32 s10, exec_lo
	s_delay_alu instid0(VALU_DEP_2)
	v_cmpx_gt_u64_e32 0x47600001, v[14:15]
	s_xor_b32 s27, exec_lo, s10
	s_cbranch_execz .LBB2_1115
; %bb.1106:                             ;   in Loop: Header=BB2_710 Depth=2
	v_mov_b32_e32 v43, 0
	s_mov_b32 s28, exec_lo
	v_cmpx_ne_u32_e32 0, v10
	s_cbranch_execz .LBB2_1114
; %bb.1107:                             ;   in Loop: Header=BB2_710 Depth=2
	v_bfe_u32 v101, v10, 23, 8
	v_or_b32_e32 v14, 0x800000, v48
	s_delay_alu instid0(VALU_DEP_2) | instskip(SKIP_1) | instid1(VALU_DEP_2)
	v_sub_nc_u32_e32 v10, 0x71, v101
	v_cmp_gt_u32_e32 vcc_lo, 0x72, v101
	v_cndmask_b32_e32 v10, 0, v10, vcc_lo
	v_cmp_eq_u32_e32 vcc_lo, 0, v101
	s_delay_alu instid0(VALU_DEP_2) | instskip(NEXT) | instid1(VALU_DEP_1)
	v_cndmask_b32_e64 v43, v10, 0x70, vcc_lo
	v_dual_cndmask_b32 v48, v14, v48, vcc_lo :: v_dual_add_nc_u32 v10, 21, v43
	v_add_nc_u32_e32 v15, 20, v43
	s_delay_alu instid0(VALU_DEP_2) | instskip(NEXT) | instid1(VALU_DEP_2)
	v_lshlrev_b64_e64 v[10:11], v10, -1
	v_lshlrev_b64_e64 v[14:15], v15, 1
	s_delay_alu instid0(VALU_DEP_2) | instskip(NEXT) | instid1(VALU_DEP_3)
	v_bfi_b32 v45, v11, 0, 0
	v_bfi_b32 v44, v10, 0, v48
	v_lshrrev_b64 v[10:11], v43, v[48:49]
	s_delay_alu instid0(VALU_DEP_2) | instskip(NEXT) | instid1(VALU_DEP_2)
	v_cmp_eq_u64_e64 s10, v[44:45], v[14:15]
	v_mov_b64_e32 v[14:15], v[10:11]
	s_and_saveexec_b32 s29, s10
; %bb.1108:                             ;   in Loop: Header=BB2_710 Depth=2
	v_bfe_u32 v48, v10, 21, 1
	s_delay_alu instid0(VALU_DEP_1) | instskip(NEXT) | instid1(VALU_DEP_1)
	v_add_nc_u64_e32 v[14:15], v[10:11], v[48:49]
	v_add_nc_u64_e32 v[14:15], -1, v[14:15]
; %bb.1109:                             ;   in Loop: Header=BB2_710 Depth=2
	s_or_b32 exec_lo, exec_lo, s29
	v_add_nc_u32_e32 v11, 0xffffff81, v101
	v_lshrrev_b32_e32 v15, 23, v10
	s_mov_b32 s10, exec_lo
	s_delay_alu instid0(VALU_DEP_2) | instskip(NEXT) | instid1(VALU_DEP_1)
	v_cndmask_b32_e64 v11, v11, 0xffffff82, vcc_lo
	v_add3_u32 v15, v43, v11, v15
	v_and_b32_e32 v11, 0x1fffff, v14
                                        ; implicit-def: $vgpr14
	s_delay_alu instid0(VALU_DEP_1) | instskip(NEXT) | instid1(VALU_DEP_1)
	v_dual_add_nc_u32 v101, 14, v15 :: v_dual_add_nc_u32 v48, v11, v10
                                        ; implicit-def: $vgpr10_vgpr11
	v_cmpx_ne_u32_e32 0, v101
	s_xor_b32 s10, exec_lo, s10
; %bb.1110:                             ;   in Loop: Header=BB2_710 Depth=2
	s_delay_alu instid0(VALU_DEP_2) | instskip(SKIP_1) | instid1(VALU_DEP_1)
	v_cmp_lt_u64_e32 vcc_lo, 0xffffff, v[48:49]
	v_add_nc_u32_e32 v10, 15, v15
	v_cndmask_b32_e32 v14, v101, v10, vcc_lo
	v_cndmask_b32_e64 v10, 0, 1, vcc_lo
	s_delay_alu instid0(VALU_DEP_1)
	v_lshrrev_b64 v[10:11], v10, v[48:49]
; %bb.1111:                             ;   in Loop: Header=BB2_710 Depth=2
	s_and_not1_saveexec_b32 s10, s10
; %bb.1112:                             ;   in Loop: Header=BB2_710 Depth=2
	v_mov_b64_e32 v[10:11], v[48:49]
	v_bfe_u32 v14, v48, 23, 1
; %bb.1113:                             ;   in Loop: Header=BB2_710 Depth=2
	s_or_b32 exec_lo, exec_lo, s10
	s_delay_alu instid0(VALU_DEP_2) | instskip(NEXT) | instid1(VALU_DEP_2)
	v_lshrrev_b64 v[10:11], 21, v[10:11]
	v_cmp_gt_i32_e32 vcc_lo, 32, v14
	v_min_i32_e32 v15, 31, v14
	v_cmp_eq_u32_e64 s10, 0, v14
	s_delay_alu instid0(VALU_DEP_4) | instskip(NEXT) | instid1(VALU_DEP_3)
	v_cndmask_b32_e32 v11, 0, v11, vcc_lo
	v_dual_cndmask_b32 v10, 3, v10 :: v_dual_lshlrev_b32 v15, 2, v15
	s_delay_alu instid0(VALU_DEP_1) | instskip(NEXT) | instid1(VALU_DEP_2)
	v_and_b32_e32 v15, 0xfc, v15
	v_cmp_eq_u64_e32 vcc_lo, 0, v[10:11]
	s_delay_alu instid0(VALU_DEP_2)
	v_and_or_b32 v10, v10, 3, v15
	s_and_b32 s10, s10, vcc_lo
	s_delay_alu instid0(VALU_DEP_1) | instid1(SALU_CYCLE_1)
	v_cndmask_b32_e64 v10, v10, 0, s10
	s_delay_alu instid0(VALU_DEP_1)
	v_or_b32_e32 v43, v10, v100
.LBB2_1114:                             ;   in Loop: Header=BB2_710 Depth=2
	s_or_b32 exec_lo, exec_lo, s28
                                        ; implicit-def: $vgpr100
.LBB2_1115:                             ;   in Loop: Header=BB2_710 Depth=2
	s_and_not1_saveexec_b32 s10, s27
; %bb.1116:                             ;   in Loop: Header=BB2_710 Depth=2
	v_or_b32_e32 v43, 0x7b, v100
; %bb.1117:                             ;   in Loop: Header=BB2_710 Depth=2
	s_or_b32 exec_lo, exec_lo, s10
                                        ; implicit-def: $vgpr10
                                        ; implicit-def: $vgpr11
.LBB2_1118:                             ;   in Loop: Header=BB2_710 Depth=2
	s_and_not1_saveexec_b32 s10, s26
	s_cbranch_execz .LBB2_1124
; %bb.1119:                             ;   in Loop: Header=BB2_710 Depth=2
	s_mov_b32 s26, exec_lo
                                        ; implicit-def: $vgpr43
	v_cmpx_ne_u64_e32 0, v[48:49]
	s_xor_b32 s26, exec_lo, s26
; %bb.1120:                             ;   in Loop: Header=BB2_710 Depth=2
	v_or_b32_e32 v43, 0x7f, v11
                                        ; implicit-def: $vgpr10
; %bb.1121:                             ;   in Loop: Header=BB2_710 Depth=2
	s_and_not1_saveexec_b32 s26, s26
; %bb.1122:                             ;   in Loop: Header=BB2_710 Depth=2
	v_cmp_lt_i32_e32 vcc_lo, -1, v10
	v_cndmask_b32_e32 v43, 0xfc, v63, vcc_lo
; %bb.1123:                             ;   in Loop: Header=BB2_710 Depth=2
	s_or_b32 exec_lo, exec_lo, s26
.LBB2_1124:                             ;   in Loop: Header=BB2_710 Depth=2
	s_delay_alu instid0(SALU_CYCLE_1) | instskip(SKIP_3) | instid1(VALU_DEP_2)
	s_or_b32 exec_lo, exec_lo, s10
	v_and_b32_e32 v10, 0xff, v17
	v_dual_mov_b32 v48, v17 :: v_dual_mov_b32 v14, 0
	s_mov_b32 s10, exec_lo
	v_cmpx_ne_u16_e32 0, v10
	s_cbranch_execz .LBB2_1134
; %bb.1125:                             ;   in Loop: Header=BB2_710 Depth=2
	v_bfrev_b32_e32 v14, 1
	s_mov_b32 s26, exec_lo
	v_cmpx_ne_u16_e32 0x80, v10
	s_cbranch_execz .LBB2_1133
; %bb.1126:                             ;   in Loop: Header=BB2_710 Depth=2
	v_and_b32_e32 v11, 0x7c, v17
	v_and_b32_e32 v10, 3, v17
	s_mov_b32 s27, exec_lo
                                        ; implicit-def: $vgpr14
	s_delay_alu instid0(VALU_DEP_2)
	v_cmpx_ne_u32_e32 0x7c, v11
	s_xor_b32 s27, exec_lo, s27
	s_cbranch_execz .LBB2_1130
; %bb.1127:                             ;   in Loop: Header=BB2_710 Depth=2
	v_bfe_u32 v11, v17, 2, 5
	s_mov_b32 s28, exec_lo
	s_delay_alu instid0(VALU_DEP_1)
	v_cmpx_eq_u32_e32 0, v11
; %bb.1128:                             ;   in Loop: Header=BB2_710 Depth=2
	v_clz_i32_u32_e32 v10, v10
	s_delay_alu instid0(VALU_DEP_1) | instskip(NEXT) | instid1(VALU_DEP_1)
	v_min_u32_e32 v14, 32, v10
	v_subrev_nc_u32_e32 v10, 29, v14
	s_delay_alu instid0(VALU_DEP_1) | instskip(SKIP_1) | instid1(VALU_DEP_2)
	v_lshlrev_b64_e32 v[10:11], v10, v[48:49]
	v_sub_nc_u32_e32 v11, 30, v14
	v_and_b32_e32 v10, 3, v10
; %bb.1129:                             ;   in Loop: Header=BB2_710 Depth=2
	s_or_b32 exec_lo, exec_lo, s28
	v_lshlrev_b32_e32 v14, 24, v17
	s_delay_alu instid0(VALU_DEP_1) | instskip(NEXT) | instid1(VALU_DEP_1)
	v_and_b32_e32 v14, 0x80000000, v14
	v_lshl_add_u32 v11, v11, 23, v14
	s_delay_alu instid0(VALU_DEP_1) | instskip(NEXT) | instid1(VALU_DEP_1)
	v_lshl_or_b32 v10, v10, 21, v11
	v_add_nc_u32_e32 v14, 0x38000000, v10
                                        ; implicit-def: $vgpr10
.LBB2_1130:                             ;   in Loop: Header=BB2_710 Depth=2
	s_and_not1_saveexec_b32 s27, s27
; %bb.1131:                             ;   in Loop: Header=BB2_710 Depth=2
	v_bfe_i32 v11, v17, 0, 8
	s_delay_alu instid0(VALU_DEP_1) | instskip(SKIP_2) | instid1(VALU_DEP_2)
	v_cmp_lt_i16_e32 vcc_lo, -1, v11
	v_cndmask_b32_e32 v11, 0xff800000, v62, vcc_lo
	v_cmp_eq_u32_e32 vcc_lo, 0, v10
	v_cndmask_b32_e32 v14, 0x7f800001, v11, vcc_lo
; %bb.1132:                             ;   in Loop: Header=BB2_710 Depth=2
	s_or_b32 exec_lo, exec_lo, s27
.LBB2_1133:                             ;   in Loop: Header=BB2_710 Depth=2
	s_delay_alu instid0(SALU_CYCLE_1)
	s_or_b32 exec_lo, exec_lo, s26
.LBB2_1134:                             ;   in Loop: Header=BB2_710 Depth=2
	s_delay_alu instid0(SALU_CYCLE_1) | instskip(SKIP_4) | instid1(VALU_DEP_2)
	s_or_b32 exec_lo, exec_lo, s10
	v_and_b32_e32 v11, 0xff, v13
	v_mov_b32_e32 v10, v13
	s_mov_b32 s26, 0
	s_mov_b32 s10, exec_lo
	v_cmpx_lt_i16_e32 0x7f, v11
	s_xor_b32 s10, exec_lo, s10
	s_cbranch_execz .LBB2_1279
; %bb.1135:                             ;   in Loop: Header=BB2_710 Depth=2
	s_mov_b32 s26, -1
	s_mov_b32 s27, exec_lo
	v_cmpx_eq_u16_e32 0x80, v11
; %bb.1136:                             ;   in Loop: Header=BB2_710 Depth=2
	s_xor_b32 s26, exec_lo, -1
; %bb.1137:                             ;   in Loop: Header=BB2_710 Depth=2
	s_or_b32 exec_lo, exec_lo, s27
	s_delay_alu instid0(SALU_CYCLE_1)
	s_and_b32 s26, s26, exec_lo
                                        ; implicit-def: $vgpr11
	s_or_saveexec_b32 s10, s10
	v_bfrev_b32_e32 v15, 1
	s_xor_b32 exec_lo, exec_lo, s10
	s_cbranch_execnz .LBB2_1280
.LBB2_1138:                             ;   in Loop: Header=BB2_710 Depth=2
	s_or_b32 exec_lo, exec_lo, s10
	v_mov_b32_e32 v11, v49
	s_and_saveexec_b32 s10, s26
	s_cbranch_execz .LBB2_1140
.LBB2_1139:                             ;   in Loop: Header=BB2_710 Depth=2
	v_and_b32_e32 v15, 3, v13
	s_delay_alu instid0(VALU_DEP_1) | instskip(NEXT) | instid1(VALU_DEP_1)
	v_clz_i32_u32_e32 v100, v15
	v_min_u32_e32 v44, 32, v100
	s_delay_alu instid0(VALU_DEP_1) | instskip(SKIP_1) | instid1(VALU_DEP_2)
	v_subrev_nc_u32_e32 v100, 29, v44
	v_sub_nc_u32_e32 v44, 30, v44
	v_lshlrev_b64_e32 v[100:101], v100, v[10:11]
	v_bfe_u32 v101, v13, 2, 5
	v_lshlrev_b32_e32 v11, 24, v13
	s_delay_alu instid0(VALU_DEP_2) | instskip(NEXT) | instid1(VALU_DEP_2)
	v_cmp_eq_u32_e32 vcc_lo, 0, v101
	v_and_b32_e32 v11, 0x80000000, v11
	v_and_b32_e32 v100, 3, v100
	v_cndmask_b32_e32 v101, v101, v44, vcc_lo
	v_bfe_i32 v44, v13, 0, 8
	s_delay_alu instid0(VALU_DEP_3) | instskip(NEXT) | instid1(VALU_DEP_3)
	v_cndmask_b32_e32 v100, v15, v100, vcc_lo
	v_lshl_add_u32 v11, v101, 23, v11
	s_delay_alu instid0(VALU_DEP_3) | instskip(NEXT) | instid1(VALU_DEP_2)
	v_cmp_lt_i16_e32 vcc_lo, -1, v44
	v_lshl_or_b32 v11, v100, 21, v11
	v_cndmask_b32_e32 v101, 0xff800000, v62, vcc_lo
	v_and_b32_e32 v100, 0x7c, v13
	v_cmp_eq_u32_e32 vcc_lo, 0, v15
	s_delay_alu instid0(VALU_DEP_4) | instskip(NEXT) | instid1(VALU_DEP_4)
	v_add_nc_u32_e32 v11, 0x38000000, v11
	v_cndmask_b32_e32 v15, 0x7f800001, v101, vcc_lo
	s_delay_alu instid0(VALU_DEP_4) | instskip(NEXT) | instid1(VALU_DEP_2)
	v_cmp_eq_u32_e32 vcc_lo, 0x7c, v100
	v_cndmask_b32_e32 v15, v11, v15, vcc_lo
.LBB2_1140:                             ;   in Loop: Header=BB2_710 Depth=2
	s_or_b32 exec_lo, exec_lo, s10
	s_delay_alu instid0(VALU_DEP_1) | instskip(SKIP_2) | instid1(VALU_DEP_2)
	v_dual_mul_f32 v101, v14, v15 :: v_dual_mov_b32 v45, v49
	v_mov_b32_e32 v15, v49
                                        ; implicit-def: $vgpr100
	s_mov_b32 s10, exec_lo
	v_and_b32_e32 v44, 0x7f800000, v101
	v_and_b32_e32 v14, 0x7fffff, v101
	v_lshrrev_b32_e32 v11, 24, v101
	s_delay_alu instid0(VALU_DEP_3)
	v_cmpx_ne_u64_e32 0x7f800000, v[44:45]
	s_xor_b32 s26, exec_lo, s10
	s_cbranch_execz .LBB2_1154
; %bb.1141:                             ;   in Loop: Header=BB2_710 Depth=2
	v_and_b32_e32 v44, 0x7fffffff, v101
	v_mov_b32_e32 v45, v49
	v_and_b32_e32 v11, 0x80, v11
                                        ; implicit-def: $vgpr100
	s_mov_b32 s10, exec_lo
	s_delay_alu instid0(VALU_DEP_2)
	v_cmpx_gt_u64_e32 0x47600001, v[44:45]
	s_xor_b32 s27, exec_lo, s10
	s_cbranch_execz .LBB2_1151
; %bb.1142:                             ;   in Loop: Header=BB2_710 Depth=2
	v_mov_b32_e32 v100, 0
	s_mov_b32 s28, exec_lo
	v_cmpx_ne_u32_e32 0, v101
	s_cbranch_execz .LBB2_1150
; %bb.1143:                             ;   in Loop: Header=BB2_710 Depth=2
	v_bfe_u32 v44, v101, 23, 8
	v_or_b32_e32 v46, 0x800000, v14
	s_delay_alu instid0(VALU_DEP_2) | instskip(SKIP_1) | instid1(VALU_DEP_2)
	v_sub_nc_u32_e32 v100, 0x71, v44
	v_cmp_gt_u32_e32 vcc_lo, 0x72, v44
	v_cndmask_b32_e32 v100, 0, v100, vcc_lo
	v_cmp_eq_u32_e32 vcc_lo, 0, v44
	s_delay_alu instid0(VALU_DEP_2) | instskip(NEXT) | instid1(VALU_DEP_1)
	v_cndmask_b32_e64 v45, v100, 0x70, vcc_lo
	v_dual_cndmask_b32 v14, v46, v14, vcc_lo :: v_dual_add_nc_u32 v100, 21, v45
	v_add_nc_u32_e32 v47, 20, v45
	s_delay_alu instid0(VALU_DEP_2) | instskip(NEXT) | instid1(VALU_DEP_2)
	v_lshlrev_b64_e64 v[100:101], v100, -1
	v_lshlrev_b64_e64 v[46:47], v47, 1
	s_delay_alu instid0(VALU_DEP_2) | instskip(SKIP_1) | instid1(VALU_DEP_4)
	v_bfi_b32 v100, v100, 0, v14
	v_lshrrev_b64 v[14:15], v45, v[14:15]
	v_bfi_b32 v101, v101, 0, 0
	s_delay_alu instid0(VALU_DEP_1) | instskip(NEXT) | instid1(VALU_DEP_3)
	v_cmp_eq_u64_e64 s10, v[100:101], v[46:47]
	v_mov_b64_e32 v[100:101], v[14:15]
	s_and_saveexec_b32 s29, s10
; %bb.1144:                             ;   in Loop: Header=BB2_710 Depth=2
	v_bfe_u32 v100, v14, 21, 1
	v_mov_b32_e32 v101, v49
	s_delay_alu instid0(VALU_DEP_1) | instskip(NEXT) | instid1(VALU_DEP_1)
	v_add_nc_u64_e32 v[100:101], v[14:15], v[100:101]
	v_add_nc_u64_e32 v[100:101], -1, v[100:101]
; %bb.1145:                             ;   in Loop: Header=BB2_710 Depth=2
	s_or_b32 exec_lo, exec_lo, s29
	v_add_nc_u32_e32 v15, 0xffffff81, v44
	v_lshrrev_b32_e32 v101, 23, v14
	s_mov_b32 s10, exec_lo
	s_delay_alu instid0(VALU_DEP_2) | instskip(NEXT) | instid1(VALU_DEP_1)
	v_cndmask_b32_e64 v15, v15, 0xffffff82, vcc_lo
	v_add3_u32 v101, v45, v15, v101
	v_and_b32_e32 v15, 0x1fffff, v100
                                        ; implicit-def: $vgpr100
	s_delay_alu instid0(VALU_DEP_1) | instskip(SKIP_1) | instid1(VALU_DEP_2)
	v_dual_add_nc_u32 v44, 14, v101 :: v_dual_add_nc_u32 v14, v15, v14
	v_mov_b32_e32 v15, v49
	v_cmpx_ne_u32_e32 0, v44
	s_xor_b32 s10, exec_lo, s10
; %bb.1146:                             ;   in Loop: Header=BB2_710 Depth=2
	s_delay_alu instid0(VALU_DEP_2) | instskip(SKIP_2) | instid1(VALU_DEP_2)
	v_cmp_lt_u64_e32 vcc_lo, 0xffffff, v[14:15]
	v_add_nc_u32_e32 v100, 15, v101
	v_cndmask_b32_e64 v101, 0, 1, vcc_lo
	v_cndmask_b32_e32 v100, v44, v100, vcc_lo
	s_delay_alu instid0(VALU_DEP_2)
	v_lshrrev_b64 v[14:15], v101, v[14:15]
; %bb.1147:                             ;   in Loop: Header=BB2_710 Depth=2
	s_and_not1_saveexec_b32 s10, s10
; %bb.1148:                             ;   in Loop: Header=BB2_710 Depth=2
	s_delay_alu instid0(VALU_DEP_1)
	v_bfe_u32 v100, v14, 23, 1
; %bb.1149:                             ;   in Loop: Header=BB2_710 Depth=2
	s_or_b32 exec_lo, exec_lo, s10
	s_delay_alu instid0(VALU_DEP_2) | instskip(NEXT) | instid1(VALU_DEP_2)
	v_lshrrev_b64 v[14:15], 21, v[14:15]
	v_cmp_gt_i32_e32 vcc_lo, 32, v100
	v_min_i32_e32 v101, 31, v100
	v_cmp_eq_u32_e64 s10, 0, v100
	s_delay_alu instid0(VALU_DEP_2) | instskip(SKIP_1) | instid1(VALU_DEP_2)
	v_dual_cndmask_b32 v15, 0, v15, vcc_lo :: v_dual_lshlrev_b32 v101, 2, v101
	v_cndmask_b32_e32 v14, 3, v14, vcc_lo
	v_and_b32_e32 v101, 0xfc, v101
	s_delay_alu instid0(VALU_DEP_2) | instskip(NEXT) | instid1(VALU_DEP_2)
	v_cmp_eq_u64_e32 vcc_lo, 0, v[14:15]
	v_and_or_b32 v14, v14, 3, v101
	s_and_b32 s10, s10, vcc_lo
	s_delay_alu instid0(VALU_DEP_1) | instid1(SALU_CYCLE_1)
	v_cndmask_b32_e64 v14, v14, 0, s10
	s_delay_alu instid0(VALU_DEP_1)
	v_or_b32_e32 v100, v14, v11
.LBB2_1150:                             ;   in Loop: Header=BB2_710 Depth=2
	s_or_b32 exec_lo, exec_lo, s28
                                        ; implicit-def: $vgpr11
.LBB2_1151:                             ;   in Loop: Header=BB2_710 Depth=2
	s_and_not1_saveexec_b32 s10, s27
; %bb.1152:                             ;   in Loop: Header=BB2_710 Depth=2
	v_or_b32_e32 v100, 0x7b, v11
; %bb.1153:                             ;   in Loop: Header=BB2_710 Depth=2
	s_or_b32 exec_lo, exec_lo, s10
                                        ; implicit-def: $vgpr101
                                        ; implicit-def: $vgpr14_vgpr15
                                        ; implicit-def: $vgpr11
.LBB2_1154:                             ;   in Loop: Header=BB2_710 Depth=2
	s_and_not1_saveexec_b32 s10, s26
	s_cbranch_execz .LBB2_1160
; %bb.1155:                             ;   in Loop: Header=BB2_710 Depth=2
	s_mov_b32 s26, exec_lo
                                        ; implicit-def: $vgpr100
	v_cmpx_ne_u64_e32 0, v[14:15]
	s_xor_b32 s26, exec_lo, s26
; %bb.1156:                             ;   in Loop: Header=BB2_710 Depth=2
	v_or_b32_e32 v100, 0x7f, v11
                                        ; implicit-def: $vgpr101
; %bb.1157:                             ;   in Loop: Header=BB2_710 Depth=2
	s_and_not1_saveexec_b32 s26, s26
; %bb.1158:                             ;   in Loop: Header=BB2_710 Depth=2
	v_cmp_lt_i32_e32 vcc_lo, -1, v101
	v_cndmask_b32_e32 v100, 0xfc, v63, vcc_lo
; %bb.1159:                             ;   in Loop: Header=BB2_710 Depth=2
	s_or_b32 exec_lo, exec_lo, s26
.LBB2_1160:                             ;   in Loop: Header=BB2_710 Depth=2
	s_delay_alu instid0(SALU_CYCLE_1) | instskip(SKIP_3) | instid1(VALU_DEP_2)
	s_or_b32 exec_lo, exec_lo, s10
	v_lshrrev_b16 v14, 8, v48
	v_mov_b32_e32 v11, 0
	s_mov_b32 s10, exec_lo
	v_cmpx_ne_u16_e32 0, v14
	s_cbranch_execz .LBB2_1170
; %bb.1161:                             ;   in Loop: Header=BB2_710 Depth=2
	v_bfrev_b32_e32 v11, 1
	s_mov_b32 s26, exec_lo
	v_cmpx_ne_u16_e32 0x80, v14
	s_cbranch_execz .LBB2_1169
; %bb.1162:                             ;   in Loop: Header=BB2_710 Depth=2
	v_and_b32_e32 v101, 0xffff, v14
	s_delay_alu instid0(VALU_DEP_1) | instskip(SKIP_1) | instid1(VALU_DEP_2)
	v_and_b32_e32 v11, 0x7c, v101
	v_and_b32_e32 v15, 3, v101
	v_cmp_ne_u32_e32 vcc_lo, 0x7c, v11
                                        ; implicit-def: $vgpr11
	s_and_saveexec_b32 s27, vcc_lo
	s_delay_alu instid0(SALU_CYCLE_1)
	s_xor_b32 s27, exec_lo, s27
	s_cbranch_execz .LBB2_1166
; %bb.1163:                             ;   in Loop: Header=BB2_710 Depth=2
	v_bfe_u32 v11, v101, 2, 5
	s_mov_b32 s28, exec_lo
	s_delay_alu instid0(VALU_DEP_1)
	v_cmpx_eq_u32_e32 0, v11
	s_cbranch_execz .LBB2_1165
; %bb.1164:                             ;   in Loop: Header=BB2_710 Depth=2
	v_clz_i32_u32_e32 v11, v15
	s_delay_alu instid0(VALU_DEP_1) | instskip(SKIP_1) | instid1(VALU_DEP_2)
	v_min_u32_e32 v11, 32, v11
	v_mov_b32_e32 v15, v49
	v_subrev_nc_u32_e32 v101, 29, v11
	v_sub_nc_u32_e32 v11, 30, v11
	s_delay_alu instid0(VALU_DEP_2) | instskip(NEXT) | instid1(VALU_DEP_1)
	v_lshlrev_b64_e32 v[14:15], v101, v[14:15]
	v_and_b32_e32 v15, 3, v14
.LBB2_1165:                             ;   in Loop: Header=BB2_710 Depth=2
	s_or_b32 exec_lo, exec_lo, s28
	v_lshlrev_b32_e32 v14, 16, v48
	s_delay_alu instid0(VALU_DEP_1) | instskip(NEXT) | instid1(VALU_DEP_1)
	v_and_b32_e32 v14, 0x80000000, v14
	v_lshl_add_u32 v11, v11, 23, v14
	s_delay_alu instid0(VALU_DEP_1) | instskip(NEXT) | instid1(VALU_DEP_1)
	v_lshl_or_b32 v11, v15, 21, v11
                                        ; implicit-def: $vgpr15
	v_add_nc_u32_e32 v11, 0x38000000, v11
.LBB2_1166:                             ;   in Loop: Header=BB2_710 Depth=2
	s_and_not1_saveexec_b32 s27, s27
; %bb.1167:                             ;   in Loop: Header=BB2_710 Depth=2
	v_cmp_lt_i16_e32 vcc_lo, -1, v48
	v_cndmask_b32_e32 v11, 0xff800000, v62, vcc_lo
	v_cmp_eq_u32_e32 vcc_lo, 0, v15
	s_delay_alu instid0(VALU_DEP_2)
	v_cndmask_b32_e32 v11, 0x7f800001, v11, vcc_lo
; %bb.1168:                             ;   in Loop: Header=BB2_710 Depth=2
	s_or_b32 exec_lo, exec_lo, s27
.LBB2_1169:                             ;   in Loop: Header=BB2_710 Depth=2
	s_delay_alu instid0(SALU_CYCLE_1)
	s_or_b32 exec_lo, exec_lo, s26
.LBB2_1170:                             ;   in Loop: Header=BB2_710 Depth=2
	s_delay_alu instid0(SALU_CYCLE_1) | instskip(SKIP_3) | instid1(VALU_DEP_1)
	s_or_b32 exec_lo, exec_lo, s10
	v_lshrrev_b16 v48, 8, v10
	s_mov_b32 s26, 0
	s_mov_b32 s10, exec_lo
	v_cmpx_lt_i16_e32 0x7f, v48
	s_xor_b32 s10, exec_lo, s10
	s_cbranch_execz .LBB2_1281
; %bb.1171:                             ;   in Loop: Header=BB2_710 Depth=2
	s_mov_b32 s26, -1
	s_mov_b32 s27, exec_lo
	v_cmpx_eq_u16_e32 0x80, v48
; %bb.1172:                             ;   in Loop: Header=BB2_710 Depth=2
	s_xor_b32 s26, exec_lo, -1
; %bb.1173:                             ;   in Loop: Header=BB2_710 Depth=2
	s_or_b32 exec_lo, exec_lo, s27
	s_delay_alu instid0(SALU_CYCLE_1)
	s_and_b32 s26, s26, exec_lo
	s_or_saveexec_b32 s10, s10
	v_bfrev_b32_e32 v14, 1
	s_xor_b32 exec_lo, exec_lo, s10
	s_cbranch_execnz .LBB2_1282
.LBB2_1174:                             ;   in Loop: Header=BB2_710 Depth=2
	s_or_b32 exec_lo, exec_lo, s10
	s_and_saveexec_b32 s10, s26
	s_cbranch_execz .LBB2_1176
.LBB2_1175:                             ;   in Loop: Header=BB2_710 Depth=2
	v_and_b32_e32 v101, 0xffff, v48
	s_delay_alu instid0(VALU_DEP_1) | instskip(NEXT) | instid1(VALU_DEP_1)
	v_and_b32_e32 v44, 3, v101
	v_clz_i32_u32_e32 v14, v44
	s_delay_alu instid0(VALU_DEP_1) | instskip(NEXT) | instid1(VALU_DEP_1)
	v_min_u32_e32 v45, 32, v14
	v_subrev_nc_u32_e32 v14, 29, v45
	s_delay_alu instid0(VALU_DEP_1) | instskip(SKIP_3) | instid1(VALU_DEP_3)
	v_lshlrev_b64_e32 v[14:15], v14, v[48:49]
	v_lshlrev_b32_e32 v15, 24, v48
	v_bfe_u32 v48, v101, 2, 5
	v_sub_nc_u32_e32 v45, 30, v45
	v_and_b32_e32 v15, 0x80000000, v15
	s_delay_alu instid0(VALU_DEP_3) | instskip(NEXT) | instid1(VALU_DEP_3)
	v_cmp_eq_u32_e32 vcc_lo, 0, v48
	v_dual_cndmask_b32 v48, v48, v45, vcc_lo :: v_dual_bitop2_b32 v14, 3, v14 bitop3:0x40
	s_delay_alu instid0(VALU_DEP_1) | instskip(SKIP_1) | instid1(VALU_DEP_3)
	v_cndmask_b32_e32 v14, v44, v14, vcc_lo
	v_cmp_lt_i16_e32 vcc_lo, -1, v10
	v_lshl_add_u32 v15, v48, 23, v15
	v_cndmask_b32_e32 v10, 0xff800000, v62, vcc_lo
	v_cmp_eq_u32_e32 vcc_lo, 0, v44
	s_delay_alu instid0(VALU_DEP_3) | instskip(SKIP_1) | instid1(VALU_DEP_4)
	v_lshl_or_b32 v14, v14, 21, v15
	v_and_b32_e32 v15, 0x7c, v101
	v_cndmask_b32_e32 v10, 0x7f800001, v10, vcc_lo
	s_delay_alu instid0(VALU_DEP_3) | instskip(NEXT) | instid1(VALU_DEP_3)
	v_add_nc_u32_e32 v14, 0x38000000, v14
	v_cmp_eq_u32_e32 vcc_lo, 0x7c, v15
	s_delay_alu instid0(VALU_DEP_2)
	v_cndmask_b32_e32 v14, v14, v10, vcc_lo
.LBB2_1176:                             ;   in Loop: Header=BB2_710 Depth=2
	s_or_b32 exec_lo, exec_lo, s10
	s_delay_alu instid0(VALU_DEP_1) | instskip(SKIP_1) | instid1(VALU_DEP_1)
	v_dual_mul_f32 v10, v11, v14 :: v_dual_mov_b32 v15, v49
                                        ; implicit-def: $vgpr101
	s_mov_b32 s10, exec_lo
	v_and_b32_e32 v14, 0x7f800000, v10
	v_and_b32_e32 v48, 0x7fffff, v10
	v_lshrrev_b32_e32 v11, 24, v10
	s_delay_alu instid0(VALU_DEP_3)
	v_cmpx_ne_u64_e32 0x7f800000, v[14:15]
	s_xor_b32 s26, exec_lo, s10
	s_cbranch_execz .LBB2_1190
; %bb.1177:                             ;   in Loop: Header=BB2_710 Depth=2
	v_and_b32_e32 v14, 0x7fffffff, v10
	v_mov_b32_e32 v15, v49
	v_and_b32_e32 v44, 0x80, v11
                                        ; implicit-def: $vgpr101
	s_mov_b32 s10, exec_lo
	s_delay_alu instid0(VALU_DEP_2)
	v_cmpx_gt_u64_e32 0x47600001, v[14:15]
	s_xor_b32 s27, exec_lo, s10
	s_cbranch_execz .LBB2_1187
; %bb.1178:                             ;   in Loop: Header=BB2_710 Depth=2
	v_mov_b32_e32 v101, 0
	s_mov_b32 s28, exec_lo
	v_cmpx_ne_u32_e32 0, v10
	s_cbranch_execz .LBB2_1186
; %bb.1179:                             ;   in Loop: Header=BB2_710 Depth=2
	v_bfe_u32 v101, v10, 23, 8
	v_or_b32_e32 v14, 0x800000, v48
	s_delay_alu instid0(VALU_DEP_2) | instskip(SKIP_1) | instid1(VALU_DEP_2)
	v_sub_nc_u32_e32 v10, 0x71, v101
	v_cmp_gt_u32_e32 vcc_lo, 0x72, v101
	v_cndmask_b32_e32 v10, 0, v10, vcc_lo
	v_cmp_eq_u32_e32 vcc_lo, 0, v101
	s_delay_alu instid0(VALU_DEP_2) | instskip(NEXT) | instid1(VALU_DEP_1)
	v_cndmask_b32_e64 v45, v10, 0x70, vcc_lo
	v_dual_cndmask_b32 v48, v14, v48, vcc_lo :: v_dual_add_nc_u32 v10, 21, v45
	v_add_nc_u32_e32 v15, 20, v45
	s_delay_alu instid0(VALU_DEP_2) | instskip(NEXT) | instid1(VALU_DEP_2)
	v_lshlrev_b64_e64 v[10:11], v10, -1
	v_lshlrev_b64_e64 v[14:15], v15, 1
	s_delay_alu instid0(VALU_DEP_2) | instskip(NEXT) | instid1(VALU_DEP_3)
	v_bfi_b32 v47, v11, 0, 0
	v_bfi_b32 v46, v10, 0, v48
	v_lshrrev_b64 v[10:11], v45, v[48:49]
	s_delay_alu instid0(VALU_DEP_2) | instskip(NEXT) | instid1(VALU_DEP_2)
	v_cmp_eq_u64_e64 s10, v[46:47], v[14:15]
	v_mov_b64_e32 v[14:15], v[10:11]
	s_and_saveexec_b32 s29, s10
; %bb.1180:                             ;   in Loop: Header=BB2_710 Depth=2
	v_bfe_u32 v48, v10, 21, 1
	s_delay_alu instid0(VALU_DEP_1) | instskip(NEXT) | instid1(VALU_DEP_1)
	v_add_nc_u64_e32 v[14:15], v[10:11], v[48:49]
	v_add_nc_u64_e32 v[14:15], -1, v[14:15]
; %bb.1181:                             ;   in Loop: Header=BB2_710 Depth=2
	s_or_b32 exec_lo, exec_lo, s29
	v_add_nc_u32_e32 v11, 0xffffff81, v101
	v_lshrrev_b32_e32 v15, 23, v10
	s_mov_b32 s10, exec_lo
	s_delay_alu instid0(VALU_DEP_2) | instskip(NEXT) | instid1(VALU_DEP_1)
	v_cndmask_b32_e64 v11, v11, 0xffffff82, vcc_lo
	v_add3_u32 v15, v45, v11, v15
	v_and_b32_e32 v11, 0x1fffff, v14
                                        ; implicit-def: $vgpr14
	s_delay_alu instid0(VALU_DEP_1) | instskip(NEXT) | instid1(VALU_DEP_1)
	v_dual_add_nc_u32 v101, 14, v15 :: v_dual_add_nc_u32 v48, v11, v10
                                        ; implicit-def: $vgpr10_vgpr11
	v_cmpx_ne_u32_e32 0, v101
	s_xor_b32 s10, exec_lo, s10
; %bb.1182:                             ;   in Loop: Header=BB2_710 Depth=2
	s_delay_alu instid0(VALU_DEP_2) | instskip(SKIP_1) | instid1(VALU_DEP_1)
	v_cmp_lt_u64_e32 vcc_lo, 0xffffff, v[48:49]
	v_add_nc_u32_e32 v10, 15, v15
	v_cndmask_b32_e32 v14, v101, v10, vcc_lo
	v_cndmask_b32_e64 v10, 0, 1, vcc_lo
	s_delay_alu instid0(VALU_DEP_1)
	v_lshrrev_b64 v[10:11], v10, v[48:49]
; %bb.1183:                             ;   in Loop: Header=BB2_710 Depth=2
	s_and_not1_saveexec_b32 s10, s10
; %bb.1184:                             ;   in Loop: Header=BB2_710 Depth=2
	v_mov_b64_e32 v[10:11], v[48:49]
	v_bfe_u32 v14, v48, 23, 1
; %bb.1185:                             ;   in Loop: Header=BB2_710 Depth=2
	s_or_b32 exec_lo, exec_lo, s10
	s_delay_alu instid0(VALU_DEP_2) | instskip(NEXT) | instid1(VALU_DEP_2)
	v_lshrrev_b64 v[10:11], 21, v[10:11]
	v_cmp_gt_i32_e32 vcc_lo, 32, v14
	v_min_i32_e32 v15, 31, v14
	v_cmp_eq_u32_e64 s10, 0, v14
	s_delay_alu instid0(VALU_DEP_4) | instskip(NEXT) | instid1(VALU_DEP_3)
	v_cndmask_b32_e32 v11, 0, v11, vcc_lo
	v_dual_cndmask_b32 v10, 3, v10 :: v_dual_lshlrev_b32 v15, 2, v15
	s_delay_alu instid0(VALU_DEP_1) | instskip(NEXT) | instid1(VALU_DEP_2)
	v_and_b32_e32 v15, 0xfc, v15
	v_cmp_eq_u64_e32 vcc_lo, 0, v[10:11]
	s_delay_alu instid0(VALU_DEP_2)
	v_and_or_b32 v10, v10, 3, v15
	s_and_b32 s10, s10, vcc_lo
	s_delay_alu instid0(VALU_DEP_1) | instid1(SALU_CYCLE_1)
	v_cndmask_b32_e64 v10, v10, 0, s10
	s_delay_alu instid0(VALU_DEP_1)
	v_or_b32_e32 v101, v10, v44
.LBB2_1186:                             ;   in Loop: Header=BB2_710 Depth=2
	s_or_b32 exec_lo, exec_lo, s28
                                        ; implicit-def: $vgpr44
.LBB2_1187:                             ;   in Loop: Header=BB2_710 Depth=2
	s_and_not1_saveexec_b32 s10, s27
; %bb.1188:                             ;   in Loop: Header=BB2_710 Depth=2
	v_or_b32_e32 v101, 0x7b, v44
; %bb.1189:                             ;   in Loop: Header=BB2_710 Depth=2
	s_or_b32 exec_lo, exec_lo, s10
                                        ; implicit-def: $vgpr10
                                        ; implicit-def: $vgpr11
.LBB2_1190:                             ;   in Loop: Header=BB2_710 Depth=2
	s_and_not1_saveexec_b32 s10, s26
	s_cbranch_execz .LBB2_1196
; %bb.1191:                             ;   in Loop: Header=BB2_710 Depth=2
	s_mov_b32 s26, exec_lo
                                        ; implicit-def: $vgpr101
	v_cmpx_ne_u64_e32 0, v[48:49]
	s_xor_b32 s26, exec_lo, s26
; %bb.1192:                             ;   in Loop: Header=BB2_710 Depth=2
	v_or_b32_e32 v101, 0x7f, v11
                                        ; implicit-def: $vgpr10
; %bb.1193:                             ;   in Loop: Header=BB2_710 Depth=2
	s_and_not1_saveexec_b32 s26, s26
; %bb.1194:                             ;   in Loop: Header=BB2_710 Depth=2
	v_cmp_lt_i32_e32 vcc_lo, -1, v10
	v_cndmask_b32_e32 v101, 0xfc, v63, vcc_lo
; %bb.1195:                             ;   in Loop: Header=BB2_710 Depth=2
	s_or_b32 exec_lo, exec_lo, s26
.LBB2_1196:                             ;   in Loop: Header=BB2_710 Depth=2
	s_delay_alu instid0(SALU_CYCLE_1) | instskip(SKIP_2) | instid1(VALU_DEP_1)
	s_or_b32 exec_lo, exec_lo, s10
	v_dual_mov_b32 v11, 0 :: v_dual_lshrrev_b32 v10, 16, v17
	s_mov_b32 s10, exec_lo
	v_and_b32_e32 v14, 0xff, v10
	s_delay_alu instid0(VALU_DEP_1)
	v_cmpx_ne_u16_e32 0, v14
	s_cbranch_execz .LBB2_1206
; %bb.1197:                             ;   in Loop: Header=BB2_710 Depth=2
	v_bfrev_b32_e32 v11, 1
	s_mov_b32 s26, exec_lo
	v_cmpx_ne_u16_e32 0x80, v14
	s_cbranch_execz .LBB2_1205
; %bb.1198:                             ;   in Loop: Header=BB2_710 Depth=2
	v_and_b32_e32 v11, 0x7c0000, v17
	v_bfe_u32 v14, v17, 16, 2
	s_delay_alu instid0(VALU_DEP_2) | instskip(SKIP_1) | instid1(SALU_CYCLE_1)
	v_cmp_ne_u32_e32 vcc_lo, 0x7c0000, v11
                                        ; implicit-def: $vgpr11
	s_and_saveexec_b32 s27, vcc_lo
	s_xor_b32 s27, exec_lo, s27
	s_cbranch_execz .LBB2_1202
; %bb.1199:                             ;   in Loop: Header=BB2_710 Depth=2
	v_bfe_u32 v11, v17, 18, 5
	s_mov_b32 s28, exec_lo
	s_delay_alu instid0(VALU_DEP_1)
	v_cmpx_eq_u32_e32 0, v11
; %bb.1200:                             ;   in Loop: Header=BB2_710 Depth=2
	v_clz_i32_u32_e32 v11, v14
	s_delay_alu instid0(VALU_DEP_1) | instskip(NEXT) | instid1(VALU_DEP_1)
	v_min_u32_e32 v11, 32, v11
	v_subrev_nc_u32_e32 v14, 29, v11
	s_delay_alu instid0(VALU_DEP_1) | instskip(NEXT) | instid1(VALU_DEP_1)
	v_lshlrev_b64_e32 v[14:15], v14, v[10:11]
	v_dual_sub_nc_u32 v11, 30, v11 :: v_dual_bitop2_b32 v14, 3, v14 bitop3:0x40
; %bb.1201:                             ;   in Loop: Header=BB2_710 Depth=2
	s_or_b32 exec_lo, exec_lo, s28
	v_lshlrev_b32_e32 v10, 24, v10
	s_delay_alu instid0(VALU_DEP_1) | instskip(NEXT) | instid1(VALU_DEP_1)
	v_and_b32_e32 v10, 0x80000000, v10
	v_lshl_add_u32 v10, v11, 23, v10
	s_delay_alu instid0(VALU_DEP_1) | instskip(NEXT) | instid1(VALU_DEP_1)
	v_lshl_or_b32 v10, v14, 21, v10
                                        ; implicit-def: $vgpr14
	v_add_nc_u32_e32 v11, 0x38000000, v10
                                        ; implicit-def: $vgpr10
.LBB2_1202:                             ;   in Loop: Header=BB2_710 Depth=2
	s_and_not1_saveexec_b32 s27, s27
; %bb.1203:                             ;   in Loop: Header=BB2_710 Depth=2
	v_bfe_i32 v10, v10, 0, 8
	s_delay_alu instid0(VALU_DEP_1) | instskip(SKIP_2) | instid1(VALU_DEP_2)
	v_cmp_lt_i16_e32 vcc_lo, -1, v10
	v_cndmask_b32_e32 v10, 0xff800000, v62, vcc_lo
	v_cmp_eq_u32_e32 vcc_lo, 0, v14
	v_cndmask_b32_e32 v11, 0x7f800001, v10, vcc_lo
; %bb.1204:                             ;   in Loop: Header=BB2_710 Depth=2
	s_or_b32 exec_lo, exec_lo, s27
.LBB2_1205:                             ;   in Loop: Header=BB2_710 Depth=2
	s_delay_alu instid0(SALU_CYCLE_1)
	s_or_b32 exec_lo, exec_lo, s26
.LBB2_1206:                             ;   in Loop: Header=BB2_710 Depth=2
	s_delay_alu instid0(SALU_CYCLE_1) | instskip(SKIP_3) | instid1(VALU_DEP_1)
	s_or_b32 exec_lo, exec_lo, s10
	v_lshrrev_b32_e32 v10, 16, v13
	s_mov_b32 s26, 0
	s_mov_b32 s10, exec_lo
	v_and_b32_e32 v15, 0xff, v10
	s_delay_alu instid0(VALU_DEP_1)
	v_cmpx_lt_i16_e32 0x7f, v15
	s_xor_b32 s10, exec_lo, s10
	s_cbranch_execz .LBB2_1283
; %bb.1207:                             ;   in Loop: Header=BB2_710 Depth=2
	s_mov_b32 s26, -1
	s_mov_b32 s27, exec_lo
	v_cmpx_eq_u16_e32 0x80, v15
; %bb.1208:                             ;   in Loop: Header=BB2_710 Depth=2
	s_xor_b32 s26, exec_lo, -1
; %bb.1209:                             ;   in Loop: Header=BB2_710 Depth=2
	s_or_b32 exec_lo, exec_lo, s27
	s_delay_alu instid0(SALU_CYCLE_1)
	s_and_b32 s26, s26, exec_lo
                                        ; implicit-def: $vgpr15
	s_or_saveexec_b32 s10, s10
	v_bfrev_b32_e32 v14, 1
	s_xor_b32 exec_lo, exec_lo, s10
	s_cbranch_execnz .LBB2_1284
.LBB2_1210:                             ;   in Loop: Header=BB2_710 Depth=2
	s_or_b32 exec_lo, exec_lo, s10
	s_and_saveexec_b32 s10, s26
	s_cbranch_execz .LBB2_1212
.LBB2_1211:                             ;   in Loop: Header=BB2_710 Depth=2
	v_and_b32_e32 v48, 3, v10
	v_bfe_u32 v45, v13, 18, 5
	s_delay_alu instid0(VALU_DEP_2) | instskip(NEXT) | instid1(VALU_DEP_2)
	v_clz_i32_u32_e32 v14, v48
	v_cmp_eq_u32_e32 vcc_lo, 0, v45
	s_delay_alu instid0(VALU_DEP_2) | instskip(NEXT) | instid1(VALU_DEP_1)
	v_min_u32_e32 v44, 32, v14
	v_subrev_nc_u32_e32 v14, 29, v44
	s_delay_alu instid0(VALU_DEP_1) | instskip(SKIP_2) | instid1(VALU_DEP_2)
	v_lshlrev_b64_e32 v[14:15], v14, v[10:11]
	v_dual_lshlrev_b32 v15, 24, v10 :: v_dual_sub_nc_u32 v44, 30, v44
	v_bfe_i32 v10, v10, 0, 8
	v_and_b32_e32 v15, 0x80000000, v15
	s_delay_alu instid0(VALU_DEP_3) | instskip(NEXT) | instid1(VALU_DEP_1)
	v_dual_cndmask_b32 v44, v45, v44, vcc_lo :: v_dual_bitop2_b32 v14, 3, v14 bitop3:0x40
	v_cndmask_b32_e32 v14, v48, v14, vcc_lo
	s_delay_alu instid0(VALU_DEP_2) | instskip(SKIP_1) | instid1(VALU_DEP_2)
	v_lshl_add_u32 v15, v44, 23, v15
	v_cmp_lt_i16_e32 vcc_lo, -1, v10
	v_lshl_or_b32 v14, v14, 21, v15
	v_cndmask_b32_e32 v10, 0xff800000, v62, vcc_lo
	v_and_b32_e32 v15, 0x7c0000, v13
	v_cmp_eq_u32_e32 vcc_lo, 0, v48
	s_delay_alu instid0(VALU_DEP_4) | instskip(NEXT) | instid1(VALU_DEP_4)
	v_add_nc_u32_e32 v14, 0x38000000, v14
	v_cndmask_b32_e32 v10, 0x7f800001, v10, vcc_lo
	s_delay_alu instid0(VALU_DEP_4) | instskip(NEXT) | instid1(VALU_DEP_2)
	v_cmp_eq_u32_e32 vcc_lo, 0x7c0000, v15
	v_cndmask_b32_e32 v14, v14, v10, vcc_lo
.LBB2_1212:                             ;   in Loop: Header=BB2_710 Depth=2
	s_or_b32 exec_lo, exec_lo, s10
	s_delay_alu instid0(VALU_DEP_1) | instskip(NEXT) | instid1(VALU_DEP_1)
	v_dual_mul_f32 v10, v11, v14 :: v_dual_mov_b32 v15, v49
	v_and_b32_e32 v14, 0x7f800000, v10
	v_and_b32_e32 v48, 0x7fffff, v10
	v_lshrrev_b32_e32 v11, 24, v10
	s_delay_alu instid0(VALU_DEP_3) | instskip(SKIP_1) | instid1(SALU_CYCLE_1)
	v_cmp_ne_u64_e32 vcc_lo, 0x7f800000, v[14:15]
                                        ; implicit-def: $vgpr14
	s_and_saveexec_b32 s10, vcc_lo
	s_xor_b32 s26, exec_lo, s10
	s_cbranch_execz .LBB2_1226
; %bb.1213:                             ;   in Loop: Header=BB2_710 Depth=2
	v_and_b32_e32 v14, 0x7fffffff, v10
	v_mov_b32_e32 v15, v49
	v_and_b32_e32 v44, 0x80, v11
	s_delay_alu instid0(VALU_DEP_2) | instskip(SKIP_1) | instid1(SALU_CYCLE_1)
	v_cmp_gt_u64_e32 vcc_lo, 0x47600001, v[14:15]
                                        ; implicit-def: $vgpr14
	s_and_saveexec_b32 s10, vcc_lo
	s_xor_b32 s27, exec_lo, s10
	s_cbranch_execz .LBB2_1223
; %bb.1214:                             ;   in Loop: Header=BB2_710 Depth=2
	v_mov_b32_e32 v14, 0
	s_mov_b32 s28, exec_lo
	v_cmpx_ne_u32_e32 0, v10
	s_cbranch_execz .LBB2_1222
; %bb.1215:                             ;   in Loop: Header=BB2_710 Depth=2
	v_bfe_u32 v45, v10, 23, 8
	v_or_b32_e32 v14, 0x800000, v48
	s_delay_alu instid0(VALU_DEP_2) | instskip(SKIP_1) | instid1(VALU_DEP_2)
	v_sub_nc_u32_e32 v10, 0x71, v45
	v_cmp_gt_u32_e32 vcc_lo, 0x72, v45
	v_cndmask_b32_e32 v10, 0, v10, vcc_lo
	v_cmp_eq_u32_e32 vcc_lo, 0, v45
	v_cndmask_b32_e32 v48, v14, v48, vcc_lo
	s_delay_alu instid0(VALU_DEP_3) | instskip(NEXT) | instid1(VALU_DEP_1)
	v_cndmask_b32_e64 v46, v10, 0x70, vcc_lo
	v_dual_add_nc_u32 v10, 21, v46 :: v_dual_add_nc_u32 v15, 20, v46
	s_delay_alu instid0(VALU_DEP_1) | instskip(NEXT) | instid1(VALU_DEP_2)
	v_lshlrev_b64_e64 v[10:11], v10, -1
	v_lshlrev_b64_e64 v[14:15], v15, 1
	s_delay_alu instid0(VALU_DEP_2) | instskip(NEXT) | instid1(VALU_DEP_3)
	v_bfi_b32 v75, v11, 0, 0
	v_bfi_b32 v74, v10, 0, v48
	v_lshrrev_b64 v[10:11], v46, v[48:49]
	s_delay_alu instid0(VALU_DEP_2) | instskip(NEXT) | instid1(VALU_DEP_2)
	v_cmp_eq_u64_e64 s10, v[74:75], v[14:15]
	v_mov_b64_e32 v[14:15], v[10:11]
	s_and_saveexec_b32 s29, s10
; %bb.1216:                             ;   in Loop: Header=BB2_710 Depth=2
	v_bfe_u32 v48, v10, 21, 1
	s_delay_alu instid0(VALU_DEP_1) | instskip(NEXT) | instid1(VALU_DEP_1)
	v_add_nc_u64_e32 v[14:15], v[10:11], v[48:49]
	v_add_nc_u64_e32 v[14:15], -1, v[14:15]
; %bb.1217:                             ;   in Loop: Header=BB2_710 Depth=2
	s_or_b32 exec_lo, exec_lo, s29
	v_add_nc_u32_e32 v11, 0xffffff81, v45
	v_lshrrev_b32_e32 v15, 23, v10
	s_mov_b32 s10, exec_lo
	s_delay_alu instid0(VALU_DEP_2) | instskip(NEXT) | instid1(VALU_DEP_1)
	v_cndmask_b32_e64 v11, v11, 0xffffff82, vcc_lo
	v_add3_u32 v15, v46, v11, v15
	v_and_b32_e32 v11, 0x1fffff, v14
                                        ; implicit-def: $vgpr14
	s_delay_alu instid0(VALU_DEP_1) | instskip(NEXT) | instid1(VALU_DEP_1)
	v_dual_add_nc_u32 v45, 14, v15 :: v_dual_add_nc_u32 v48, v11, v10
                                        ; implicit-def: $vgpr10_vgpr11
	v_cmpx_ne_u32_e32 0, v45
	s_xor_b32 s10, exec_lo, s10
; %bb.1218:                             ;   in Loop: Header=BB2_710 Depth=2
	s_delay_alu instid0(VALU_DEP_2) | instskip(SKIP_1) | instid1(VALU_DEP_1)
	v_cmp_lt_u64_e32 vcc_lo, 0xffffff, v[48:49]
	v_add_nc_u32_e32 v10, 15, v15
	v_cndmask_b32_e32 v14, v45, v10, vcc_lo
	v_cndmask_b32_e64 v10, 0, 1, vcc_lo
	s_delay_alu instid0(VALU_DEP_1)
	v_lshrrev_b64 v[10:11], v10, v[48:49]
; %bb.1219:                             ;   in Loop: Header=BB2_710 Depth=2
	s_and_not1_saveexec_b32 s10, s10
; %bb.1220:                             ;   in Loop: Header=BB2_710 Depth=2
	v_mov_b64_e32 v[10:11], v[48:49]
	v_bfe_u32 v14, v48, 23, 1
; %bb.1221:                             ;   in Loop: Header=BB2_710 Depth=2
	s_or_b32 exec_lo, exec_lo, s10
	s_delay_alu instid0(VALU_DEP_2) | instskip(NEXT) | instid1(VALU_DEP_2)
	v_lshrrev_b64 v[10:11], 21, v[10:11]
	v_cmp_gt_i32_e32 vcc_lo, 32, v14
	v_min_i32_e32 v15, 31, v14
	v_cmp_eq_u32_e64 s10, 0, v14
	s_delay_alu instid0(VALU_DEP_4) | instskip(NEXT) | instid1(VALU_DEP_3)
	v_cndmask_b32_e32 v11, 0, v11, vcc_lo
	v_dual_cndmask_b32 v10, 3, v10 :: v_dual_lshlrev_b32 v15, 2, v15
	s_delay_alu instid0(VALU_DEP_1) | instskip(NEXT) | instid1(VALU_DEP_2)
	v_and_b32_e32 v15, 0xfc, v15
	v_cmp_eq_u64_e32 vcc_lo, 0, v[10:11]
	s_delay_alu instid0(VALU_DEP_2)
	v_and_or_b32 v10, v10, 3, v15
	s_and_b32 s10, s10, vcc_lo
	s_delay_alu instid0(VALU_DEP_1) | instid1(SALU_CYCLE_1)
	v_cndmask_b32_e64 v10, v10, 0, s10
	s_delay_alu instid0(VALU_DEP_1)
	v_or_b32_e32 v14, v10, v44
.LBB2_1222:                             ;   in Loop: Header=BB2_710 Depth=2
	s_or_b32 exec_lo, exec_lo, s28
                                        ; implicit-def: $vgpr44
.LBB2_1223:                             ;   in Loop: Header=BB2_710 Depth=2
	s_and_not1_saveexec_b32 s10, s27
; %bb.1224:                             ;   in Loop: Header=BB2_710 Depth=2
	v_or_b32_e32 v14, 0x7b, v44
; %bb.1225:                             ;   in Loop: Header=BB2_710 Depth=2
	s_or_b32 exec_lo, exec_lo, s10
                                        ; implicit-def: $vgpr10
                                        ; implicit-def: $vgpr11
.LBB2_1226:                             ;   in Loop: Header=BB2_710 Depth=2
	s_and_not1_saveexec_b32 s10, s26
	s_cbranch_execz .LBB2_1232
; %bb.1227:                             ;   in Loop: Header=BB2_710 Depth=2
	s_mov_b32 s26, exec_lo
                                        ; implicit-def: $vgpr14
	v_cmpx_ne_u64_e32 0, v[48:49]
	s_xor_b32 s26, exec_lo, s26
; %bb.1228:                             ;   in Loop: Header=BB2_710 Depth=2
	v_or_b32_e32 v14, 0x7f, v11
                                        ; implicit-def: $vgpr10
; %bb.1229:                             ;   in Loop: Header=BB2_710 Depth=2
	s_and_not1_saveexec_b32 s26, s26
; %bb.1230:                             ;   in Loop: Header=BB2_710 Depth=2
	v_cmp_lt_i32_e32 vcc_lo, -1, v10
	v_cndmask_b32_e32 v14, 0xfc, v63, vcc_lo
; %bb.1231:                             ;   in Loop: Header=BB2_710 Depth=2
	s_or_b32 exec_lo, exec_lo, s26
.LBB2_1232:                             ;   in Loop: Header=BB2_710 Depth=2
	s_delay_alu instid0(SALU_CYCLE_1)
	s_or_b32 exec_lo, exec_lo, s10
	v_mov_b32_e32 v11, 0
	s_mov_b32 s10, exec_lo
	v_cmpx_lt_u64_e64 s[12:13], v[16:17]
	s_cbranch_execz .LBB2_1242
; %bb.1233:                             ;   in Loop: Header=BB2_710 Depth=2
	v_lshrrev_b32_e32 v10, 24, v17
	v_bfrev_b32_e32 v11, 1
	s_mov_b32 s26, exec_lo
	s_delay_alu instid0(VALU_DEP_2)
	v_cmpx_ne_u32_e32 0x80, v10
	s_cbranch_execz .LBB2_1241
; %bb.1234:                             ;   in Loop: Header=BB2_710 Depth=2
	v_and_b32_e32 v11, 0x7c000000, v17
	v_bfe_u32 v15, v17, 24, 2
	s_delay_alu instid0(VALU_DEP_2) | instskip(SKIP_1) | instid1(SALU_CYCLE_1)
	v_cmp_ne_u32_e32 vcc_lo, 0x7c000000, v11
                                        ; implicit-def: $vgpr11
	s_and_saveexec_b32 s27, vcc_lo
	s_xor_b32 s27, exec_lo, s27
	s_cbranch_execz .LBB2_1238
; %bb.1235:                             ;   in Loop: Header=BB2_710 Depth=2
	v_bfe_u32 v11, v17, 26, 5
	s_mov_b32 s28, exec_lo
	s_delay_alu instid0(VALU_DEP_1)
	v_cmpx_eq_u32_e32 0, v11
; %bb.1236:                             ;   in Loop: Header=BB2_710 Depth=2
	v_clz_i32_u32_e32 v11, v15
	s_delay_alu instid0(VALU_DEP_1) | instskip(NEXT) | instid1(VALU_DEP_1)
	v_min_u32_e32 v15, 32, v11
	v_subrev_nc_u32_e32 v11, 29, v15
	s_delay_alu instid0(VALU_DEP_1) | instskip(NEXT) | instid1(VALU_DEP_1)
	v_lshlrev_b64_e32 v[10:11], v11, v[10:11]
	v_dual_sub_nc_u32 v11, 30, v15 :: v_dual_bitop2_b32 v15, 3, v10 bitop3:0x40
; %bb.1237:                             ;   in Loop: Header=BB2_710 Depth=2
	s_or_b32 exec_lo, exec_lo, s28
	v_and_b32_e32 v10, 0x80000000, v17
                                        ; implicit-def: $vgpr16_vgpr17
	s_delay_alu instid0(VALU_DEP_1) | instskip(NEXT) | instid1(VALU_DEP_1)
	v_lshl_add_u32 v10, v11, 23, v10
	v_lshl_or_b32 v10, v15, 21, v10
                                        ; implicit-def: $vgpr15
	s_delay_alu instid0(VALU_DEP_1)
	v_add_nc_u32_e32 v11, 0x38000000, v10
.LBB2_1238:                             ;   in Loop: Header=BB2_710 Depth=2
	s_and_not1_saveexec_b32 s27, s27
; %bb.1239:                             ;   in Loop: Header=BB2_710 Depth=2
	v_cmp_lt_i64_e32 vcc_lo, -1, v[16:17]
	v_cndmask_b32_e32 v10, 0xff800000, v62, vcc_lo
	v_cmp_eq_u32_e32 vcc_lo, 0, v15
	s_delay_alu instid0(VALU_DEP_2)
	v_cndmask_b32_e32 v11, 0x7f800001, v10, vcc_lo
; %bb.1240:                             ;   in Loop: Header=BB2_710 Depth=2
	s_or_b32 exec_lo, exec_lo, s27
.LBB2_1241:                             ;   in Loop: Header=BB2_710 Depth=2
	s_delay_alu instid0(SALU_CYCLE_1)
	s_or_b32 exec_lo, exec_lo, s26
.LBB2_1242:                             ;   in Loop: Header=BB2_710 Depth=2
	s_delay_alu instid0(SALU_CYCLE_1) | instskip(SKIP_2) | instid1(VALU_DEP_2)
	s_or_b32 exec_lo, exec_lo, s10
	v_bfe_u32 v15, v13, 24, 2
	v_bfe_u32 v44, v13, 26, 5
	v_clz_i32_u32_e32 v10, v15
	s_delay_alu instid0(VALU_DEP_2) | instskip(NEXT) | instid1(VALU_DEP_2)
	v_cmp_eq_u32_e32 vcc_lo, 0, v44
	v_min_u32_e32 v48, 32, v10
	v_lshrrev_b32_e32 v10, 24, v13
	s_delay_alu instid0(VALU_DEP_2) | instskip(NEXT) | instid1(VALU_DEP_1)
	v_subrev_nc_u32_e32 v16, 29, v48
	v_lshlrev_b64_e32 v[16:17], v16, v[10:11]
	v_sub_nc_u32_e32 v17, 30, v48
	v_and_b32_e32 v48, 0x80000000, v13
	s_delay_alu instid0(VALU_DEP_2) | instskip(NEXT) | instid1(VALU_DEP_1)
	v_dual_cndmask_b32 v17, v44, v17, vcc_lo :: v_dual_bitop2_b32 v16, 3, v16 bitop3:0x40
	v_lshl_add_u32 v17, v17, 23, v48
	s_delay_alu instid0(VALU_DEP_2) | instskip(SKIP_1) | instid1(VALU_DEP_2)
	v_cndmask_b32_e32 v16, v15, v16, vcc_lo
	v_cmp_lt_i64_e32 vcc_lo, -1, v[12:13]
	v_lshl_or_b32 v16, v16, 21, v17
	v_and_b32_e32 v17, 0x7c000000, v13
	v_cndmask_b32_e32 v48, 0xff800000, v62, vcc_lo
	v_cmp_eq_u32_e32 vcc_lo, 0, v15
	s_delay_alu instid0(VALU_DEP_4) | instskip(NEXT) | instid1(VALU_DEP_3)
	v_add_nc_u32_e32 v16, 0x38000000, v16
	v_cndmask_b32_e32 v15, 0x7f800001, v48, vcc_lo
	v_cmp_eq_u32_e32 vcc_lo, 0x7c000000, v17
	s_delay_alu instid0(VALU_DEP_2) | instskip(SKIP_1) | instid1(VALU_DEP_2)
	v_cndmask_b32_e32 v15, v16, v15, vcc_lo
	v_cmp_ne_u32_e32 vcc_lo, 0x80, v10
	v_cndmask_b32_e32 v10, 0x80000000, v15, vcc_lo
	v_cmp_lt_u64_e32 vcc_lo, s[12:13], v[12:13]
	s_delay_alu instid0(VALU_DEP_2) | instskip(NEXT) | instid1(VALU_DEP_1)
	v_dual_mov_b32 v13, v49 :: v_dual_cndmask_b32 v10, 0, v10
	v_mul_f32_e32 v11, v10, v11
                                        ; implicit-def: $vgpr10
	s_delay_alu instid0(VALU_DEP_1) | instskip(SKIP_1) | instid1(VALU_DEP_2)
	v_and_b32_e32 v12, 0x7f800000, v11
	v_and_b32_e32 v48, 0x7fffff, v11
	v_cmp_ne_u64_e32 vcc_lo, 0x7f800000, v[12:13]
	v_lshrrev_b32_e32 v12, 24, v11
	s_and_saveexec_b32 s10, vcc_lo
	s_delay_alu instid0(SALU_CYCLE_1)
	s_xor_b32 s26, exec_lo, s10
	s_cbranch_execz .LBB2_1256
; %bb.1243:                             ;   in Loop: Header=BB2_710 Depth=2
	v_and_b32_e32 v16, 0x7fffffff, v11
	v_mov_b32_e32 v17, v49
	v_and_b32_e32 v15, 0x80, v12
                                        ; implicit-def: $vgpr10
	s_mov_b32 s10, exec_lo
	s_delay_alu instid0(VALU_DEP_2)
	v_cmpx_gt_u64_e32 0x47600001, v[16:17]
	s_xor_b32 s27, exec_lo, s10
	s_cbranch_execz .LBB2_1253
; %bb.1244:                             ;   in Loop: Header=BB2_710 Depth=2
	v_mov_b32_e32 v10, 0
	s_mov_b32 s28, exec_lo
	v_cmpx_ne_u32_e32 0, v11
	s_cbranch_execz .LBB2_1252
; %bb.1245:                             ;   in Loop: Header=BB2_710 Depth=2
	v_bfe_u32 v16, v11, 23, 8
	v_or_b32_e32 v12, 0x800000, v48
	s_delay_alu instid0(VALU_DEP_2) | instskip(SKIP_1) | instid1(VALU_DEP_2)
	v_sub_nc_u32_e32 v10, 0x71, v16
	v_cmp_gt_u32_e32 vcc_lo, 0x72, v16
	v_cndmask_b32_e32 v10, 0, v10, vcc_lo
	v_cmp_eq_u32_e32 vcc_lo, 0, v16
	s_delay_alu instid0(VALU_DEP_2) | instskip(NEXT) | instid1(VALU_DEP_1)
	v_cndmask_b32_e64 v17, v10, 0x70, vcc_lo
	v_dual_cndmask_b32 v48, v12, v48, vcc_lo :: v_dual_add_nc_u32 v10, 21, v17
	v_add_nc_u32_e32 v13, 20, v17
	s_delay_alu instid0(VALU_DEP_2) | instskip(NEXT) | instid1(VALU_DEP_2)
	v_lshlrev_b64_e64 v[10:11], v10, -1
	v_lshlrev_b64_e64 v[12:13], v13, 1
	s_delay_alu instid0(VALU_DEP_2) | instskip(NEXT) | instid1(VALU_DEP_3)
	v_bfi_b32 v45, v11, 0, 0
	v_bfi_b32 v44, v10, 0, v48
	v_lshrrev_b64 v[10:11], v17, v[48:49]
	s_delay_alu instid0(VALU_DEP_2) | instskip(NEXT) | instid1(VALU_DEP_2)
	v_cmp_eq_u64_e64 s10, v[44:45], v[12:13]
	v_mov_b64_e32 v[12:13], v[10:11]
	s_and_saveexec_b32 s29, s10
; %bb.1246:                             ;   in Loop: Header=BB2_710 Depth=2
	v_bfe_u32 v48, v10, 21, 1
	s_delay_alu instid0(VALU_DEP_1) | instskip(NEXT) | instid1(VALU_DEP_1)
	v_add_nc_u64_e32 v[12:13], v[10:11], v[48:49]
	v_add_nc_u64_e32 v[12:13], -1, v[12:13]
; %bb.1247:                             ;   in Loop: Header=BB2_710 Depth=2
	s_or_b32 exec_lo, exec_lo, s29
	v_add_nc_u32_e32 v11, 0xffffff81, v16
	v_lshrrev_b32_e32 v13, 23, v10
	s_mov_b32 s10, exec_lo
	s_delay_alu instid0(VALU_DEP_2) | instskip(NEXT) | instid1(VALU_DEP_1)
	v_cndmask_b32_e64 v11, v11, 0xffffff82, vcc_lo
	v_add3_u32 v13, v17, v11, v13
	v_and_b32_e32 v11, 0x1fffff, v12
                                        ; implicit-def: $vgpr12
	s_delay_alu instid0(VALU_DEP_1) | instskip(NEXT) | instid1(VALU_DEP_1)
	v_dual_add_nc_u32 v16, 14, v13 :: v_dual_add_nc_u32 v48, v11, v10
                                        ; implicit-def: $vgpr10_vgpr11
	v_cmpx_ne_u32_e32 0, v16
	s_xor_b32 s10, exec_lo, s10
; %bb.1248:                             ;   in Loop: Header=BB2_710 Depth=2
	s_delay_alu instid0(VALU_DEP_2) | instskip(SKIP_1) | instid1(VALU_DEP_1)
	v_cmp_lt_u64_e32 vcc_lo, 0xffffff, v[48:49]
	v_add_nc_u32_e32 v10, 15, v13
	v_cndmask_b32_e32 v12, v16, v10, vcc_lo
	v_cndmask_b32_e64 v10, 0, 1, vcc_lo
	s_delay_alu instid0(VALU_DEP_1)
	v_lshrrev_b64 v[10:11], v10, v[48:49]
; %bb.1249:                             ;   in Loop: Header=BB2_710 Depth=2
	s_and_not1_saveexec_b32 s10, s10
; %bb.1250:                             ;   in Loop: Header=BB2_710 Depth=2
	v_mov_b64_e32 v[10:11], v[48:49]
	v_bfe_u32 v12, v48, 23, 1
; %bb.1251:                             ;   in Loop: Header=BB2_710 Depth=2
	s_or_b32 exec_lo, exec_lo, s10
	s_delay_alu instid0(VALU_DEP_2) | instskip(NEXT) | instid1(VALU_DEP_2)
	v_lshrrev_b64 v[10:11], 21, v[10:11]
	v_cmp_gt_i32_e32 vcc_lo, 32, v12
	v_min_i32_e32 v13, 31, v12
	v_cmp_eq_u32_e64 s10, 0, v12
	s_delay_alu instid0(VALU_DEP_2) | instskip(SKIP_1) | instid1(VALU_DEP_2)
	v_dual_cndmask_b32 v11, 0, v11, vcc_lo :: v_dual_lshlrev_b32 v13, 2, v13
	v_cndmask_b32_e32 v10, 3, v10, vcc_lo
	v_and_b32_e32 v13, 0xfc, v13
	s_delay_alu instid0(VALU_DEP_2) | instskip(NEXT) | instid1(VALU_DEP_2)
	v_cmp_eq_u64_e32 vcc_lo, 0, v[10:11]
	v_and_or_b32 v10, v10, 3, v13
	s_and_b32 s10, s10, vcc_lo
	s_delay_alu instid0(VALU_DEP_1) | instid1(SALU_CYCLE_1)
	v_cndmask_b32_e64 v10, v10, 0, s10
	s_delay_alu instid0(VALU_DEP_1)
	v_or_b32_e32 v10, v10, v15
.LBB2_1252:                             ;   in Loop: Header=BB2_710 Depth=2
	s_or_b32 exec_lo, exec_lo, s28
                                        ; implicit-def: $vgpr15
.LBB2_1253:                             ;   in Loop: Header=BB2_710 Depth=2
	s_and_not1_saveexec_b32 s10, s27
; %bb.1254:                             ;   in Loop: Header=BB2_710 Depth=2
	v_or_b32_e32 v10, 0x7b, v15
; %bb.1255:                             ;   in Loop: Header=BB2_710 Depth=2
	s_or_b32 exec_lo, exec_lo, s10
                                        ; implicit-def: $vgpr11
                                        ; implicit-def: $vgpr12
.LBB2_1256:                             ;   in Loop: Header=BB2_710 Depth=2
	s_and_not1_saveexec_b32 s10, s26
	s_cbranch_execz .LBB2_709
; %bb.1257:                             ;   in Loop: Header=BB2_710 Depth=2
	s_mov_b32 s26, exec_lo
                                        ; implicit-def: $vgpr10
	v_cmpx_ne_u64_e32 0, v[48:49]
	s_xor_b32 s26, exec_lo, s26
; %bb.1258:                             ;   in Loop: Header=BB2_710 Depth=2
	v_or_b32_e32 v10, 0x7f, v12
                                        ; implicit-def: $vgpr11
; %bb.1259:                             ;   in Loop: Header=BB2_710 Depth=2
	s_and_not1_saveexec_b32 s26, s26
	s_cbranch_execz .LBB2_708
; %bb.1260:                             ;   in Loop: Header=BB2_710 Depth=2
	v_cmp_lt_i32_e32 vcc_lo, -1, v11
	v_cndmask_b32_e32 v10, 0xfc, v63, vcc_lo
	s_branch .LBB2_708
.LBB2_1261:                             ;   in Loop: Header=BB2_710 Depth=2
	s_or_saveexec_b32 s10, s10
	v_bfrev_b32_e32 v48, 1
	s_xor_b32 exec_lo, exec_lo, s10
	s_cbranch_execz .LBB2_724
.LBB2_1262:                             ;   in Loop: Header=BB2_710 Depth=2
	v_cmp_ne_u16_e32 vcc_lo, 0, v100
	v_mov_b32_e32 v48, 0
	s_and_not1_b32 s26, s26, exec_lo
	s_and_b32 s27, vcc_lo, exec_lo
	s_delay_alu instid0(SALU_CYCLE_1)
	s_or_b32 s26, s26, s27
	s_or_b32 exec_lo, exec_lo, s10
	s_and_saveexec_b32 s10, s26
	s_cbranch_execnz .LBB2_725
	s_branch .LBB2_726
.LBB2_1263:                             ;   in Loop: Header=BB2_710 Depth=2
	s_or_saveexec_b32 s10, s10
	v_bfrev_b32_e32 v100, 1
	s_xor_b32 exec_lo, exec_lo, s10
	s_cbranch_execz .LBB2_760
.LBB2_1264:                             ;   in Loop: Header=BB2_710 Depth=2
	v_cmp_ne_u16_e32 vcc_lo, 0, v48
	v_mov_b32_e32 v100, 0
	s_and_not1_b32 s26, s26, exec_lo
	s_and_b32 s27, vcc_lo, exec_lo
	s_delay_alu instid0(SALU_CYCLE_1)
	s_or_b32 s26, s26, s27
	s_or_b32 exec_lo, exec_lo, s10
	s_and_saveexec_b32 s10, s26
	s_cbranch_execnz .LBB2_761
	s_branch .LBB2_762
.LBB2_1265:                             ;   in Loop: Header=BB2_710 Depth=2
	s_or_saveexec_b32 s10, s10
	v_bfrev_b32_e32 v100, 1
	s_xor_b32 exec_lo, exec_lo, s10
	s_cbranch_execz .LBB2_796
.LBB2_1266:                             ;   in Loop: Header=BB2_710 Depth=2
	v_cmp_ne_u16_e32 vcc_lo, 0, v101
	v_mov_b32_e32 v100, 0
	s_and_not1_b32 s26, s26, exec_lo
	s_and_b32 s27, vcc_lo, exec_lo
	s_delay_alu instid0(SALU_CYCLE_1)
	s_or_b32 s26, s26, s27
	s_or_b32 exec_lo, exec_lo, s10
	s_and_saveexec_b32 s10, s26
	s_cbranch_execnz .LBB2_797
	s_branch .LBB2_798
.LBB2_1267:                             ;   in Loop: Header=BB2_710 Depth=2
	s_or_saveexec_b32 s10, s10
	v_bfrev_b32_e32 v102, 1
	s_xor_b32 exec_lo, exec_lo, s10
	s_cbranch_execz .LBB2_862
.LBB2_1268:                             ;   in Loop: Header=BB2_710 Depth=2
	v_cmp_ne_u16_e32 vcc_lo, 0, v101
	v_mov_b32_e32 v102, 0
	s_and_not1_b32 s26, s26, exec_lo
	s_and_b32 s27, vcc_lo, exec_lo
	s_delay_alu instid0(SALU_CYCLE_1)
	s_or_b32 s26, s26, s27
	s_or_b32 exec_lo, exec_lo, s10
	v_mov_b32_e32 v101, v49
	s_and_saveexec_b32 s10, s26
	s_cbranch_execnz .LBB2_863
	s_branch .LBB2_864
.LBB2_1269:                             ;   in Loop: Header=BB2_710 Depth=2
	s_or_saveexec_b32 s10, s10
	v_bfrev_b32_e32 v101, 1
	s_xor_b32 exec_lo, exec_lo, s10
	s_cbranch_execz .LBB2_898
.LBB2_1270:                             ;   in Loop: Header=BB2_710 Depth=2
	v_cmp_ne_u16_e32 vcc_lo, 0, v48
	v_mov_b32_e32 v101, 0
	s_and_not1_b32 s26, s26, exec_lo
	s_and_b32 s27, vcc_lo, exec_lo
	s_delay_alu instid0(SALU_CYCLE_1)
	s_or_b32 s26, s26, s27
	s_or_b32 exec_lo, exec_lo, s10
	s_and_saveexec_b32 s10, s26
	s_cbranch_execnz .LBB2_899
	s_branch .LBB2_900
.LBB2_1271:                             ;   in Loop: Header=BB2_710 Depth=2
	s_or_saveexec_b32 s10, s10
	v_bfrev_b32_e32 v100, 1
	s_xor_b32 exec_lo, exec_lo, s10
	s_cbranch_execz .LBB2_934
.LBB2_1272:                             ;   in Loop: Header=BB2_710 Depth=2
	v_cmp_ne_u16_e32 vcc_lo, 0, v101
	v_mov_b32_e32 v100, 0
	s_and_not1_b32 s26, s26, exec_lo
	s_and_b32 s27, vcc_lo, exec_lo
	s_delay_alu instid0(SALU_CYCLE_1)
	s_or_b32 s26, s26, s27
	s_or_b32 exec_lo, exec_lo, s10
	s_and_saveexec_b32 s10, s26
	s_cbranch_execnz .LBB2_935
	s_branch .LBB2_936
.LBB2_1273:                             ;   in Loop: Header=BB2_710 Depth=2
	s_or_saveexec_b32 s10, s10
	v_bfrev_b32_e32 v11, 1
	s_xor_b32 exec_lo, exec_lo, s10
	s_cbranch_execz .LBB2_1000
.LBB2_1274:                             ;   in Loop: Header=BB2_710 Depth=2
	v_cmp_ne_u16_e32 vcc_lo, 0, v14
	v_mov_b32_e32 v11, 0
	s_and_not1_b32 s26, s26, exec_lo
	s_and_b32 s27, vcc_lo, exec_lo
	s_delay_alu instid0(SALU_CYCLE_1)
	s_or_b32 s26, s26, s27
	s_or_b32 exec_lo, exec_lo, s10
	s_and_saveexec_b32 s10, s26
	s_cbranch_execnz .LBB2_1001
	s_branch .LBB2_1002
.LBB2_1275:                             ;   in Loop: Header=BB2_710 Depth=2
	s_or_saveexec_b32 s10, s10
	v_bfrev_b32_e32 v11, 1
	s_xor_b32 exec_lo, exec_lo, s10
	s_cbranch_execz .LBB2_1036
.LBB2_1276:                             ;   in Loop: Header=BB2_710 Depth=2
	v_cmp_ne_u16_e32 vcc_lo, 0, v48
	v_mov_b32_e32 v11, 0
	s_and_not1_b32 s26, s26, exec_lo
	s_and_b32 s27, vcc_lo, exec_lo
	s_delay_alu instid0(SALU_CYCLE_1)
	s_or_b32 s26, s26, s27
	s_or_b32 exec_lo, exec_lo, s10
	s_and_saveexec_b32 s10, s26
	s_cbranch_execnz .LBB2_1037
	s_branch .LBB2_1038
.LBB2_1277:                             ;   in Loop: Header=BB2_710 Depth=2
	s_or_saveexec_b32 s10, s10
	v_bfrev_b32_e32 v14, 1
	s_xor_b32 exec_lo, exec_lo, s10
	s_cbranch_execz .LBB2_1072
.LBB2_1278:                             ;   in Loop: Header=BB2_710 Depth=2
	v_cmp_ne_u16_e32 vcc_lo, 0, v15
	v_mov_b32_e32 v14, 0
	s_and_not1_b32 s26, s26, exec_lo
	s_and_b32 s27, vcc_lo, exec_lo
	s_delay_alu instid0(SALU_CYCLE_1)
	s_or_b32 s26, s26, s27
	s_or_b32 exec_lo, exec_lo, s10
	s_and_saveexec_b32 s10, s26
	s_cbranch_execnz .LBB2_1073
	s_branch .LBB2_1074
.LBB2_1279:                             ;   in Loop: Header=BB2_710 Depth=2
	s_or_saveexec_b32 s10, s10
	v_bfrev_b32_e32 v15, 1
	s_xor_b32 exec_lo, exec_lo, s10
	s_cbranch_execz .LBB2_1138
.LBB2_1280:                             ;   in Loop: Header=BB2_710 Depth=2
	v_cmp_ne_u16_e32 vcc_lo, 0, v11
	v_mov_b32_e32 v15, 0
	s_and_not1_b32 s26, s26, exec_lo
	s_and_b32 s27, vcc_lo, exec_lo
	s_delay_alu instid0(SALU_CYCLE_1)
	s_or_b32 s26, s26, s27
	s_or_b32 exec_lo, exec_lo, s10
	v_mov_b32_e32 v11, v49
	s_and_saveexec_b32 s10, s26
	s_cbranch_execnz .LBB2_1139
	s_branch .LBB2_1140
.LBB2_1281:                             ;   in Loop: Header=BB2_710 Depth=2
	s_or_saveexec_b32 s10, s10
	v_bfrev_b32_e32 v14, 1
	s_xor_b32 exec_lo, exec_lo, s10
	s_cbranch_execz .LBB2_1174
.LBB2_1282:                             ;   in Loop: Header=BB2_710 Depth=2
	v_cmp_ne_u16_e32 vcc_lo, 0, v48
	v_mov_b32_e32 v14, 0
	s_and_not1_b32 s26, s26, exec_lo
	s_and_b32 s27, vcc_lo, exec_lo
	s_delay_alu instid0(SALU_CYCLE_1)
	s_or_b32 s26, s26, s27
	s_or_b32 exec_lo, exec_lo, s10
	s_and_saveexec_b32 s10, s26
	s_cbranch_execnz .LBB2_1175
	s_branch .LBB2_1176
.LBB2_1283:                             ;   in Loop: Header=BB2_710 Depth=2
	s_or_saveexec_b32 s10, s10
	v_bfrev_b32_e32 v14, 1
	s_xor_b32 exec_lo, exec_lo, s10
	s_cbranch_execz .LBB2_1210
.LBB2_1284:                             ;   in Loop: Header=BB2_710 Depth=2
	v_cmp_ne_u16_e32 vcc_lo, 0, v15
	v_mov_b32_e32 v14, 0
	s_and_not1_b32 s26, s26, exec_lo
	s_and_b32 s27, vcc_lo, exec_lo
	s_delay_alu instid0(SALU_CYCLE_1)
	s_or_b32 s26, s26, s27
	s_or_b32 exec_lo, exec_lo, s10
	s_and_saveexec_b32 s10, s26
	s_cbranch_execnz .LBB2_1211
	s_branch .LBB2_1212
.LBB2_1285:                             ;   in Loop: Header=BB2_49 Depth=1
	s_or_b32 exec_lo, exec_lo, s25
.LBB2_1286:                             ;   in Loop: Header=BB2_49 Depth=1
	s_delay_alu instid0(SALU_CYCLE_1) | instskip(SKIP_3) | instid1(VALU_DEP_1)
	s_or_b32 exec_lo, exec_lo, s24
	v_cmp_lt_i32_e32 vcc_lo, 0, v115
	s_mov_b32 s24, exec_lo
	v_cndmask_b32_e32 v10, 0, v38, vcc_lo
	v_sub_nc_u32_e32 v10, v10, v115
	s_delay_alu instid0(VALU_DEP_1)
	v_lshl_add_u32 v30, v10, 5, v114
.LBB2_1287:                             ;   in Loop: Header=BB2_49 Depth=1
	s_or_b32 exec_lo, exec_lo, s11
	s_and_saveexec_b32 s11, s24
	s_cbranch_execz .LBB2_1692
.LBB2_1288:                             ;   in Loop: Header=BB2_49 Depth=1
	s_delay_alu instid0(VALU_DEP_1) | instskip(SKIP_1) | instid1(VALU_DEP_1)
	v_dual_ashrrev_i32 v10, 31, v30 :: v_dual_lshrrev_b32 v11, 8, v72
	s_mov_b32 s24, exec_lo
	v_lshrrev_b32_e32 v10, 27, v10
	s_delay_alu instid0(VALU_DEP_1) | instskip(NEXT) | instid1(VALU_DEP_1)
	v_add_nc_u32_e32 v10, v30, v10
	v_ashrrev_i32_e32 v73, 5, v10
	s_delay_alu instid0(VALU_DEP_1) | instskip(NEXT) | instid1(VALU_DEP_1)
	v_sub_nc_u32_e32 v74, v11, v73
	v_cmpx_lt_i32_e32 0, v74
	s_cbranch_execz .LBB2_1644
; %bb.1289:                             ;   in Loop: Header=BB2_49 Depth=1
	v_and_b32_e32 v10, 0xffffffe0, v10
	s_trap 2
	ds_load_b64 v[12:13], v0
	v_lshlrev_b32_e32 v11, 8, v73
	v_add_nc_u64_e32 v[16:17], 0xe0, v[84:85]
	v_sub_nc_u32_e32 v10, v30, v10
	s_mov_b32 s25, 0
	s_delay_alu instid0(VALU_DEP_1) | instskip(NEXT) | instid1(VALU_DEP_1)
	v_add3_u32 v14, v81, v10, v11
	v_ashrrev_i32_e32 v15, 31, v14
	s_delay_alu instid0(VALU_DEP_1)
	v_add_nc_u64_e32 v[10:11], v[14:15], v[82:83]
	s_wait_dscnt 0x0
	v_add_nc_u64_e32 v[12:13], v[12:13], v[14:15]
	v_add_nc_u64_e32 v[14:15], v[16:17], v[14:15]
	s_branch .LBB2_1292
.LBB2_1290:                             ;   in Loop: Header=BB2_1292 Depth=2
	s_or_b32 exec_lo, exec_lo, s26
.LBB2_1291:                             ;   in Loop: Header=BB2_1292 Depth=2
	s_delay_alu instid0(SALU_CYCLE_1)
	s_or_b32 exec_lo, exec_lo, s10
	v_sub_nc_u32_e32 v74, v74, v38
	s_clause 0x7
	flat_store_b8 v[14:15], v45 offset:-224 th:TH_STORE_NT
	flat_store_b8 v[14:15], v41 offset:-192 th:TH_STORE_NT
	;; [unrolled: 1-line block ×7, first 2 shown]
	flat_store_b8 v[14:15], v17 th:TH_STORE_NT
	v_add_nc_u64_e32 v[10:11], v[10:11], v[54:55]
	v_add_nc_u64_e32 v[12:13], v[12:13], v[54:55]
	s_wait_xcnt 0x0
	v_add_nc_u64_e32 v[14:15], v[14:15], v[54:55]
	v_cmp_gt_i32_e32 vcc_lo, 1, v74
	s_or_b32 s25, vcc_lo, s25
	s_delay_alu instid0(SALU_CYCLE_1)
	s_and_not1_b32 exec_lo, exec_lo, s25
	s_cbranch_execz .LBB2_1643
.LBB2_1292:                             ;   Parent Loop BB2_49 Depth=1
                                        ; =>  This Inner Loop Header: Depth=2
	s_clause 0x7
	flat_load_i8 v48, v[10:11] th:TH_LOAD_NT
	flat_load_i8 v42, v[10:11] offset:32 th:TH_LOAD_NT
	flat_load_i8 v118, v[10:11] offset:64 th:TH_LOAD_NT
	;; [unrolled: 1-line block ×7, first 2 shown]
	s_clause 0x7
	flat_load_i8 v44, v[12:13] th:TH_LOAD_NT
	flat_load_i8 v40, v[12:13] offset:32 th:TH_LOAD_NT
	flat_load_i8 v116, v[12:13] offset:64 th:TH_LOAD_NT
	;; [unrolled: 1-line block ×7, first 2 shown]
	v_dual_mov_b32 v17, 0 :: v_dual_mov_b32 v83, 0
	s_mov_b32 s10, exec_lo
	s_wait_loadcnt_dscnt 0xf0f
	s_wait_xcnt 0x0
	v_cmpx_ne_u16_e32 0, v48
	s_cbranch_execz .LBB2_1302
; %bb.1293:                             ;   in Loop: Header=BB2_1292 Depth=2
	v_bfrev_b32_e32 v83, 1
	s_mov_b32 s26, exec_lo
	v_cmpx_ne_u16_e32 0xff80, v48
	s_cbranch_execz .LBB2_1301
; %bb.1294:                             ;   in Loop: Header=BB2_1292 Depth=2
	v_and_b32_e32 v83, 0x7c, v48
	v_and_b32_e32 v85, 3, v48
	s_delay_alu instid0(VALU_DEP_2) | instskip(SKIP_1) | instid1(SALU_CYCLE_1)
	v_cmp_ne_u32_e32 vcc_lo, 0x7c, v83
                                        ; implicit-def: $vgpr83
	s_and_saveexec_b32 s27, vcc_lo
	s_xor_b32 s27, exec_lo, s27
	s_cbranch_execz .LBB2_1298
; %bb.1295:                             ;   in Loop: Header=BB2_1292 Depth=2
	v_and_b32_e32 v83, 0xff, v48
	s_mov_b32 s28, exec_lo
	s_delay_alu instid0(VALU_DEP_1) | instskip(NEXT) | instid1(VALU_DEP_1)
	v_bfe_u32 v83, v83, 2, 5
	v_cmpx_eq_u32_e32 0, v83
; %bb.1296:                             ;   in Loop: Header=BB2_1292 Depth=2
	v_clz_i32_u32_e32 v83, v85
	s_delay_alu instid0(VALU_DEP_1) | instskip(NEXT) | instid1(VALU_DEP_1)
	v_min_u32_e32 v83, 32, v83
	v_subrev_nc_u32_e32 v85, 29, v83
	s_delay_alu instid0(VALU_DEP_1) | instskip(NEXT) | instid1(VALU_DEP_1)
	v_lshlrev_b64_e32 v[46:47], v85, v[48:49]
	v_dual_sub_nc_u32 v83, 30, v83 :: v_dual_bitop2_b32 v85, 3, v46 bitop3:0x40
; %bb.1297:                             ;   in Loop: Header=BB2_1292 Depth=2
	s_or_b32 exec_lo, exec_lo, s28
	v_bfe_i32 v48, v48, 0, 16
	s_delay_alu instid0(VALU_DEP_1) | instskip(NEXT) | instid1(VALU_DEP_1)
	v_and_b32_e32 v48, 0x80000000, v48
	v_lshl_add_u32 v48, v83, 23, v48
	s_delay_alu instid0(VALU_DEP_1) | instskip(NEXT) | instid1(VALU_DEP_1)
	v_lshl_or_b32 v48, v85, 21, v48
                                        ; implicit-def: $vgpr85
	v_add_nc_u32_e32 v83, 0x38000000, v48
.LBB2_1298:                             ;   in Loop: Header=BB2_1292 Depth=2
	s_and_not1_saveexec_b32 s27, s27
; %bb.1299:                             ;   in Loop: Header=BB2_1292 Depth=2
	v_cmp_lt_i16_e32 vcc_lo, -1, v48
	v_cndmask_b32_e32 v48, 0xff800000, v62, vcc_lo
	v_cmp_eq_u32_e32 vcc_lo, 0, v85
	s_delay_alu instid0(VALU_DEP_2)
	v_cndmask_b32_e32 v83, 0x7f800001, v48, vcc_lo
; %bb.1300:                             ;   in Loop: Header=BB2_1292 Depth=2
	s_or_b32 exec_lo, exec_lo, s27
.LBB2_1301:                             ;   in Loop: Header=BB2_1292 Depth=2
	s_delay_alu instid0(SALU_CYCLE_1)
	s_or_b32 exec_lo, exec_lo, s26
.LBB2_1302:                             ;   in Loop: Header=BB2_1292 Depth=2
	s_delay_alu instid0(SALU_CYCLE_1) | instskip(NEXT) | instid1(SALU_CYCLE_1)
	s_or_b32 exec_lo, exec_lo, s10
	s_mov_b32 s10, exec_lo
	s_wait_loadcnt_dscnt 0x707
	v_cmpx_ne_u16_e32 0, v44
	s_cbranch_execz .LBB2_1312
; %bb.1303:                             ;   in Loop: Header=BB2_1292 Depth=2
	v_bfrev_b32_e32 v17, 1
	s_mov_b32 s26, exec_lo
	v_cmpx_ne_u16_e32 0xff80, v44
	s_cbranch_execz .LBB2_1311
; %bb.1304:                             ;   in Loop: Header=BB2_1292 Depth=2
	v_and_b32_e32 v17, 0x7c, v44
	v_and_b32_e32 v48, 3, v44
	s_delay_alu instid0(VALU_DEP_2) | instskip(SKIP_1) | instid1(SALU_CYCLE_1)
	v_cmp_ne_u32_e32 vcc_lo, 0x7c, v17
                                        ; implicit-def: $vgpr17
	s_and_saveexec_b32 s27, vcc_lo
	s_xor_b32 s27, exec_lo, s27
	s_cbranch_execz .LBB2_1308
; %bb.1305:                             ;   in Loop: Header=BB2_1292 Depth=2
	v_and_b32_e32 v17, 0xff, v44
	s_mov_b32 s28, exec_lo
	s_delay_alu instid0(VALU_DEP_1) | instskip(NEXT) | instid1(VALU_DEP_1)
	v_bfe_u32 v17, v17, 2, 5
	v_cmpx_eq_u32_e32 0, v17
	s_cbranch_execz .LBB2_1307
; %bb.1306:                             ;   in Loop: Header=BB2_1292 Depth=2
	v_clz_i32_u32_e32 v17, v48
	s_delay_alu instid0(VALU_DEP_1) | instskip(SKIP_1) | instid1(VALU_DEP_2)
	v_min_u32_e32 v17, 32, v17
	v_mov_b32_e32 v45, v49
	v_subrev_nc_u32_e32 v48, 29, v17
	v_sub_nc_u32_e32 v17, 30, v17
	s_delay_alu instid0(VALU_DEP_2) | instskip(NEXT) | instid1(VALU_DEP_1)
	v_lshlrev_b64_e32 v[46:47], v48, v[44:45]
	v_and_b32_e32 v48, 3, v46
.LBB2_1307:                             ;   in Loop: Header=BB2_1292 Depth=2
	s_or_b32 exec_lo, exec_lo, s28
	v_bfe_i32 v85, v44, 0, 16
                                        ; implicit-def: $vgpr44
	s_delay_alu instid0(VALU_DEP_1) | instskip(NEXT) | instid1(VALU_DEP_1)
	v_and_b32_e32 v85, 0x80000000, v85
	v_lshl_add_u32 v17, v17, 23, v85
	s_delay_alu instid0(VALU_DEP_1) | instskip(NEXT) | instid1(VALU_DEP_1)
	v_lshl_or_b32 v17, v48, 21, v17
                                        ; implicit-def: $vgpr48
	v_add_nc_u32_e32 v17, 0x38000000, v17
.LBB2_1308:                             ;   in Loop: Header=BB2_1292 Depth=2
	s_and_not1_saveexec_b32 s27, s27
; %bb.1309:                             ;   in Loop: Header=BB2_1292 Depth=2
	v_cmp_lt_i16_e32 vcc_lo, -1, v44
	v_cndmask_b32_e32 v17, 0xff800000, v62, vcc_lo
	v_cmp_eq_u32_e32 vcc_lo, 0, v48
	s_delay_alu instid0(VALU_DEP_2)
	v_cndmask_b32_e32 v17, 0x7f800001, v17, vcc_lo
; %bb.1310:                             ;   in Loop: Header=BB2_1292 Depth=2
	s_or_b32 exec_lo, exec_lo, s27
.LBB2_1311:                             ;   in Loop: Header=BB2_1292 Depth=2
	s_delay_alu instid0(SALU_CYCLE_1)
	s_or_b32 exec_lo, exec_lo, s26
.LBB2_1312:                             ;   in Loop: Header=BB2_1292 Depth=2
	s_delay_alu instid0(SALU_CYCLE_1) | instskip(NEXT) | instid1(VALU_DEP_1)
	s_or_b32 exec_lo, exec_lo, s10
	v_dual_mul_f32 v83, v83, v17 :: v_dual_mov_b32 v45, v49
	s_delay_alu instid0(VALU_DEP_1) | instskip(SKIP_1) | instid1(VALU_DEP_2)
	v_and_b32_e32 v44, 0x7f800000, v83
	v_and_b32_e32 v48, 0x7fffff, v83
	v_cmp_ne_u64_e32 vcc_lo, 0x7f800000, v[44:45]
                                        ; implicit-def: $vgpr45
	s_and_saveexec_b32 s10, vcc_lo
	s_delay_alu instid0(SALU_CYCLE_1)
	s_xor_b32 s26, exec_lo, s10
	s_cbranch_execz .LBB2_1330
; %bb.1313:                             ;   in Loop: Header=BB2_1292 Depth=2
	v_and_b32_e32 v44, 0x7fffffff, v83
	v_dual_mov_b32 v45, v49 :: v_dual_lshrrev_b32 v17, 24, v83
	s_delay_alu instid0(VALU_DEP_1) | instskip(NEXT) | instid1(VALU_DEP_2)
	v_cmp_gt_u64_e32 vcc_lo, 0x47600001, v[44:45]
	v_and_b32_e32 v17, 0x80, v17
                                        ; implicit-def: $vgpr45
	s_and_saveexec_b32 s10, vcc_lo
	s_delay_alu instid0(SALU_CYCLE_1)
	s_xor_b32 s27, exec_lo, s10
	s_cbranch_execz .LBB2_1327
; %bb.1314:                             ;   in Loop: Header=BB2_1292 Depth=2
	v_mov_b32_e32 v45, 0
	s_mov_b32 s28, exec_lo
	v_cmpx_ne_u32_e32 0, v83
	s_cbranch_execz .LBB2_1326
; %bb.1315:                             ;   in Loop: Header=BB2_1292 Depth=2
	v_bfe_u32 v83, v83, 23, 8
	v_or_b32_e32 v97, 0x800000, v48
	s_delay_alu instid0(VALU_DEP_2) | instskip(SKIP_1) | instid1(VALU_DEP_2)
	v_sub_nc_u32_e32 v85, 0x71, v83
	v_cmp_gt_u32_e32 vcc_lo, 0x72, v83
	v_cndmask_b32_e32 v85, 0, v85, vcc_lo
	v_cmp_eq_u32_e32 vcc_lo, 0, v83
	s_delay_alu instid0(VALU_DEP_2) | instskip(NEXT) | instid1(VALU_DEP_1)
	v_cndmask_b32_e64 v85, v85, 0x70, vcc_lo
	v_dual_cndmask_b32 v48, v97, v48 :: v_dual_add_nc_u32 v87, 21, v85
	s_delay_alu instid0(VALU_DEP_1) | instskip(SKIP_1) | instid1(VALU_DEP_1)
	v_lshlrev_b64_e64 v[44:45], v87, -1
	v_add_nc_u32_e32 v87, 20, v85
	v_lshlrev_b64_e64 v[46:47], v87, 1
	s_delay_alu instid0(VALU_DEP_3) | instskip(NEXT) | instid1(VALU_DEP_4)
	v_bfi_b32 v77, v45, 0, 0
	v_bfi_b32 v76, v44, 0, v48
	v_lshrrev_b64 v[44:45], v85, v[48:49]
	s_delay_alu instid0(VALU_DEP_2) | instskip(NEXT) | instid1(VALU_DEP_2)
	v_cmp_eq_u64_e64 s10, v[76:77], v[46:47]
	v_mov_b64_e32 v[46:47], v[44:45]
	s_and_saveexec_b32 s29, s10
; %bb.1316:                             ;   in Loop: Header=BB2_1292 Depth=2
	v_bfe_u32 v48, v44, 21, 1
	s_delay_alu instid0(VALU_DEP_1) | instskip(NEXT) | instid1(VALU_DEP_1)
	v_add_nc_u64_e32 v[46:47], v[44:45], v[48:49]
	v_add_nc_u64_e32 v[46:47], -1, v[46:47]
; %bb.1317:                             ;   in Loop: Header=BB2_1292 Depth=2
	s_or_b32 exec_lo, exec_lo, s29
	v_add_nc_u32_e32 v48, 0xffffff81, v83
	v_lshrrev_b32_e32 v83, 23, v44
	s_mov_b32 s10, exec_lo
	s_delay_alu instid0(VALU_DEP_2) | instskip(NEXT) | instid1(VALU_DEP_1)
	v_cndmask_b32_e64 v48, v48, 0xffffff82, vcc_lo
	v_add3_u32 v85, v85, v48, v83
	v_and_b32_e32 v48, 0x1fffff, v46
                                        ; implicit-def: $vgpr83
	s_delay_alu instid0(VALU_DEP_1) | instskip(NEXT) | instid1(VALU_DEP_1)
	v_dual_add_nc_u32 v87, 14, v85 :: v_dual_add_nc_u32 v48, v48, v44
                                        ; implicit-def: $vgpr44_vgpr45
	v_cmpx_ne_u32_e32 0, v87
	s_xor_b32 s10, exec_lo, s10
; %bb.1318:                             ;   in Loop: Header=BB2_1292 Depth=2
	s_delay_alu instid0(VALU_DEP_2) | instskip(SKIP_2) | instid1(VALU_DEP_2)
	v_cmp_lt_u64_e32 vcc_lo, 0xffffff, v[48:49]
	v_add_nc_u32_e32 v83, 15, v85
	v_cndmask_b32_e64 v85, 0, 1, vcc_lo
	v_cndmask_b32_e32 v83, v87, v83, vcc_lo
	s_delay_alu instid0(VALU_DEP_2)
	v_lshrrev_b64 v[44:45], v85, v[48:49]
; %bb.1319:                             ;   in Loop: Header=BB2_1292 Depth=2
	s_and_not1_saveexec_b32 s10, s10
; %bb.1320:                             ;   in Loop: Header=BB2_1292 Depth=2
	v_mov_b64_e32 v[44:45], v[48:49]
	v_bfe_u32 v83, v48, 23, 1
; %bb.1321:                             ;   in Loop: Header=BB2_1292 Depth=2
	s_or_b32 exec_lo, exec_lo, s10
	s_delay_alu instid0(VALU_DEP_2) | instskip(NEXT) | instid1(VALU_DEP_2)
	v_lshrrev_b64 v[44:45], 21, v[44:45]
	v_cmp_gt_i32_e32 vcc_lo, 32, v83
	v_cmp_ne_u32_e64 s10, 0, v83
	s_delay_alu instid0(VALU_DEP_3) | instskip(NEXT) | instid1(VALU_DEP_1)
	v_dual_cndmask_b32 v45, 0, v45 :: v_dual_cndmask_b32 v44, 3, v44
	v_cmp_ne_u64_e32 vcc_lo, 0, v[44:45]
                                        ; implicit-def: $vgpr45
	s_or_b32 s10, s10, vcc_lo
	s_delay_alu instid0(SALU_CYCLE_1) | instskip(NEXT) | instid1(SALU_CYCLE_1)
	s_and_saveexec_b32 s29, s10
	s_xor_b32 s10, exec_lo, s29
; %bb.1322:                             ;   in Loop: Header=BB2_1292 Depth=2
	v_min_i32_e32 v48, 31, v83
	s_delay_alu instid0(VALU_DEP_1) | instskip(NEXT) | instid1(VALU_DEP_1)
	v_lshl_or_b32 v17, v48, 2, v17
	v_and_or_b32 v45, v44, 3, v17
                                        ; implicit-def: $vgpr17
; %bb.1323:                             ;   in Loop: Header=BB2_1292 Depth=2
	s_and_not1_saveexec_b32 s10, s10
; %bb.1324:                             ;   in Loop: Header=BB2_1292 Depth=2
	v_mov_b32_e32 v45, v17
; %bb.1325:                             ;   in Loop: Header=BB2_1292 Depth=2
	s_or_b32 exec_lo, exec_lo, s10
.LBB2_1326:                             ;   in Loop: Header=BB2_1292 Depth=2
	s_delay_alu instid0(SALU_CYCLE_1)
	s_or_b32 exec_lo, exec_lo, s28
                                        ; implicit-def: $vgpr17
.LBB2_1327:                             ;   in Loop: Header=BB2_1292 Depth=2
	s_and_not1_saveexec_b32 s10, s27
; %bb.1328:                             ;   in Loop: Header=BB2_1292 Depth=2
	v_or_b32_e32 v45, 0x7b, v17
; %bb.1329:                             ;   in Loop: Header=BB2_1292 Depth=2
	s_or_b32 exec_lo, exec_lo, s10
                                        ; implicit-def: $vgpr83
.LBB2_1330:                             ;   in Loop: Header=BB2_1292 Depth=2
	s_and_not1_saveexec_b32 s10, s26
	s_cbranch_execz .LBB2_1336
; %bb.1331:                             ;   in Loop: Header=BB2_1292 Depth=2
	s_mov_b32 s26, exec_lo
                                        ; implicit-def: $vgpr45
	v_cmpx_ne_u64_e32 0, v[48:49]
	s_xor_b32 s26, exec_lo, s26
; %bb.1332:                             ;   in Loop: Header=BB2_1292 Depth=2
	v_lshrrev_b32_e32 v17, 24, v83
                                        ; implicit-def: $vgpr83
	s_delay_alu instid0(VALU_DEP_1)
	v_or_b32_e32 v45, 0x7f, v17
; %bb.1333:                             ;   in Loop: Header=BB2_1292 Depth=2
	s_and_not1_saveexec_b32 s26, s26
; %bb.1334:                             ;   in Loop: Header=BB2_1292 Depth=2
	v_cmp_lt_i32_e32 vcc_lo, -1, v83
	v_cndmask_b32_e64 v45, -4, 0x7c, vcc_lo
; %bb.1335:                             ;   in Loop: Header=BB2_1292 Depth=2
	s_or_b32 exec_lo, exec_lo, s26
.LBB2_1336:                             ;   in Loop: Header=BB2_1292 Depth=2
	s_delay_alu instid0(SALU_CYCLE_1)
	s_or_b32 exec_lo, exec_lo, s10
	v_dual_mov_b32 v17, 0 :: v_dual_mov_b32 v48, 0
	s_mov_b32 s10, exec_lo
	v_cmpx_ne_u16_e32 0, v42
	s_cbranch_execz .LBB2_1346
; %bb.1337:                             ;   in Loop: Header=BB2_1292 Depth=2
	v_bfrev_b32_e32 v48, 1
	s_mov_b32 s26, exec_lo
	v_cmpx_ne_u16_e32 0xff80, v42
	s_cbranch_execz .LBB2_1345
; %bb.1338:                             ;   in Loop: Header=BB2_1292 Depth=2
	v_and_b32_e32 v48, 0x7c, v42
	v_and_b32_e32 v83, 3, v42
	s_delay_alu instid0(VALU_DEP_2) | instskip(SKIP_1) | instid1(SALU_CYCLE_1)
	v_cmp_ne_u32_e32 vcc_lo, 0x7c, v48
                                        ; implicit-def: $vgpr48
	s_and_saveexec_b32 s27, vcc_lo
	s_xor_b32 s27, exec_lo, s27
	s_cbranch_execz .LBB2_1342
; %bb.1339:                             ;   in Loop: Header=BB2_1292 Depth=2
	v_and_b32_e32 v48, 0xff, v42
	s_mov_b32 s28, exec_lo
	s_delay_alu instid0(VALU_DEP_1) | instskip(NEXT) | instid1(VALU_DEP_1)
	v_bfe_u32 v48, v48, 2, 5
	v_cmpx_eq_u32_e32 0, v48
	s_cbranch_execz .LBB2_1341
; %bb.1340:                             ;   in Loop: Header=BB2_1292 Depth=2
	v_clz_i32_u32_e32 v48, v83
	s_delay_alu instid0(VALU_DEP_1) | instskip(SKIP_1) | instid1(VALU_DEP_2)
	v_min_u32_e32 v48, 32, v48
	v_mov_b32_e32 v43, v49
	v_subrev_nc_u32_e32 v83, 29, v48
	v_sub_nc_u32_e32 v48, 30, v48
	s_delay_alu instid0(VALU_DEP_2) | instskip(NEXT) | instid1(VALU_DEP_1)
	v_lshlrev_b64_e32 v[46:47], v83, v[42:43]
	v_and_b32_e32 v83, 3, v46
.LBB2_1341:                             ;   in Loop: Header=BB2_1292 Depth=2
	s_or_b32 exec_lo, exec_lo, s28
	v_bfe_i32 v85, v42, 0, 16
                                        ; implicit-def: $vgpr42
	s_delay_alu instid0(VALU_DEP_1) | instskip(NEXT) | instid1(VALU_DEP_1)
	v_and_b32_e32 v85, 0x80000000, v85
	v_lshl_add_u32 v48, v48, 23, v85
	s_delay_alu instid0(VALU_DEP_1) | instskip(NEXT) | instid1(VALU_DEP_1)
	v_lshl_or_b32 v48, v83, 21, v48
                                        ; implicit-def: $vgpr83
	v_add_nc_u32_e32 v48, 0x38000000, v48
.LBB2_1342:                             ;   in Loop: Header=BB2_1292 Depth=2
	s_and_not1_saveexec_b32 s27, s27
; %bb.1343:                             ;   in Loop: Header=BB2_1292 Depth=2
	v_cmp_lt_i16_e32 vcc_lo, -1, v42
	v_cndmask_b32_e32 v48, 0xff800000, v62, vcc_lo
	v_cmp_eq_u32_e32 vcc_lo, 0, v83
	s_delay_alu instid0(VALU_DEP_2)
	v_cndmask_b32_e32 v48, 0x7f800001, v48, vcc_lo
; %bb.1344:                             ;   in Loop: Header=BB2_1292 Depth=2
	s_or_b32 exec_lo, exec_lo, s27
.LBB2_1345:                             ;   in Loop: Header=BB2_1292 Depth=2
	s_delay_alu instid0(SALU_CYCLE_1)
	s_or_b32 exec_lo, exec_lo, s26
.LBB2_1346:                             ;   in Loop: Header=BB2_1292 Depth=2
	s_delay_alu instid0(SALU_CYCLE_1) | instskip(NEXT) | instid1(SALU_CYCLE_1)
	s_or_b32 exec_lo, exec_lo, s10
	s_mov_b32 s10, exec_lo
	s_wait_loadcnt_dscnt 0x606
	v_cmpx_ne_u16_e32 0, v40
	s_cbranch_execz .LBB2_1356
; %bb.1347:                             ;   in Loop: Header=BB2_1292 Depth=2
	v_bfrev_b32_e32 v17, 1
	s_mov_b32 s26, exec_lo
	v_cmpx_ne_u16_e32 0xff80, v40
	s_cbranch_execz .LBB2_1355
; %bb.1348:                             ;   in Loop: Header=BB2_1292 Depth=2
	v_and_b32_e32 v17, 0x7c, v40
	v_and_b32_e32 v83, 3, v40
	s_delay_alu instid0(VALU_DEP_2) | instskip(SKIP_1) | instid1(SALU_CYCLE_1)
	v_cmp_ne_u32_e32 vcc_lo, 0x7c, v17
                                        ; implicit-def: $vgpr17
	s_and_saveexec_b32 s27, vcc_lo
	s_xor_b32 s27, exec_lo, s27
	s_cbranch_execz .LBB2_1352
; %bb.1349:                             ;   in Loop: Header=BB2_1292 Depth=2
	v_and_b32_e32 v17, 0xff, v40
	s_mov_b32 s28, exec_lo
	s_delay_alu instid0(VALU_DEP_1) | instskip(NEXT) | instid1(VALU_DEP_1)
	v_bfe_u32 v17, v17, 2, 5
	v_cmpx_eq_u32_e32 0, v17
	s_cbranch_execz .LBB2_1351
; %bb.1350:                             ;   in Loop: Header=BB2_1292 Depth=2
	v_clz_i32_u32_e32 v17, v83
	s_delay_alu instid0(VALU_DEP_1) | instskip(SKIP_1) | instid1(VALU_DEP_2)
	v_min_u32_e32 v17, 32, v17
	v_mov_b32_e32 v41, v49
	v_subrev_nc_u32_e32 v83, 29, v17
	v_sub_nc_u32_e32 v17, 30, v17
	s_delay_alu instid0(VALU_DEP_2) | instskip(NEXT) | instid1(VALU_DEP_1)
	v_lshlrev_b64_e32 v[42:43], v83, v[40:41]
	v_and_b32_e32 v83, 3, v42
.LBB2_1351:                             ;   in Loop: Header=BB2_1292 Depth=2
	s_or_b32 exec_lo, exec_lo, s28
	v_bfe_i32 v85, v40, 0, 16
                                        ; implicit-def: $vgpr40
	s_delay_alu instid0(VALU_DEP_1) | instskip(NEXT) | instid1(VALU_DEP_1)
	v_and_b32_e32 v85, 0x80000000, v85
	v_lshl_add_u32 v17, v17, 23, v85
	s_delay_alu instid0(VALU_DEP_1) | instskip(NEXT) | instid1(VALU_DEP_1)
	v_lshl_or_b32 v17, v83, 21, v17
                                        ; implicit-def: $vgpr83
	v_add_nc_u32_e32 v17, 0x38000000, v17
.LBB2_1352:                             ;   in Loop: Header=BB2_1292 Depth=2
	s_and_not1_saveexec_b32 s27, s27
; %bb.1353:                             ;   in Loop: Header=BB2_1292 Depth=2
	v_cmp_lt_i16_e32 vcc_lo, -1, v40
	v_cndmask_b32_e32 v17, 0xff800000, v62, vcc_lo
	v_cmp_eq_u32_e32 vcc_lo, 0, v83
	s_delay_alu instid0(VALU_DEP_2)
	v_cndmask_b32_e32 v17, 0x7f800001, v17, vcc_lo
; %bb.1354:                             ;   in Loop: Header=BB2_1292 Depth=2
	s_or_b32 exec_lo, exec_lo, s27
.LBB2_1355:                             ;   in Loop: Header=BB2_1292 Depth=2
	s_delay_alu instid0(SALU_CYCLE_1)
	s_or_b32 exec_lo, exec_lo, s26
.LBB2_1356:                             ;   in Loop: Header=BB2_1292 Depth=2
	s_delay_alu instid0(SALU_CYCLE_1) | instskip(NEXT) | instid1(VALU_DEP_1)
	s_or_b32 exec_lo, exec_lo, s10
	v_dual_mul_f32 v83, v48, v17 :: v_dual_mov_b32 v41, v49
	s_delay_alu instid0(VALU_DEP_1) | instskip(SKIP_1) | instid1(VALU_DEP_2)
	v_and_b32_e32 v40, 0x7f800000, v83
	v_and_b32_e32 v48, 0x7fffff, v83
	v_cmp_ne_u64_e32 vcc_lo, 0x7f800000, v[40:41]
                                        ; implicit-def: $vgpr41
	s_and_saveexec_b32 s10, vcc_lo
	s_delay_alu instid0(SALU_CYCLE_1)
	s_xor_b32 s26, exec_lo, s10
	s_cbranch_execz .LBB2_1374
; %bb.1357:                             ;   in Loop: Header=BB2_1292 Depth=2
	v_and_b32_e32 v40, 0x7fffffff, v83
	v_dual_mov_b32 v41, v49 :: v_dual_lshrrev_b32 v17, 24, v83
	s_delay_alu instid0(VALU_DEP_1) | instskip(NEXT) | instid1(VALU_DEP_2)
	v_cmp_gt_u64_e32 vcc_lo, 0x47600001, v[40:41]
	v_and_b32_e32 v17, 0x80, v17
                                        ; implicit-def: $vgpr41
	s_and_saveexec_b32 s10, vcc_lo
	s_delay_alu instid0(SALU_CYCLE_1)
	s_xor_b32 s27, exec_lo, s10
	s_cbranch_execz .LBB2_1371
; %bb.1358:                             ;   in Loop: Header=BB2_1292 Depth=2
	v_mov_b32_e32 v41, 0
	s_mov_b32 s28, exec_lo
	v_cmpx_ne_u32_e32 0, v83
	s_cbranch_execz .LBB2_1370
; %bb.1359:                             ;   in Loop: Header=BB2_1292 Depth=2
	v_bfe_u32 v83, v83, 23, 8
	v_or_b32_e32 v97, 0x800000, v48
	s_delay_alu instid0(VALU_DEP_2) | instskip(SKIP_1) | instid1(VALU_DEP_2)
	v_sub_nc_u32_e32 v85, 0x71, v83
	v_cmp_gt_u32_e32 vcc_lo, 0x72, v83
	v_cndmask_b32_e32 v85, 0, v85, vcc_lo
	v_cmp_eq_u32_e32 vcc_lo, 0, v83
	s_delay_alu instid0(VALU_DEP_2) | instskip(NEXT) | instid1(VALU_DEP_1)
	v_cndmask_b32_e64 v85, v85, 0x70, vcc_lo
	v_dual_cndmask_b32 v48, v97, v48 :: v_dual_add_nc_u32 v87, 21, v85
	s_delay_alu instid0(VALU_DEP_1) | instskip(SKIP_1) | instid1(VALU_DEP_1)
	v_lshlrev_b64_e64 v[40:41], v87, -1
	v_add_nc_u32_e32 v87, 20, v85
	v_lshlrev_b64_e64 v[42:43], v87, 1
	s_delay_alu instid0(VALU_DEP_3) | instskip(NEXT) | instid1(VALU_DEP_4)
	v_bfi_b32 v47, v41, 0, 0
	v_bfi_b32 v46, v40, 0, v48
	v_lshrrev_b64 v[40:41], v85, v[48:49]
	s_delay_alu instid0(VALU_DEP_2) | instskip(NEXT) | instid1(VALU_DEP_2)
	v_cmp_eq_u64_e64 s10, v[46:47], v[42:43]
	v_mov_b64_e32 v[42:43], v[40:41]
	s_and_saveexec_b32 s29, s10
; %bb.1360:                             ;   in Loop: Header=BB2_1292 Depth=2
	v_bfe_u32 v48, v40, 21, 1
	s_delay_alu instid0(VALU_DEP_1) | instskip(NEXT) | instid1(VALU_DEP_1)
	v_add_nc_u64_e32 v[42:43], v[40:41], v[48:49]
	v_add_nc_u64_e32 v[42:43], -1, v[42:43]
; %bb.1361:                             ;   in Loop: Header=BB2_1292 Depth=2
	s_or_b32 exec_lo, exec_lo, s29
	v_add_nc_u32_e32 v48, 0xffffff81, v83
	v_lshrrev_b32_e32 v83, 23, v40
	s_mov_b32 s10, exec_lo
	s_delay_alu instid0(VALU_DEP_2) | instskip(NEXT) | instid1(VALU_DEP_1)
	v_cndmask_b32_e64 v48, v48, 0xffffff82, vcc_lo
	v_add3_u32 v85, v85, v48, v83
	v_and_b32_e32 v48, 0x1fffff, v42
                                        ; implicit-def: $vgpr83
	s_delay_alu instid0(VALU_DEP_1) | instskip(NEXT) | instid1(VALU_DEP_1)
	v_dual_add_nc_u32 v87, 14, v85 :: v_dual_add_nc_u32 v48, v48, v40
                                        ; implicit-def: $vgpr40_vgpr41
	v_cmpx_ne_u32_e32 0, v87
	s_xor_b32 s10, exec_lo, s10
; %bb.1362:                             ;   in Loop: Header=BB2_1292 Depth=2
	s_delay_alu instid0(VALU_DEP_2) | instskip(SKIP_2) | instid1(VALU_DEP_2)
	v_cmp_lt_u64_e32 vcc_lo, 0xffffff, v[48:49]
	v_add_nc_u32_e32 v83, 15, v85
	v_cndmask_b32_e64 v85, 0, 1, vcc_lo
	v_cndmask_b32_e32 v83, v87, v83, vcc_lo
	s_delay_alu instid0(VALU_DEP_2)
	v_lshrrev_b64 v[40:41], v85, v[48:49]
; %bb.1363:                             ;   in Loop: Header=BB2_1292 Depth=2
	s_and_not1_saveexec_b32 s10, s10
; %bb.1364:                             ;   in Loop: Header=BB2_1292 Depth=2
	v_mov_b64_e32 v[40:41], v[48:49]
	v_bfe_u32 v83, v48, 23, 1
; %bb.1365:                             ;   in Loop: Header=BB2_1292 Depth=2
	s_or_b32 exec_lo, exec_lo, s10
	s_delay_alu instid0(VALU_DEP_2) | instskip(NEXT) | instid1(VALU_DEP_2)
	v_lshrrev_b64 v[40:41], 21, v[40:41]
	v_cmp_gt_i32_e32 vcc_lo, 32, v83
	v_cmp_ne_u32_e64 s10, 0, v83
	s_delay_alu instid0(VALU_DEP_3) | instskip(NEXT) | instid1(VALU_DEP_1)
	v_dual_cndmask_b32 v41, 0, v41 :: v_dual_cndmask_b32 v40, 3, v40
	v_cmp_ne_u64_e32 vcc_lo, 0, v[40:41]
                                        ; implicit-def: $vgpr41
	s_or_b32 s10, s10, vcc_lo
	s_delay_alu instid0(SALU_CYCLE_1) | instskip(NEXT) | instid1(SALU_CYCLE_1)
	s_and_saveexec_b32 s29, s10
	s_xor_b32 s10, exec_lo, s29
; %bb.1366:                             ;   in Loop: Header=BB2_1292 Depth=2
	v_min_i32_e32 v48, 31, v83
	s_delay_alu instid0(VALU_DEP_1) | instskip(NEXT) | instid1(VALU_DEP_1)
	v_lshl_or_b32 v17, v48, 2, v17
	v_and_or_b32 v41, v40, 3, v17
                                        ; implicit-def: $vgpr17
; %bb.1367:                             ;   in Loop: Header=BB2_1292 Depth=2
	s_and_not1_saveexec_b32 s10, s10
; %bb.1368:                             ;   in Loop: Header=BB2_1292 Depth=2
	v_mov_b32_e32 v41, v17
; %bb.1369:                             ;   in Loop: Header=BB2_1292 Depth=2
	s_or_b32 exec_lo, exec_lo, s10
.LBB2_1370:                             ;   in Loop: Header=BB2_1292 Depth=2
	s_delay_alu instid0(SALU_CYCLE_1)
	s_or_b32 exec_lo, exec_lo, s28
                                        ; implicit-def: $vgpr17
.LBB2_1371:                             ;   in Loop: Header=BB2_1292 Depth=2
	s_and_not1_saveexec_b32 s10, s27
; %bb.1372:                             ;   in Loop: Header=BB2_1292 Depth=2
	v_or_b32_e32 v41, 0x7b, v17
; %bb.1373:                             ;   in Loop: Header=BB2_1292 Depth=2
	s_or_b32 exec_lo, exec_lo, s10
                                        ; implicit-def: $vgpr83
.LBB2_1374:                             ;   in Loop: Header=BB2_1292 Depth=2
	s_and_not1_saveexec_b32 s10, s26
	s_cbranch_execz .LBB2_1380
; %bb.1375:                             ;   in Loop: Header=BB2_1292 Depth=2
	s_mov_b32 s26, exec_lo
                                        ; implicit-def: $vgpr41
	v_cmpx_ne_u64_e32 0, v[48:49]
	s_xor_b32 s26, exec_lo, s26
; %bb.1376:                             ;   in Loop: Header=BB2_1292 Depth=2
	v_lshrrev_b32_e32 v17, 24, v83
                                        ; implicit-def: $vgpr83
	s_delay_alu instid0(VALU_DEP_1)
	v_or_b32_e32 v41, 0x7f, v17
; %bb.1377:                             ;   in Loop: Header=BB2_1292 Depth=2
	s_and_not1_saveexec_b32 s26, s26
; %bb.1378:                             ;   in Loop: Header=BB2_1292 Depth=2
	v_cmp_lt_i32_e32 vcc_lo, -1, v83
	v_cndmask_b32_e64 v41, -4, 0x7c, vcc_lo
; %bb.1379:                             ;   in Loop: Header=BB2_1292 Depth=2
	s_or_b32 exec_lo, exec_lo, s26
.LBB2_1380:                             ;   in Loop: Header=BB2_1292 Depth=2
	s_delay_alu instid0(SALU_CYCLE_1)
	s_or_b32 exec_lo, exec_lo, s10
	v_dual_mov_b32 v17, 0 :: v_dual_mov_b32 v48, 0
	s_mov_b32 s10, exec_lo
	v_cmpx_ne_u16_e32 0, v118
	s_cbranch_execz .LBB2_1390
; %bb.1381:                             ;   in Loop: Header=BB2_1292 Depth=2
	v_bfrev_b32_e32 v48, 1
	s_mov_b32 s26, exec_lo
	v_cmpx_ne_u16_e32 0xff80, v118
	s_cbranch_execz .LBB2_1389
; %bb.1382:                             ;   in Loop: Header=BB2_1292 Depth=2
	v_and_b32_e32 v48, 0x7c, v118
	v_and_b32_e32 v83, 3, v118
	s_delay_alu instid0(VALU_DEP_2) | instskip(SKIP_1) | instid1(SALU_CYCLE_1)
	v_cmp_ne_u32_e32 vcc_lo, 0x7c, v48
                                        ; implicit-def: $vgpr48
	s_and_saveexec_b32 s27, vcc_lo
	s_xor_b32 s27, exec_lo, s27
	s_cbranch_execz .LBB2_1386
; %bb.1383:                             ;   in Loop: Header=BB2_1292 Depth=2
	v_and_b32_e32 v48, 0xff, v118
	s_mov_b32 s28, exec_lo
	s_delay_alu instid0(VALU_DEP_1) | instskip(NEXT) | instid1(VALU_DEP_1)
	v_bfe_u32 v48, v48, 2, 5
	v_cmpx_eq_u32_e32 0, v48
	s_cbranch_execz .LBB2_1385
; %bb.1384:                             ;   in Loop: Header=BB2_1292 Depth=2
	v_clz_i32_u32_e32 v48, v83
	s_delay_alu instid0(VALU_DEP_1) | instskip(SKIP_1) | instid1(VALU_DEP_2)
	v_min_u32_e32 v48, 32, v48
	v_mov_b32_e32 v119, v49
	v_subrev_nc_u32_e32 v83, 29, v48
	v_sub_nc_u32_e32 v48, 30, v48
	s_delay_alu instid0(VALU_DEP_2) | instskip(NEXT) | instid1(VALU_DEP_1)
	v_lshlrev_b64_e32 v[42:43], v83, v[118:119]
	v_and_b32_e32 v83, 3, v42
.LBB2_1385:                             ;   in Loop: Header=BB2_1292 Depth=2
	s_or_b32 exec_lo, exec_lo, s28
	v_bfe_i32 v85, v118, 0, 16
                                        ; implicit-def: $vgpr118
	s_delay_alu instid0(VALU_DEP_1) | instskip(NEXT) | instid1(VALU_DEP_1)
	v_and_b32_e32 v85, 0x80000000, v85
	v_lshl_add_u32 v48, v48, 23, v85
	s_delay_alu instid0(VALU_DEP_1) | instskip(NEXT) | instid1(VALU_DEP_1)
	v_lshl_or_b32 v48, v83, 21, v48
                                        ; implicit-def: $vgpr83
	v_add_nc_u32_e32 v48, 0x38000000, v48
.LBB2_1386:                             ;   in Loop: Header=BB2_1292 Depth=2
	s_and_not1_saveexec_b32 s27, s27
; %bb.1387:                             ;   in Loop: Header=BB2_1292 Depth=2
	v_cmp_lt_i16_e32 vcc_lo, -1, v118
	v_cndmask_b32_e32 v48, 0xff800000, v62, vcc_lo
	v_cmp_eq_u32_e32 vcc_lo, 0, v83
	s_delay_alu instid0(VALU_DEP_2)
	v_cndmask_b32_e32 v48, 0x7f800001, v48, vcc_lo
; %bb.1388:                             ;   in Loop: Header=BB2_1292 Depth=2
	s_or_b32 exec_lo, exec_lo, s27
.LBB2_1389:                             ;   in Loop: Header=BB2_1292 Depth=2
	s_delay_alu instid0(SALU_CYCLE_1)
	s_or_b32 exec_lo, exec_lo, s26
.LBB2_1390:                             ;   in Loop: Header=BB2_1292 Depth=2
	s_delay_alu instid0(SALU_CYCLE_1) | instskip(NEXT) | instid1(SALU_CYCLE_1)
	s_or_b32 exec_lo, exec_lo, s10
	s_mov_b32 s10, exec_lo
	s_wait_loadcnt_dscnt 0x505
	v_cmpx_ne_u16_e32 0, v116
	s_cbranch_execz .LBB2_1400
; %bb.1391:                             ;   in Loop: Header=BB2_1292 Depth=2
	v_bfrev_b32_e32 v17, 1
	s_mov_b32 s26, exec_lo
	v_cmpx_ne_u16_e32 0xff80, v116
	s_cbranch_execz .LBB2_1399
; %bb.1392:                             ;   in Loop: Header=BB2_1292 Depth=2
	v_and_b32_e32 v17, 0x7c, v116
	v_and_b32_e32 v83, 3, v116
	s_delay_alu instid0(VALU_DEP_2) | instskip(SKIP_1) | instid1(SALU_CYCLE_1)
	v_cmp_ne_u32_e32 vcc_lo, 0x7c, v17
                                        ; implicit-def: $vgpr17
	s_and_saveexec_b32 s27, vcc_lo
	s_xor_b32 s27, exec_lo, s27
	s_cbranch_execz .LBB2_1396
; %bb.1393:                             ;   in Loop: Header=BB2_1292 Depth=2
	v_and_b32_e32 v17, 0xff, v116
	s_mov_b32 s28, exec_lo
	s_delay_alu instid0(VALU_DEP_1) | instskip(NEXT) | instid1(VALU_DEP_1)
	v_bfe_u32 v17, v17, 2, 5
	v_cmpx_eq_u32_e32 0, v17
	s_cbranch_execz .LBB2_1395
; %bb.1394:                             ;   in Loop: Header=BB2_1292 Depth=2
	v_clz_i32_u32_e32 v17, v83
	s_delay_alu instid0(VALU_DEP_1) | instskip(SKIP_1) | instid1(VALU_DEP_2)
	v_min_u32_e32 v17, 32, v17
	v_mov_b32_e32 v117, v49
	v_subrev_nc_u32_e32 v83, 29, v17
	v_sub_nc_u32_e32 v17, 30, v17
	s_delay_alu instid0(VALU_DEP_2) | instskip(NEXT) | instid1(VALU_DEP_1)
	v_lshlrev_b64_e32 v[118:119], v83, v[116:117]
	v_and_b32_e32 v83, 3, v118
.LBB2_1395:                             ;   in Loop: Header=BB2_1292 Depth=2
	s_or_b32 exec_lo, exec_lo, s28
	v_bfe_i32 v85, v116, 0, 16
                                        ; implicit-def: $vgpr116
	s_delay_alu instid0(VALU_DEP_1) | instskip(NEXT) | instid1(VALU_DEP_1)
	v_and_b32_e32 v85, 0x80000000, v85
	v_lshl_add_u32 v17, v17, 23, v85
	s_delay_alu instid0(VALU_DEP_1) | instskip(NEXT) | instid1(VALU_DEP_1)
	v_lshl_or_b32 v17, v83, 21, v17
                                        ; implicit-def: $vgpr83
	v_add_nc_u32_e32 v17, 0x38000000, v17
.LBB2_1396:                             ;   in Loop: Header=BB2_1292 Depth=2
	s_and_not1_saveexec_b32 s27, s27
; %bb.1397:                             ;   in Loop: Header=BB2_1292 Depth=2
	v_cmp_lt_i16_e32 vcc_lo, -1, v116
	v_cndmask_b32_e32 v17, 0xff800000, v62, vcc_lo
	v_cmp_eq_u32_e32 vcc_lo, 0, v83
	s_delay_alu instid0(VALU_DEP_2)
	v_cndmask_b32_e32 v17, 0x7f800001, v17, vcc_lo
; %bb.1398:                             ;   in Loop: Header=BB2_1292 Depth=2
	s_or_b32 exec_lo, exec_lo, s27
.LBB2_1399:                             ;   in Loop: Header=BB2_1292 Depth=2
	s_delay_alu instid0(SALU_CYCLE_1)
	s_or_b32 exec_lo, exec_lo, s26
.LBB2_1400:                             ;   in Loop: Header=BB2_1292 Depth=2
	s_delay_alu instid0(SALU_CYCLE_1) | instskip(NEXT) | instid1(VALU_DEP_1)
	s_or_b32 exec_lo, exec_lo, s10
	v_dual_mul_f32 v83, v48, v17 :: v_dual_mov_b32 v117, v49
	s_delay_alu instid0(VALU_DEP_1) | instskip(SKIP_1) | instid1(VALU_DEP_2)
	v_and_b32_e32 v116, 0x7f800000, v83
	v_and_b32_e32 v48, 0x7fffff, v83
	v_cmp_ne_u64_e32 vcc_lo, 0x7f800000, v[116:117]
                                        ; implicit-def: $vgpr117
	s_and_saveexec_b32 s10, vcc_lo
	s_delay_alu instid0(SALU_CYCLE_1)
	s_xor_b32 s26, exec_lo, s10
	s_cbranch_execz .LBB2_1418
; %bb.1401:                             ;   in Loop: Header=BB2_1292 Depth=2
	v_and_b32_e32 v116, 0x7fffffff, v83
	v_dual_mov_b32 v117, v49 :: v_dual_lshrrev_b32 v17, 24, v83
	s_delay_alu instid0(VALU_DEP_1) | instskip(NEXT) | instid1(VALU_DEP_2)
	v_cmp_gt_u64_e32 vcc_lo, 0x47600001, v[116:117]
	v_and_b32_e32 v17, 0x80, v17
                                        ; implicit-def: $vgpr117
	s_and_saveexec_b32 s10, vcc_lo
	s_delay_alu instid0(SALU_CYCLE_1)
	s_xor_b32 s27, exec_lo, s10
	s_cbranch_execz .LBB2_1415
; %bb.1402:                             ;   in Loop: Header=BB2_1292 Depth=2
	v_mov_b32_e32 v117, 0
	s_mov_b32 s28, exec_lo
	v_cmpx_ne_u32_e32 0, v83
	s_cbranch_execz .LBB2_1414
; %bb.1403:                             ;   in Loop: Header=BB2_1292 Depth=2
	v_bfe_u32 v83, v83, 23, 8
	v_or_b32_e32 v97, 0x800000, v48
	s_delay_alu instid0(VALU_DEP_2) | instskip(SKIP_1) | instid1(VALU_DEP_2)
	v_sub_nc_u32_e32 v85, 0x71, v83
	v_cmp_gt_u32_e32 vcc_lo, 0x72, v83
	v_cndmask_b32_e32 v85, 0, v85, vcc_lo
	v_cmp_eq_u32_e32 vcc_lo, 0, v83
	s_delay_alu instid0(VALU_DEP_2) | instskip(NEXT) | instid1(VALU_DEP_1)
	v_cndmask_b32_e64 v85, v85, 0x70, vcc_lo
	v_dual_cndmask_b32 v48, v97, v48 :: v_dual_add_nc_u32 v87, 21, v85
	s_delay_alu instid0(VALU_DEP_1) | instskip(SKIP_1) | instid1(VALU_DEP_1)
	v_lshlrev_b64_e64 v[116:117], v87, -1
	v_add_nc_u32_e32 v87, 20, v85
	v_lshlrev_b64_e64 v[118:119], v87, 1
	s_delay_alu instid0(VALU_DEP_3) | instskip(NEXT) | instid1(VALU_DEP_4)
	v_bfi_b32 v43, v117, 0, 0
	v_bfi_b32 v42, v116, 0, v48
	v_lshrrev_b64 v[116:117], v85, v[48:49]
	s_delay_alu instid0(VALU_DEP_2) | instskip(NEXT) | instid1(VALU_DEP_2)
	v_cmp_eq_u64_e64 s10, v[42:43], v[118:119]
	v_mov_b64_e32 v[118:119], v[116:117]
	s_and_saveexec_b32 s29, s10
; %bb.1404:                             ;   in Loop: Header=BB2_1292 Depth=2
	v_bfe_u32 v48, v116, 21, 1
	s_delay_alu instid0(VALU_DEP_1) | instskip(NEXT) | instid1(VALU_DEP_1)
	v_add_nc_u64_e32 v[118:119], v[116:117], v[48:49]
	v_add_nc_u64_e32 v[118:119], -1, v[118:119]
; %bb.1405:                             ;   in Loop: Header=BB2_1292 Depth=2
	s_or_b32 exec_lo, exec_lo, s29
	v_add_nc_u32_e32 v48, 0xffffff81, v83
	v_lshrrev_b32_e32 v83, 23, v116
	s_mov_b32 s10, exec_lo
	s_delay_alu instid0(VALU_DEP_2) | instskip(NEXT) | instid1(VALU_DEP_1)
	v_cndmask_b32_e64 v48, v48, 0xffffff82, vcc_lo
	v_add3_u32 v85, v85, v48, v83
	v_and_b32_e32 v48, 0x1fffff, v118
                                        ; implicit-def: $vgpr83
	s_delay_alu instid0(VALU_DEP_1) | instskip(NEXT) | instid1(VALU_DEP_1)
	v_dual_add_nc_u32 v87, 14, v85 :: v_dual_add_nc_u32 v48, v48, v116
                                        ; implicit-def: $vgpr116_vgpr117
	v_cmpx_ne_u32_e32 0, v87
	s_xor_b32 s10, exec_lo, s10
; %bb.1406:                             ;   in Loop: Header=BB2_1292 Depth=2
	s_delay_alu instid0(VALU_DEP_2) | instskip(SKIP_2) | instid1(VALU_DEP_2)
	v_cmp_lt_u64_e32 vcc_lo, 0xffffff, v[48:49]
	v_add_nc_u32_e32 v83, 15, v85
	v_cndmask_b32_e64 v85, 0, 1, vcc_lo
	v_cndmask_b32_e32 v83, v87, v83, vcc_lo
	s_delay_alu instid0(VALU_DEP_2)
	v_lshrrev_b64 v[116:117], v85, v[48:49]
; %bb.1407:                             ;   in Loop: Header=BB2_1292 Depth=2
	s_and_not1_saveexec_b32 s10, s10
; %bb.1408:                             ;   in Loop: Header=BB2_1292 Depth=2
	v_mov_b64_e32 v[116:117], v[48:49]
	v_bfe_u32 v83, v48, 23, 1
; %bb.1409:                             ;   in Loop: Header=BB2_1292 Depth=2
	s_or_b32 exec_lo, exec_lo, s10
	s_delay_alu instid0(VALU_DEP_2) | instskip(NEXT) | instid1(VALU_DEP_2)
	v_lshrrev_b64 v[116:117], 21, v[116:117]
	v_cmp_gt_i32_e32 vcc_lo, 32, v83
	v_cmp_ne_u32_e64 s10, 0, v83
	s_delay_alu instid0(VALU_DEP_3) | instskip(NEXT) | instid1(VALU_DEP_1)
	v_dual_cndmask_b32 v117, 0, v117 :: v_dual_cndmask_b32 v116, 3, v116
	v_cmp_ne_u64_e32 vcc_lo, 0, v[116:117]
                                        ; implicit-def: $vgpr117
	s_or_b32 s10, s10, vcc_lo
	s_delay_alu instid0(SALU_CYCLE_1) | instskip(NEXT) | instid1(SALU_CYCLE_1)
	s_and_saveexec_b32 s29, s10
	s_xor_b32 s10, exec_lo, s29
; %bb.1410:                             ;   in Loop: Header=BB2_1292 Depth=2
	v_min_i32_e32 v48, 31, v83
	s_delay_alu instid0(VALU_DEP_1) | instskip(NEXT) | instid1(VALU_DEP_1)
	v_lshl_or_b32 v17, v48, 2, v17
	v_and_or_b32 v117, v116, 3, v17
                                        ; implicit-def: $vgpr17
; %bb.1411:                             ;   in Loop: Header=BB2_1292 Depth=2
	s_and_not1_saveexec_b32 s10, s10
; %bb.1412:                             ;   in Loop: Header=BB2_1292 Depth=2
	v_mov_b32_e32 v117, v17
; %bb.1413:                             ;   in Loop: Header=BB2_1292 Depth=2
	s_or_b32 exec_lo, exec_lo, s10
.LBB2_1414:                             ;   in Loop: Header=BB2_1292 Depth=2
	s_delay_alu instid0(SALU_CYCLE_1)
	s_or_b32 exec_lo, exec_lo, s28
                                        ; implicit-def: $vgpr17
.LBB2_1415:                             ;   in Loop: Header=BB2_1292 Depth=2
	s_and_not1_saveexec_b32 s10, s27
; %bb.1416:                             ;   in Loop: Header=BB2_1292 Depth=2
	v_or_b32_e32 v117, 0x7b, v17
; %bb.1417:                             ;   in Loop: Header=BB2_1292 Depth=2
	s_or_b32 exec_lo, exec_lo, s10
                                        ; implicit-def: $vgpr83
.LBB2_1418:                             ;   in Loop: Header=BB2_1292 Depth=2
	s_and_not1_saveexec_b32 s10, s26
	s_cbranch_execz .LBB2_1424
; %bb.1419:                             ;   in Loop: Header=BB2_1292 Depth=2
	s_mov_b32 s26, exec_lo
                                        ; implicit-def: $vgpr117
	v_cmpx_ne_u64_e32 0, v[48:49]
	s_xor_b32 s26, exec_lo, s26
; %bb.1420:                             ;   in Loop: Header=BB2_1292 Depth=2
	v_lshrrev_b32_e32 v17, 24, v83
                                        ; implicit-def: $vgpr83
	s_delay_alu instid0(VALU_DEP_1)
	v_or_b32_e32 v117, 0x7f, v17
; %bb.1421:                             ;   in Loop: Header=BB2_1292 Depth=2
	s_and_not1_saveexec_b32 s26, s26
; %bb.1422:                             ;   in Loop: Header=BB2_1292 Depth=2
	v_cmp_lt_i32_e32 vcc_lo, -1, v83
	v_cndmask_b32_e64 v117, -4, 0x7c, vcc_lo
; %bb.1423:                             ;   in Loop: Header=BB2_1292 Depth=2
	s_or_b32 exec_lo, exec_lo, s26
.LBB2_1424:                             ;   in Loop: Header=BB2_1292 Depth=2
	s_delay_alu instid0(SALU_CYCLE_1)
	s_or_b32 exec_lo, exec_lo, s10
	v_dual_mov_b32 v17, 0 :: v_dual_mov_b32 v48, 0
	s_mov_b32 s10, exec_lo
	v_cmpx_ne_u16_e32 0, v114
	s_cbranch_execz .LBB2_1434
; %bb.1425:                             ;   in Loop: Header=BB2_1292 Depth=2
	v_bfrev_b32_e32 v48, 1
	s_mov_b32 s26, exec_lo
	v_cmpx_ne_u16_e32 0xff80, v114
	s_cbranch_execz .LBB2_1433
; %bb.1426:                             ;   in Loop: Header=BB2_1292 Depth=2
	v_and_b32_e32 v48, 0x7c, v114
	v_and_b32_e32 v83, 3, v114
	s_delay_alu instid0(VALU_DEP_2) | instskip(SKIP_1) | instid1(SALU_CYCLE_1)
	v_cmp_ne_u32_e32 vcc_lo, 0x7c, v48
                                        ; implicit-def: $vgpr48
	s_and_saveexec_b32 s27, vcc_lo
	s_xor_b32 s27, exec_lo, s27
	s_cbranch_execz .LBB2_1430
; %bb.1427:                             ;   in Loop: Header=BB2_1292 Depth=2
	v_and_b32_e32 v48, 0xff, v114
	s_mov_b32 s28, exec_lo
	s_delay_alu instid0(VALU_DEP_1) | instskip(NEXT) | instid1(VALU_DEP_1)
	v_bfe_u32 v48, v48, 2, 5
	v_cmpx_eq_u32_e32 0, v48
	s_cbranch_execz .LBB2_1429
; %bb.1428:                             ;   in Loop: Header=BB2_1292 Depth=2
	v_clz_i32_u32_e32 v48, v83
	s_delay_alu instid0(VALU_DEP_1) | instskip(SKIP_1) | instid1(VALU_DEP_2)
	v_min_u32_e32 v48, 32, v48
	v_mov_b32_e32 v115, v49
	v_subrev_nc_u32_e32 v83, 29, v48
	v_sub_nc_u32_e32 v48, 30, v48
	s_delay_alu instid0(VALU_DEP_2) | instskip(NEXT) | instid1(VALU_DEP_1)
	v_lshlrev_b64_e32 v[118:119], v83, v[114:115]
	v_and_b32_e32 v83, 3, v118
.LBB2_1429:                             ;   in Loop: Header=BB2_1292 Depth=2
	s_or_b32 exec_lo, exec_lo, s28
	v_bfe_i32 v85, v114, 0, 16
                                        ; implicit-def: $vgpr114
	s_delay_alu instid0(VALU_DEP_1) | instskip(NEXT) | instid1(VALU_DEP_1)
	v_and_b32_e32 v85, 0x80000000, v85
	v_lshl_add_u32 v48, v48, 23, v85
	s_delay_alu instid0(VALU_DEP_1) | instskip(NEXT) | instid1(VALU_DEP_1)
	v_lshl_or_b32 v48, v83, 21, v48
                                        ; implicit-def: $vgpr83
	v_add_nc_u32_e32 v48, 0x38000000, v48
.LBB2_1430:                             ;   in Loop: Header=BB2_1292 Depth=2
	s_and_not1_saveexec_b32 s27, s27
; %bb.1431:                             ;   in Loop: Header=BB2_1292 Depth=2
	v_cmp_lt_i16_e32 vcc_lo, -1, v114
	v_cndmask_b32_e32 v48, 0xff800000, v62, vcc_lo
	v_cmp_eq_u32_e32 vcc_lo, 0, v83
	s_delay_alu instid0(VALU_DEP_2)
	v_cndmask_b32_e32 v48, 0x7f800001, v48, vcc_lo
; %bb.1432:                             ;   in Loop: Header=BB2_1292 Depth=2
	s_or_b32 exec_lo, exec_lo, s27
.LBB2_1433:                             ;   in Loop: Header=BB2_1292 Depth=2
	s_delay_alu instid0(SALU_CYCLE_1)
	s_or_b32 exec_lo, exec_lo, s26
.LBB2_1434:                             ;   in Loop: Header=BB2_1292 Depth=2
	s_delay_alu instid0(SALU_CYCLE_1) | instskip(NEXT) | instid1(SALU_CYCLE_1)
	s_or_b32 exec_lo, exec_lo, s10
	s_mov_b32 s10, exec_lo
	s_wait_loadcnt_dscnt 0x404
	v_cmpx_ne_u16_e32 0, v112
	s_cbranch_execz .LBB2_1444
; %bb.1435:                             ;   in Loop: Header=BB2_1292 Depth=2
	v_bfrev_b32_e32 v17, 1
	s_mov_b32 s26, exec_lo
	v_cmpx_ne_u16_e32 0xff80, v112
	s_cbranch_execz .LBB2_1443
; %bb.1436:                             ;   in Loop: Header=BB2_1292 Depth=2
	v_and_b32_e32 v17, 0x7c, v112
	v_and_b32_e32 v83, 3, v112
	s_delay_alu instid0(VALU_DEP_2) | instskip(SKIP_1) | instid1(SALU_CYCLE_1)
	v_cmp_ne_u32_e32 vcc_lo, 0x7c, v17
                                        ; implicit-def: $vgpr17
	s_and_saveexec_b32 s27, vcc_lo
	s_xor_b32 s27, exec_lo, s27
	s_cbranch_execz .LBB2_1440
; %bb.1437:                             ;   in Loop: Header=BB2_1292 Depth=2
	v_and_b32_e32 v17, 0xff, v112
	s_mov_b32 s28, exec_lo
	s_delay_alu instid0(VALU_DEP_1) | instskip(NEXT) | instid1(VALU_DEP_1)
	v_bfe_u32 v17, v17, 2, 5
	v_cmpx_eq_u32_e32 0, v17
	s_cbranch_execz .LBB2_1439
; %bb.1438:                             ;   in Loop: Header=BB2_1292 Depth=2
	v_clz_i32_u32_e32 v17, v83
	s_delay_alu instid0(VALU_DEP_1) | instskip(SKIP_1) | instid1(VALU_DEP_2)
	v_min_u32_e32 v17, 32, v17
	v_mov_b32_e32 v113, v49
	v_subrev_nc_u32_e32 v83, 29, v17
	v_sub_nc_u32_e32 v17, 30, v17
	s_delay_alu instid0(VALU_DEP_2) | instskip(NEXT) | instid1(VALU_DEP_1)
	v_lshlrev_b64_e32 v[114:115], v83, v[112:113]
	v_and_b32_e32 v83, 3, v114
.LBB2_1439:                             ;   in Loop: Header=BB2_1292 Depth=2
	s_or_b32 exec_lo, exec_lo, s28
	v_bfe_i32 v85, v112, 0, 16
                                        ; implicit-def: $vgpr112
	s_delay_alu instid0(VALU_DEP_1) | instskip(NEXT) | instid1(VALU_DEP_1)
	v_and_b32_e32 v85, 0x80000000, v85
	v_lshl_add_u32 v17, v17, 23, v85
	s_delay_alu instid0(VALU_DEP_1) | instskip(NEXT) | instid1(VALU_DEP_1)
	v_lshl_or_b32 v17, v83, 21, v17
                                        ; implicit-def: $vgpr83
	v_add_nc_u32_e32 v17, 0x38000000, v17
.LBB2_1440:                             ;   in Loop: Header=BB2_1292 Depth=2
	s_and_not1_saveexec_b32 s27, s27
; %bb.1441:                             ;   in Loop: Header=BB2_1292 Depth=2
	v_cmp_lt_i16_e32 vcc_lo, -1, v112
	v_cndmask_b32_e32 v17, 0xff800000, v62, vcc_lo
	v_cmp_eq_u32_e32 vcc_lo, 0, v83
	s_delay_alu instid0(VALU_DEP_2)
	v_cndmask_b32_e32 v17, 0x7f800001, v17, vcc_lo
; %bb.1442:                             ;   in Loop: Header=BB2_1292 Depth=2
	s_or_b32 exec_lo, exec_lo, s27
.LBB2_1443:                             ;   in Loop: Header=BB2_1292 Depth=2
	s_delay_alu instid0(SALU_CYCLE_1)
	s_or_b32 exec_lo, exec_lo, s26
.LBB2_1444:                             ;   in Loop: Header=BB2_1292 Depth=2
	s_delay_alu instid0(SALU_CYCLE_1) | instskip(NEXT) | instid1(VALU_DEP_1)
	s_or_b32 exec_lo, exec_lo, s10
	v_dual_mul_f32 v83, v48, v17 :: v_dual_mov_b32 v113, v49
	s_delay_alu instid0(VALU_DEP_1) | instskip(SKIP_1) | instid1(VALU_DEP_2)
	v_and_b32_e32 v112, 0x7f800000, v83
	v_and_b32_e32 v48, 0x7fffff, v83
	v_cmp_ne_u64_e32 vcc_lo, 0x7f800000, v[112:113]
                                        ; implicit-def: $vgpr113
	s_and_saveexec_b32 s10, vcc_lo
	s_delay_alu instid0(SALU_CYCLE_1)
	s_xor_b32 s26, exec_lo, s10
	s_cbranch_execz .LBB2_1462
; %bb.1445:                             ;   in Loop: Header=BB2_1292 Depth=2
	v_and_b32_e32 v112, 0x7fffffff, v83
	v_dual_mov_b32 v113, v49 :: v_dual_lshrrev_b32 v17, 24, v83
	s_delay_alu instid0(VALU_DEP_1) | instskip(NEXT) | instid1(VALU_DEP_2)
	v_cmp_gt_u64_e32 vcc_lo, 0x47600001, v[112:113]
	v_and_b32_e32 v17, 0x80, v17
                                        ; implicit-def: $vgpr113
	s_and_saveexec_b32 s10, vcc_lo
	s_delay_alu instid0(SALU_CYCLE_1)
	s_xor_b32 s27, exec_lo, s10
	s_cbranch_execz .LBB2_1459
; %bb.1446:                             ;   in Loop: Header=BB2_1292 Depth=2
	v_mov_b32_e32 v113, 0
	s_mov_b32 s28, exec_lo
	v_cmpx_ne_u32_e32 0, v83
	s_cbranch_execz .LBB2_1458
; %bb.1447:                             ;   in Loop: Header=BB2_1292 Depth=2
	v_bfe_u32 v83, v83, 23, 8
	v_or_b32_e32 v97, 0x800000, v48
	s_delay_alu instid0(VALU_DEP_2) | instskip(SKIP_1) | instid1(VALU_DEP_2)
	v_sub_nc_u32_e32 v85, 0x71, v83
	v_cmp_gt_u32_e32 vcc_lo, 0x72, v83
	v_cndmask_b32_e32 v85, 0, v85, vcc_lo
	v_cmp_eq_u32_e32 vcc_lo, 0, v83
	s_delay_alu instid0(VALU_DEP_2) | instskip(NEXT) | instid1(VALU_DEP_1)
	v_cndmask_b32_e64 v85, v85, 0x70, vcc_lo
	v_dual_cndmask_b32 v48, v97, v48 :: v_dual_add_nc_u32 v87, 21, v85
	s_delay_alu instid0(VALU_DEP_1) | instskip(SKIP_1) | instid1(VALU_DEP_1)
	v_lshlrev_b64_e64 v[112:113], v87, -1
	v_add_nc_u32_e32 v87, 20, v85
	v_lshlrev_b64_e64 v[114:115], v87, 1
	s_delay_alu instid0(VALU_DEP_3) | instskip(NEXT) | instid1(VALU_DEP_4)
	v_bfi_b32 v119, v113, 0, 0
	v_bfi_b32 v118, v112, 0, v48
	v_lshrrev_b64 v[112:113], v85, v[48:49]
	s_delay_alu instid0(VALU_DEP_2) | instskip(NEXT) | instid1(VALU_DEP_2)
	v_cmp_eq_u64_e64 s10, v[118:119], v[114:115]
	v_mov_b64_e32 v[114:115], v[112:113]
	s_and_saveexec_b32 s29, s10
; %bb.1448:                             ;   in Loop: Header=BB2_1292 Depth=2
	v_bfe_u32 v48, v112, 21, 1
	s_delay_alu instid0(VALU_DEP_1) | instskip(NEXT) | instid1(VALU_DEP_1)
	v_add_nc_u64_e32 v[114:115], v[112:113], v[48:49]
	v_add_nc_u64_e32 v[114:115], -1, v[114:115]
; %bb.1449:                             ;   in Loop: Header=BB2_1292 Depth=2
	s_or_b32 exec_lo, exec_lo, s29
	v_add_nc_u32_e32 v48, 0xffffff81, v83
	v_lshrrev_b32_e32 v83, 23, v112
	s_mov_b32 s10, exec_lo
	s_delay_alu instid0(VALU_DEP_2) | instskip(NEXT) | instid1(VALU_DEP_1)
	v_cndmask_b32_e64 v48, v48, 0xffffff82, vcc_lo
	v_add3_u32 v85, v85, v48, v83
	v_and_b32_e32 v48, 0x1fffff, v114
                                        ; implicit-def: $vgpr83
	s_delay_alu instid0(VALU_DEP_1) | instskip(NEXT) | instid1(VALU_DEP_1)
	v_dual_add_nc_u32 v87, 14, v85 :: v_dual_add_nc_u32 v48, v48, v112
                                        ; implicit-def: $vgpr112_vgpr113
	v_cmpx_ne_u32_e32 0, v87
	s_xor_b32 s10, exec_lo, s10
; %bb.1450:                             ;   in Loop: Header=BB2_1292 Depth=2
	s_delay_alu instid0(VALU_DEP_2) | instskip(SKIP_2) | instid1(VALU_DEP_2)
	v_cmp_lt_u64_e32 vcc_lo, 0xffffff, v[48:49]
	v_add_nc_u32_e32 v83, 15, v85
	v_cndmask_b32_e64 v85, 0, 1, vcc_lo
	v_cndmask_b32_e32 v83, v87, v83, vcc_lo
	s_delay_alu instid0(VALU_DEP_2)
	v_lshrrev_b64 v[112:113], v85, v[48:49]
; %bb.1451:                             ;   in Loop: Header=BB2_1292 Depth=2
	s_and_not1_saveexec_b32 s10, s10
; %bb.1452:                             ;   in Loop: Header=BB2_1292 Depth=2
	v_mov_b64_e32 v[112:113], v[48:49]
	v_bfe_u32 v83, v48, 23, 1
; %bb.1453:                             ;   in Loop: Header=BB2_1292 Depth=2
	s_or_b32 exec_lo, exec_lo, s10
	s_delay_alu instid0(VALU_DEP_2) | instskip(NEXT) | instid1(VALU_DEP_2)
	v_lshrrev_b64 v[112:113], 21, v[112:113]
	v_cmp_gt_i32_e32 vcc_lo, 32, v83
	v_cmp_ne_u32_e64 s10, 0, v83
	s_delay_alu instid0(VALU_DEP_3) | instskip(NEXT) | instid1(VALU_DEP_1)
	v_dual_cndmask_b32 v113, 0, v113 :: v_dual_cndmask_b32 v112, 3, v112
	v_cmp_ne_u64_e32 vcc_lo, 0, v[112:113]
                                        ; implicit-def: $vgpr113
	s_or_b32 s10, s10, vcc_lo
	s_delay_alu instid0(SALU_CYCLE_1) | instskip(NEXT) | instid1(SALU_CYCLE_1)
	s_and_saveexec_b32 s29, s10
	s_xor_b32 s10, exec_lo, s29
; %bb.1454:                             ;   in Loop: Header=BB2_1292 Depth=2
	v_min_i32_e32 v48, 31, v83
	s_delay_alu instid0(VALU_DEP_1) | instskip(NEXT) | instid1(VALU_DEP_1)
	v_lshl_or_b32 v17, v48, 2, v17
	v_and_or_b32 v113, v112, 3, v17
                                        ; implicit-def: $vgpr17
; %bb.1455:                             ;   in Loop: Header=BB2_1292 Depth=2
	s_and_not1_saveexec_b32 s10, s10
; %bb.1456:                             ;   in Loop: Header=BB2_1292 Depth=2
	v_mov_b32_e32 v113, v17
; %bb.1457:                             ;   in Loop: Header=BB2_1292 Depth=2
	s_or_b32 exec_lo, exec_lo, s10
.LBB2_1458:                             ;   in Loop: Header=BB2_1292 Depth=2
	s_delay_alu instid0(SALU_CYCLE_1)
	s_or_b32 exec_lo, exec_lo, s28
                                        ; implicit-def: $vgpr17
.LBB2_1459:                             ;   in Loop: Header=BB2_1292 Depth=2
	s_and_not1_saveexec_b32 s10, s27
; %bb.1460:                             ;   in Loop: Header=BB2_1292 Depth=2
	v_or_b32_e32 v113, 0x7b, v17
; %bb.1461:                             ;   in Loop: Header=BB2_1292 Depth=2
	s_or_b32 exec_lo, exec_lo, s10
                                        ; implicit-def: $vgpr83
.LBB2_1462:                             ;   in Loop: Header=BB2_1292 Depth=2
	s_and_not1_saveexec_b32 s10, s26
	s_cbranch_execz .LBB2_1468
; %bb.1463:                             ;   in Loop: Header=BB2_1292 Depth=2
	s_mov_b32 s26, exec_lo
                                        ; implicit-def: $vgpr113
	v_cmpx_ne_u64_e32 0, v[48:49]
	s_xor_b32 s26, exec_lo, s26
; %bb.1464:                             ;   in Loop: Header=BB2_1292 Depth=2
	v_lshrrev_b32_e32 v17, 24, v83
                                        ; implicit-def: $vgpr83
	s_delay_alu instid0(VALU_DEP_1)
	v_or_b32_e32 v113, 0x7f, v17
; %bb.1465:                             ;   in Loop: Header=BB2_1292 Depth=2
	s_and_not1_saveexec_b32 s26, s26
; %bb.1466:                             ;   in Loop: Header=BB2_1292 Depth=2
	v_cmp_lt_i32_e32 vcc_lo, -1, v83
	v_cndmask_b32_e64 v113, -4, 0x7c, vcc_lo
; %bb.1467:                             ;   in Loop: Header=BB2_1292 Depth=2
	s_or_b32 exec_lo, exec_lo, s26
.LBB2_1468:                             ;   in Loop: Header=BB2_1292 Depth=2
	s_delay_alu instid0(SALU_CYCLE_1)
	s_or_b32 exec_lo, exec_lo, s10
	v_dual_mov_b32 v17, 0 :: v_dual_mov_b32 v48, 0
	s_mov_b32 s10, exec_lo
	v_cmpx_ne_u16_e32 0, v102
	s_cbranch_execz .LBB2_1478
; %bb.1469:                             ;   in Loop: Header=BB2_1292 Depth=2
	v_bfrev_b32_e32 v48, 1
	s_mov_b32 s26, exec_lo
	v_cmpx_ne_u16_e32 0xff80, v102
	s_cbranch_execz .LBB2_1477
; %bb.1470:                             ;   in Loop: Header=BB2_1292 Depth=2
	v_and_b32_e32 v48, 0x7c, v102
	v_and_b32_e32 v83, 3, v102
	s_delay_alu instid0(VALU_DEP_2) | instskip(SKIP_1) | instid1(SALU_CYCLE_1)
	v_cmp_ne_u32_e32 vcc_lo, 0x7c, v48
                                        ; implicit-def: $vgpr48
	s_and_saveexec_b32 s27, vcc_lo
	s_xor_b32 s27, exec_lo, s27
	s_cbranch_execz .LBB2_1474
; %bb.1471:                             ;   in Loop: Header=BB2_1292 Depth=2
	v_and_b32_e32 v48, 0xff, v102
	s_mov_b32 s28, exec_lo
	s_delay_alu instid0(VALU_DEP_1) | instskip(NEXT) | instid1(VALU_DEP_1)
	v_bfe_u32 v48, v48, 2, 5
	v_cmpx_eq_u32_e32 0, v48
	s_cbranch_execz .LBB2_1473
; %bb.1472:                             ;   in Loop: Header=BB2_1292 Depth=2
	v_clz_i32_u32_e32 v48, v83
	s_delay_alu instid0(VALU_DEP_1) | instskip(SKIP_1) | instid1(VALU_DEP_2)
	v_min_u32_e32 v48, 32, v48
	v_mov_b32_e32 v103, v49
	v_subrev_nc_u32_e32 v83, 29, v48
	v_sub_nc_u32_e32 v48, 30, v48
	s_delay_alu instid0(VALU_DEP_2) | instskip(NEXT) | instid1(VALU_DEP_1)
	v_lshlrev_b64_e32 v[114:115], v83, v[102:103]
	v_and_b32_e32 v83, 3, v114
.LBB2_1473:                             ;   in Loop: Header=BB2_1292 Depth=2
	s_or_b32 exec_lo, exec_lo, s28
	v_bfe_i32 v85, v102, 0, 16
                                        ; implicit-def: $vgpr102
	s_delay_alu instid0(VALU_DEP_1) | instskip(NEXT) | instid1(VALU_DEP_1)
	v_and_b32_e32 v85, 0x80000000, v85
	v_lshl_add_u32 v48, v48, 23, v85
	s_delay_alu instid0(VALU_DEP_1) | instskip(NEXT) | instid1(VALU_DEP_1)
	v_lshl_or_b32 v48, v83, 21, v48
                                        ; implicit-def: $vgpr83
	v_add_nc_u32_e32 v48, 0x38000000, v48
.LBB2_1474:                             ;   in Loop: Header=BB2_1292 Depth=2
	s_and_not1_saveexec_b32 s27, s27
; %bb.1475:                             ;   in Loop: Header=BB2_1292 Depth=2
	v_cmp_lt_i16_e32 vcc_lo, -1, v102
	v_cndmask_b32_e32 v48, 0xff800000, v62, vcc_lo
	v_cmp_eq_u32_e32 vcc_lo, 0, v83
	s_delay_alu instid0(VALU_DEP_2)
	v_cndmask_b32_e32 v48, 0x7f800001, v48, vcc_lo
; %bb.1476:                             ;   in Loop: Header=BB2_1292 Depth=2
	s_or_b32 exec_lo, exec_lo, s27
.LBB2_1477:                             ;   in Loop: Header=BB2_1292 Depth=2
	s_delay_alu instid0(SALU_CYCLE_1)
	s_or_b32 exec_lo, exec_lo, s26
.LBB2_1478:                             ;   in Loop: Header=BB2_1292 Depth=2
	s_delay_alu instid0(SALU_CYCLE_1) | instskip(NEXT) | instid1(SALU_CYCLE_1)
	s_or_b32 exec_lo, exec_lo, s10
	s_mov_b32 s10, exec_lo
	s_wait_loadcnt_dscnt 0x303
	v_cmpx_ne_u16_e32 0, v100
	s_cbranch_execz .LBB2_1488
; %bb.1479:                             ;   in Loop: Header=BB2_1292 Depth=2
	v_bfrev_b32_e32 v17, 1
	s_mov_b32 s26, exec_lo
	v_cmpx_ne_u16_e32 0xff80, v100
	s_cbranch_execz .LBB2_1487
; %bb.1480:                             ;   in Loop: Header=BB2_1292 Depth=2
	v_and_b32_e32 v17, 0x7c, v100
	v_and_b32_e32 v83, 3, v100
	s_delay_alu instid0(VALU_DEP_2) | instskip(SKIP_1) | instid1(SALU_CYCLE_1)
	v_cmp_ne_u32_e32 vcc_lo, 0x7c, v17
                                        ; implicit-def: $vgpr17
	s_and_saveexec_b32 s27, vcc_lo
	s_xor_b32 s27, exec_lo, s27
	s_cbranch_execz .LBB2_1484
; %bb.1481:                             ;   in Loop: Header=BB2_1292 Depth=2
	v_and_b32_e32 v17, 0xff, v100
	s_mov_b32 s28, exec_lo
	s_delay_alu instid0(VALU_DEP_1) | instskip(NEXT) | instid1(VALU_DEP_1)
	v_bfe_u32 v17, v17, 2, 5
	v_cmpx_eq_u32_e32 0, v17
	s_cbranch_execz .LBB2_1483
; %bb.1482:                             ;   in Loop: Header=BB2_1292 Depth=2
	v_clz_i32_u32_e32 v17, v83
	s_delay_alu instid0(VALU_DEP_1) | instskip(SKIP_1) | instid1(VALU_DEP_2)
	v_min_u32_e32 v17, 32, v17
	v_mov_b32_e32 v101, v49
	v_subrev_nc_u32_e32 v83, 29, v17
	v_sub_nc_u32_e32 v17, 30, v17
	s_delay_alu instid0(VALU_DEP_2) | instskip(NEXT) | instid1(VALU_DEP_1)
	v_lshlrev_b64_e32 v[102:103], v83, v[100:101]
	v_and_b32_e32 v83, 3, v102
.LBB2_1483:                             ;   in Loop: Header=BB2_1292 Depth=2
	s_or_b32 exec_lo, exec_lo, s28
	v_bfe_i32 v85, v100, 0, 16
                                        ; implicit-def: $vgpr100
	s_delay_alu instid0(VALU_DEP_1) | instskip(NEXT) | instid1(VALU_DEP_1)
	v_and_b32_e32 v85, 0x80000000, v85
	v_lshl_add_u32 v17, v17, 23, v85
	s_delay_alu instid0(VALU_DEP_1) | instskip(NEXT) | instid1(VALU_DEP_1)
	v_lshl_or_b32 v17, v83, 21, v17
                                        ; implicit-def: $vgpr83
	v_add_nc_u32_e32 v17, 0x38000000, v17
.LBB2_1484:                             ;   in Loop: Header=BB2_1292 Depth=2
	s_and_not1_saveexec_b32 s27, s27
; %bb.1485:                             ;   in Loop: Header=BB2_1292 Depth=2
	v_cmp_lt_i16_e32 vcc_lo, -1, v100
	v_cndmask_b32_e32 v17, 0xff800000, v62, vcc_lo
	v_cmp_eq_u32_e32 vcc_lo, 0, v83
	s_delay_alu instid0(VALU_DEP_2)
	v_cndmask_b32_e32 v17, 0x7f800001, v17, vcc_lo
; %bb.1486:                             ;   in Loop: Header=BB2_1292 Depth=2
	s_or_b32 exec_lo, exec_lo, s27
.LBB2_1487:                             ;   in Loop: Header=BB2_1292 Depth=2
	s_delay_alu instid0(SALU_CYCLE_1)
	s_or_b32 exec_lo, exec_lo, s26
.LBB2_1488:                             ;   in Loop: Header=BB2_1292 Depth=2
	s_delay_alu instid0(SALU_CYCLE_1) | instskip(NEXT) | instid1(VALU_DEP_1)
	s_or_b32 exec_lo, exec_lo, s10
	v_dual_mul_f32 v83, v48, v17 :: v_dual_mov_b32 v101, v49
	s_delay_alu instid0(VALU_DEP_1) | instskip(SKIP_1) | instid1(VALU_DEP_2)
	v_and_b32_e32 v100, 0x7f800000, v83
	v_and_b32_e32 v48, 0x7fffff, v83
	v_cmp_ne_u64_e32 vcc_lo, 0x7f800000, v[100:101]
                                        ; implicit-def: $vgpr101
	s_and_saveexec_b32 s10, vcc_lo
	s_delay_alu instid0(SALU_CYCLE_1)
	s_xor_b32 s26, exec_lo, s10
	s_cbranch_execz .LBB2_1506
; %bb.1489:                             ;   in Loop: Header=BB2_1292 Depth=2
	v_and_b32_e32 v100, 0x7fffffff, v83
	v_dual_mov_b32 v101, v49 :: v_dual_lshrrev_b32 v17, 24, v83
	s_delay_alu instid0(VALU_DEP_1) | instskip(NEXT) | instid1(VALU_DEP_2)
	v_cmp_gt_u64_e32 vcc_lo, 0x47600001, v[100:101]
	v_and_b32_e32 v17, 0x80, v17
                                        ; implicit-def: $vgpr101
	s_and_saveexec_b32 s10, vcc_lo
	s_delay_alu instid0(SALU_CYCLE_1)
	s_xor_b32 s27, exec_lo, s10
	s_cbranch_execz .LBB2_1503
; %bb.1490:                             ;   in Loop: Header=BB2_1292 Depth=2
	v_mov_b32_e32 v101, 0
	s_mov_b32 s28, exec_lo
	v_cmpx_ne_u32_e32 0, v83
	s_cbranch_execz .LBB2_1502
; %bb.1491:                             ;   in Loop: Header=BB2_1292 Depth=2
	v_bfe_u32 v83, v83, 23, 8
	v_or_b32_e32 v97, 0x800000, v48
	s_delay_alu instid0(VALU_DEP_2) | instskip(SKIP_1) | instid1(VALU_DEP_2)
	v_sub_nc_u32_e32 v85, 0x71, v83
	v_cmp_gt_u32_e32 vcc_lo, 0x72, v83
	v_cndmask_b32_e32 v85, 0, v85, vcc_lo
	v_cmp_eq_u32_e32 vcc_lo, 0, v83
	s_delay_alu instid0(VALU_DEP_2) | instskip(NEXT) | instid1(VALU_DEP_1)
	v_cndmask_b32_e64 v85, v85, 0x70, vcc_lo
	v_dual_cndmask_b32 v48, v97, v48 :: v_dual_add_nc_u32 v87, 21, v85
	s_delay_alu instid0(VALU_DEP_1) | instskip(SKIP_1) | instid1(VALU_DEP_1)
	v_lshlrev_b64_e64 v[100:101], v87, -1
	v_add_nc_u32_e32 v87, 20, v85
	v_lshlrev_b64_e64 v[102:103], v87, 1
	s_delay_alu instid0(VALU_DEP_3) | instskip(NEXT) | instid1(VALU_DEP_4)
	v_bfi_b32 v115, v101, 0, 0
	v_bfi_b32 v114, v100, 0, v48
	v_lshrrev_b64 v[100:101], v85, v[48:49]
	s_delay_alu instid0(VALU_DEP_2) | instskip(NEXT) | instid1(VALU_DEP_2)
	v_cmp_eq_u64_e64 s10, v[114:115], v[102:103]
	v_mov_b64_e32 v[102:103], v[100:101]
	s_and_saveexec_b32 s29, s10
; %bb.1492:                             ;   in Loop: Header=BB2_1292 Depth=2
	v_bfe_u32 v48, v100, 21, 1
	s_delay_alu instid0(VALU_DEP_1) | instskip(NEXT) | instid1(VALU_DEP_1)
	v_add_nc_u64_e32 v[102:103], v[100:101], v[48:49]
	v_add_nc_u64_e32 v[102:103], -1, v[102:103]
; %bb.1493:                             ;   in Loop: Header=BB2_1292 Depth=2
	s_or_b32 exec_lo, exec_lo, s29
	v_add_nc_u32_e32 v48, 0xffffff81, v83
	v_lshrrev_b32_e32 v83, 23, v100
	s_mov_b32 s10, exec_lo
	s_delay_alu instid0(VALU_DEP_2) | instskip(NEXT) | instid1(VALU_DEP_1)
	v_cndmask_b32_e64 v48, v48, 0xffffff82, vcc_lo
	v_add3_u32 v85, v85, v48, v83
	v_and_b32_e32 v48, 0x1fffff, v102
                                        ; implicit-def: $vgpr83
	s_delay_alu instid0(VALU_DEP_1) | instskip(NEXT) | instid1(VALU_DEP_1)
	v_dual_add_nc_u32 v87, 14, v85 :: v_dual_add_nc_u32 v48, v48, v100
                                        ; implicit-def: $vgpr100_vgpr101
	v_cmpx_ne_u32_e32 0, v87
	s_xor_b32 s10, exec_lo, s10
; %bb.1494:                             ;   in Loop: Header=BB2_1292 Depth=2
	s_delay_alu instid0(VALU_DEP_2) | instskip(SKIP_2) | instid1(VALU_DEP_2)
	v_cmp_lt_u64_e32 vcc_lo, 0xffffff, v[48:49]
	v_add_nc_u32_e32 v83, 15, v85
	v_cndmask_b32_e64 v85, 0, 1, vcc_lo
	v_cndmask_b32_e32 v83, v87, v83, vcc_lo
	s_delay_alu instid0(VALU_DEP_2)
	v_lshrrev_b64 v[100:101], v85, v[48:49]
; %bb.1495:                             ;   in Loop: Header=BB2_1292 Depth=2
	s_and_not1_saveexec_b32 s10, s10
; %bb.1496:                             ;   in Loop: Header=BB2_1292 Depth=2
	v_mov_b64_e32 v[100:101], v[48:49]
	v_bfe_u32 v83, v48, 23, 1
; %bb.1497:                             ;   in Loop: Header=BB2_1292 Depth=2
	s_or_b32 exec_lo, exec_lo, s10
	s_delay_alu instid0(VALU_DEP_2) | instskip(NEXT) | instid1(VALU_DEP_2)
	v_lshrrev_b64 v[100:101], 21, v[100:101]
	v_cmp_gt_i32_e32 vcc_lo, 32, v83
	v_cmp_ne_u32_e64 s10, 0, v83
	s_delay_alu instid0(VALU_DEP_3) | instskip(NEXT) | instid1(VALU_DEP_1)
	v_dual_cndmask_b32 v101, 0, v101 :: v_dual_cndmask_b32 v100, 3, v100
	v_cmp_ne_u64_e32 vcc_lo, 0, v[100:101]
                                        ; implicit-def: $vgpr101
	s_or_b32 s10, s10, vcc_lo
	s_delay_alu instid0(SALU_CYCLE_1) | instskip(NEXT) | instid1(SALU_CYCLE_1)
	s_and_saveexec_b32 s29, s10
	s_xor_b32 s10, exec_lo, s29
; %bb.1498:                             ;   in Loop: Header=BB2_1292 Depth=2
	v_min_i32_e32 v48, 31, v83
	s_delay_alu instid0(VALU_DEP_1) | instskip(NEXT) | instid1(VALU_DEP_1)
	v_lshl_or_b32 v17, v48, 2, v17
	v_and_or_b32 v101, v100, 3, v17
                                        ; implicit-def: $vgpr17
; %bb.1499:                             ;   in Loop: Header=BB2_1292 Depth=2
	s_and_not1_saveexec_b32 s10, s10
; %bb.1500:                             ;   in Loop: Header=BB2_1292 Depth=2
	v_mov_b32_e32 v101, v17
; %bb.1501:                             ;   in Loop: Header=BB2_1292 Depth=2
	s_or_b32 exec_lo, exec_lo, s10
.LBB2_1502:                             ;   in Loop: Header=BB2_1292 Depth=2
	s_delay_alu instid0(SALU_CYCLE_1)
	s_or_b32 exec_lo, exec_lo, s28
                                        ; implicit-def: $vgpr17
.LBB2_1503:                             ;   in Loop: Header=BB2_1292 Depth=2
	s_and_not1_saveexec_b32 s10, s27
; %bb.1504:                             ;   in Loop: Header=BB2_1292 Depth=2
	v_or_b32_e32 v101, 0x7b, v17
; %bb.1505:                             ;   in Loop: Header=BB2_1292 Depth=2
	s_or_b32 exec_lo, exec_lo, s10
                                        ; implicit-def: $vgpr83
.LBB2_1506:                             ;   in Loop: Header=BB2_1292 Depth=2
	s_and_not1_saveexec_b32 s10, s26
	s_cbranch_execz .LBB2_1512
; %bb.1507:                             ;   in Loop: Header=BB2_1292 Depth=2
	s_mov_b32 s26, exec_lo
                                        ; implicit-def: $vgpr101
	v_cmpx_ne_u64_e32 0, v[48:49]
	s_xor_b32 s26, exec_lo, s26
; %bb.1508:                             ;   in Loop: Header=BB2_1292 Depth=2
	v_lshrrev_b32_e32 v17, 24, v83
                                        ; implicit-def: $vgpr83
	s_delay_alu instid0(VALU_DEP_1)
	v_or_b32_e32 v101, 0x7f, v17
; %bb.1509:                             ;   in Loop: Header=BB2_1292 Depth=2
	s_and_not1_saveexec_b32 s26, s26
; %bb.1510:                             ;   in Loop: Header=BB2_1292 Depth=2
	v_cmp_lt_i32_e32 vcc_lo, -1, v83
	v_cndmask_b32_e64 v101, -4, 0x7c, vcc_lo
; %bb.1511:                             ;   in Loop: Header=BB2_1292 Depth=2
	s_or_b32 exec_lo, exec_lo, s26
.LBB2_1512:                             ;   in Loop: Header=BB2_1292 Depth=2
	s_delay_alu instid0(SALU_CYCLE_1)
	s_or_b32 exec_lo, exec_lo, s10
	v_dual_mov_b32 v17, 0 :: v_dual_mov_b32 v48, 0
	s_mov_b32 s10, exec_lo
	v_cmpx_ne_u16_e32 0, v98
	s_cbranch_execz .LBB2_1522
; %bb.1513:                             ;   in Loop: Header=BB2_1292 Depth=2
	v_bfrev_b32_e32 v48, 1
	s_mov_b32 s26, exec_lo
	v_cmpx_ne_u16_e32 0xff80, v98
	s_cbranch_execz .LBB2_1521
; %bb.1514:                             ;   in Loop: Header=BB2_1292 Depth=2
	v_and_b32_e32 v48, 0x7c, v98
	v_and_b32_e32 v83, 3, v98
	s_delay_alu instid0(VALU_DEP_2) | instskip(SKIP_1) | instid1(SALU_CYCLE_1)
	v_cmp_ne_u32_e32 vcc_lo, 0x7c, v48
                                        ; implicit-def: $vgpr48
	s_and_saveexec_b32 s27, vcc_lo
	s_xor_b32 s27, exec_lo, s27
	s_cbranch_execz .LBB2_1518
; %bb.1515:                             ;   in Loop: Header=BB2_1292 Depth=2
	v_and_b32_e32 v48, 0xff, v98
	s_mov_b32 s28, exec_lo
	s_delay_alu instid0(VALU_DEP_1) | instskip(NEXT) | instid1(VALU_DEP_1)
	v_bfe_u32 v48, v48, 2, 5
	v_cmpx_eq_u32_e32 0, v48
	s_cbranch_execz .LBB2_1517
; %bb.1516:                             ;   in Loop: Header=BB2_1292 Depth=2
	v_clz_i32_u32_e32 v48, v83
	s_delay_alu instid0(VALU_DEP_1) | instskip(SKIP_1) | instid1(VALU_DEP_2)
	v_min_u32_e32 v48, 32, v48
	v_mov_b32_e32 v99, v49
	v_subrev_nc_u32_e32 v83, 29, v48
	v_sub_nc_u32_e32 v48, 30, v48
	s_delay_alu instid0(VALU_DEP_2) | instskip(NEXT) | instid1(VALU_DEP_1)
	v_lshlrev_b64_e32 v[102:103], v83, v[98:99]
	v_and_b32_e32 v83, 3, v102
.LBB2_1517:                             ;   in Loop: Header=BB2_1292 Depth=2
	s_or_b32 exec_lo, exec_lo, s28
	v_bfe_i32 v85, v98, 0, 16
                                        ; implicit-def: $vgpr98
	s_delay_alu instid0(VALU_DEP_1) | instskip(NEXT) | instid1(VALU_DEP_1)
	v_and_b32_e32 v85, 0x80000000, v85
	v_lshl_add_u32 v48, v48, 23, v85
	s_delay_alu instid0(VALU_DEP_1) | instskip(NEXT) | instid1(VALU_DEP_1)
	v_lshl_or_b32 v48, v83, 21, v48
                                        ; implicit-def: $vgpr83
	v_add_nc_u32_e32 v48, 0x38000000, v48
.LBB2_1518:                             ;   in Loop: Header=BB2_1292 Depth=2
	s_and_not1_saveexec_b32 s27, s27
; %bb.1519:                             ;   in Loop: Header=BB2_1292 Depth=2
	v_cmp_lt_i16_e32 vcc_lo, -1, v98
	v_cndmask_b32_e32 v48, 0xff800000, v62, vcc_lo
	v_cmp_eq_u32_e32 vcc_lo, 0, v83
	s_delay_alu instid0(VALU_DEP_2)
	v_cndmask_b32_e32 v48, 0x7f800001, v48, vcc_lo
; %bb.1520:                             ;   in Loop: Header=BB2_1292 Depth=2
	s_or_b32 exec_lo, exec_lo, s27
.LBB2_1521:                             ;   in Loop: Header=BB2_1292 Depth=2
	s_delay_alu instid0(SALU_CYCLE_1)
	s_or_b32 exec_lo, exec_lo, s26
.LBB2_1522:                             ;   in Loop: Header=BB2_1292 Depth=2
	s_delay_alu instid0(SALU_CYCLE_1) | instskip(NEXT) | instid1(SALU_CYCLE_1)
	s_or_b32 exec_lo, exec_lo, s10
	s_mov_b32 s10, exec_lo
	s_wait_loadcnt_dscnt 0x202
	v_cmpx_ne_u16_e32 0, v96
	s_cbranch_execz .LBB2_1532
; %bb.1523:                             ;   in Loop: Header=BB2_1292 Depth=2
	v_bfrev_b32_e32 v17, 1
	s_mov_b32 s26, exec_lo
	v_cmpx_ne_u16_e32 0xff80, v96
	s_cbranch_execz .LBB2_1531
; %bb.1524:                             ;   in Loop: Header=BB2_1292 Depth=2
	v_and_b32_e32 v17, 0x7c, v96
	v_and_b32_e32 v83, 3, v96
	s_delay_alu instid0(VALU_DEP_2) | instskip(SKIP_1) | instid1(SALU_CYCLE_1)
	v_cmp_ne_u32_e32 vcc_lo, 0x7c, v17
                                        ; implicit-def: $vgpr17
	s_and_saveexec_b32 s27, vcc_lo
	s_xor_b32 s27, exec_lo, s27
	s_cbranch_execz .LBB2_1528
; %bb.1525:                             ;   in Loop: Header=BB2_1292 Depth=2
	v_and_b32_e32 v17, 0xff, v96
	s_mov_b32 s28, exec_lo
	s_delay_alu instid0(VALU_DEP_1) | instskip(NEXT) | instid1(VALU_DEP_1)
	v_bfe_u32 v17, v17, 2, 5
	v_cmpx_eq_u32_e32 0, v17
	s_cbranch_execz .LBB2_1527
; %bb.1526:                             ;   in Loop: Header=BB2_1292 Depth=2
	v_clz_i32_u32_e32 v17, v83
	s_delay_alu instid0(VALU_DEP_1) | instskip(SKIP_1) | instid1(VALU_DEP_2)
	v_min_u32_e32 v17, 32, v17
	v_mov_b32_e32 v97, v49
	v_subrev_nc_u32_e32 v83, 29, v17
	v_sub_nc_u32_e32 v17, 30, v17
	s_delay_alu instid0(VALU_DEP_2) | instskip(NEXT) | instid1(VALU_DEP_1)
	v_lshlrev_b64_e32 v[98:99], v83, v[96:97]
	v_and_b32_e32 v83, 3, v98
.LBB2_1527:                             ;   in Loop: Header=BB2_1292 Depth=2
	s_or_b32 exec_lo, exec_lo, s28
	v_bfe_i32 v85, v96, 0, 16
                                        ; implicit-def: $vgpr96
	s_delay_alu instid0(VALU_DEP_1) | instskip(NEXT) | instid1(VALU_DEP_1)
	v_and_b32_e32 v85, 0x80000000, v85
	v_lshl_add_u32 v17, v17, 23, v85
	s_delay_alu instid0(VALU_DEP_1) | instskip(NEXT) | instid1(VALU_DEP_1)
	v_lshl_or_b32 v17, v83, 21, v17
                                        ; implicit-def: $vgpr83
	v_add_nc_u32_e32 v17, 0x38000000, v17
.LBB2_1528:                             ;   in Loop: Header=BB2_1292 Depth=2
	s_and_not1_saveexec_b32 s27, s27
; %bb.1529:                             ;   in Loop: Header=BB2_1292 Depth=2
	v_cmp_lt_i16_e32 vcc_lo, -1, v96
	v_cndmask_b32_e32 v17, 0xff800000, v62, vcc_lo
	v_cmp_eq_u32_e32 vcc_lo, 0, v83
	s_delay_alu instid0(VALU_DEP_2)
	v_cndmask_b32_e32 v17, 0x7f800001, v17, vcc_lo
; %bb.1530:                             ;   in Loop: Header=BB2_1292 Depth=2
	s_or_b32 exec_lo, exec_lo, s27
.LBB2_1531:                             ;   in Loop: Header=BB2_1292 Depth=2
	s_delay_alu instid0(SALU_CYCLE_1)
	s_or_b32 exec_lo, exec_lo, s26
.LBB2_1532:                             ;   in Loop: Header=BB2_1292 Depth=2
	s_delay_alu instid0(SALU_CYCLE_1) | instskip(NEXT) | instid1(VALU_DEP_1)
	s_or_b32 exec_lo, exec_lo, s10
	v_dual_mul_f32 v83, v48, v17 :: v_dual_mov_b32 v97, v49
	s_delay_alu instid0(VALU_DEP_1) | instskip(SKIP_1) | instid1(VALU_DEP_2)
	v_and_b32_e32 v96, 0x7f800000, v83
	v_and_b32_e32 v48, 0x7fffff, v83
	v_cmp_ne_u64_e32 vcc_lo, 0x7f800000, v[96:97]
                                        ; implicit-def: $vgpr97
	s_and_saveexec_b32 s10, vcc_lo
	s_delay_alu instid0(SALU_CYCLE_1)
	s_xor_b32 s26, exec_lo, s10
	s_cbranch_execz .LBB2_1550
; %bb.1533:                             ;   in Loop: Header=BB2_1292 Depth=2
	v_and_b32_e32 v96, 0x7fffffff, v83
	v_dual_mov_b32 v97, v49 :: v_dual_lshrrev_b32 v17, 24, v83
	s_delay_alu instid0(VALU_DEP_1) | instskip(NEXT) | instid1(VALU_DEP_2)
	v_cmp_gt_u64_e32 vcc_lo, 0x47600001, v[96:97]
	v_and_b32_e32 v17, 0x80, v17
                                        ; implicit-def: $vgpr97
	s_and_saveexec_b32 s10, vcc_lo
	s_delay_alu instid0(SALU_CYCLE_1)
	s_xor_b32 s27, exec_lo, s10
	s_cbranch_execz .LBB2_1547
; %bb.1534:                             ;   in Loop: Header=BB2_1292 Depth=2
	v_mov_b32_e32 v97, 0
	s_mov_b32 s28, exec_lo
	v_cmpx_ne_u32_e32 0, v83
	s_cbranch_execz .LBB2_1546
; %bb.1535:                             ;   in Loop: Header=BB2_1292 Depth=2
	v_bfe_u32 v83, v83, 23, 8
	v_or_b32_e32 v98, 0x800000, v48
	s_delay_alu instid0(VALU_DEP_2) | instskip(SKIP_1) | instid1(VALU_DEP_2)
	v_sub_nc_u32_e32 v85, 0x71, v83
	v_cmp_gt_u32_e32 vcc_lo, 0x72, v83
	v_cndmask_b32_e32 v85, 0, v85, vcc_lo
	v_cmp_eq_u32_e32 vcc_lo, 0, v83
	s_delay_alu instid0(VALU_DEP_2) | instskip(NEXT) | instid1(VALU_DEP_1)
	v_cndmask_b32_e64 v85, v85, 0x70, vcc_lo
	v_dual_cndmask_b32 v48, v98, v48 :: v_dual_add_nc_u32 v87, 21, v85
	s_delay_alu instid0(VALU_DEP_1) | instskip(SKIP_1) | instid1(VALU_DEP_1)
	v_lshlrev_b64_e64 v[96:97], v87, -1
	v_add_nc_u32_e32 v87, 20, v85
	v_lshlrev_b64_e64 v[98:99], v87, 1
	s_delay_alu instid0(VALU_DEP_3) | instskip(NEXT) | instid1(VALU_DEP_4)
	v_bfi_b32 v103, v97, 0, 0
	v_bfi_b32 v102, v96, 0, v48
	v_lshrrev_b64 v[96:97], v85, v[48:49]
	s_delay_alu instid0(VALU_DEP_2) | instskip(NEXT) | instid1(VALU_DEP_2)
	v_cmp_eq_u64_e64 s10, v[102:103], v[98:99]
	v_mov_b64_e32 v[98:99], v[96:97]
	s_and_saveexec_b32 s29, s10
; %bb.1536:                             ;   in Loop: Header=BB2_1292 Depth=2
	v_bfe_u32 v48, v96, 21, 1
	s_delay_alu instid0(VALU_DEP_1) | instskip(NEXT) | instid1(VALU_DEP_1)
	v_add_nc_u64_e32 v[98:99], v[96:97], v[48:49]
	v_add_nc_u64_e32 v[98:99], -1, v[98:99]
; %bb.1537:                             ;   in Loop: Header=BB2_1292 Depth=2
	s_or_b32 exec_lo, exec_lo, s29
	v_add_nc_u32_e32 v48, 0xffffff81, v83
	v_lshrrev_b32_e32 v83, 23, v96
	s_mov_b32 s10, exec_lo
	s_delay_alu instid0(VALU_DEP_2) | instskip(NEXT) | instid1(VALU_DEP_1)
	v_cndmask_b32_e64 v48, v48, 0xffffff82, vcc_lo
	v_add3_u32 v85, v85, v48, v83
	v_and_b32_e32 v48, 0x1fffff, v98
                                        ; implicit-def: $vgpr83
	s_delay_alu instid0(VALU_DEP_1) | instskip(NEXT) | instid1(VALU_DEP_1)
	v_dual_add_nc_u32 v87, 14, v85 :: v_dual_add_nc_u32 v48, v48, v96
                                        ; implicit-def: $vgpr96_vgpr97
	v_cmpx_ne_u32_e32 0, v87
	s_xor_b32 s10, exec_lo, s10
; %bb.1538:                             ;   in Loop: Header=BB2_1292 Depth=2
	s_delay_alu instid0(VALU_DEP_2) | instskip(SKIP_2) | instid1(VALU_DEP_2)
	v_cmp_lt_u64_e32 vcc_lo, 0xffffff, v[48:49]
	v_add_nc_u32_e32 v83, 15, v85
	v_cndmask_b32_e64 v85, 0, 1, vcc_lo
	v_cndmask_b32_e32 v83, v87, v83, vcc_lo
	s_delay_alu instid0(VALU_DEP_2)
	v_lshrrev_b64 v[96:97], v85, v[48:49]
; %bb.1539:                             ;   in Loop: Header=BB2_1292 Depth=2
	s_and_not1_saveexec_b32 s10, s10
; %bb.1540:                             ;   in Loop: Header=BB2_1292 Depth=2
	v_mov_b64_e32 v[96:97], v[48:49]
	v_bfe_u32 v83, v48, 23, 1
; %bb.1541:                             ;   in Loop: Header=BB2_1292 Depth=2
	s_or_b32 exec_lo, exec_lo, s10
	s_delay_alu instid0(VALU_DEP_2) | instskip(NEXT) | instid1(VALU_DEP_2)
	v_lshrrev_b64 v[96:97], 21, v[96:97]
	v_cmp_gt_i32_e32 vcc_lo, 32, v83
	v_cmp_ne_u32_e64 s10, 0, v83
	s_delay_alu instid0(VALU_DEP_3) | instskip(NEXT) | instid1(VALU_DEP_1)
	v_dual_cndmask_b32 v97, 0, v97 :: v_dual_cndmask_b32 v96, 3, v96
	v_cmp_ne_u64_e32 vcc_lo, 0, v[96:97]
                                        ; implicit-def: $vgpr97
	s_or_b32 s10, s10, vcc_lo
	s_delay_alu instid0(SALU_CYCLE_1) | instskip(NEXT) | instid1(SALU_CYCLE_1)
	s_and_saveexec_b32 s29, s10
	s_xor_b32 s10, exec_lo, s29
; %bb.1542:                             ;   in Loop: Header=BB2_1292 Depth=2
	v_min_i32_e32 v48, 31, v83
	s_delay_alu instid0(VALU_DEP_1) | instskip(NEXT) | instid1(VALU_DEP_1)
	v_lshl_or_b32 v17, v48, 2, v17
	v_and_or_b32 v97, v96, 3, v17
                                        ; implicit-def: $vgpr17
; %bb.1543:                             ;   in Loop: Header=BB2_1292 Depth=2
	s_and_not1_saveexec_b32 s10, s10
; %bb.1544:                             ;   in Loop: Header=BB2_1292 Depth=2
	v_mov_b32_e32 v97, v17
; %bb.1545:                             ;   in Loop: Header=BB2_1292 Depth=2
	s_or_b32 exec_lo, exec_lo, s10
.LBB2_1546:                             ;   in Loop: Header=BB2_1292 Depth=2
	s_delay_alu instid0(SALU_CYCLE_1)
	s_or_b32 exec_lo, exec_lo, s28
                                        ; implicit-def: $vgpr17
.LBB2_1547:                             ;   in Loop: Header=BB2_1292 Depth=2
	s_and_not1_saveexec_b32 s10, s27
; %bb.1548:                             ;   in Loop: Header=BB2_1292 Depth=2
	v_or_b32_e32 v97, 0x7b, v17
; %bb.1549:                             ;   in Loop: Header=BB2_1292 Depth=2
	s_or_b32 exec_lo, exec_lo, s10
                                        ; implicit-def: $vgpr83
.LBB2_1550:                             ;   in Loop: Header=BB2_1292 Depth=2
	s_and_not1_saveexec_b32 s10, s26
	s_cbranch_execz .LBB2_1556
; %bb.1551:                             ;   in Loop: Header=BB2_1292 Depth=2
	s_mov_b32 s26, exec_lo
                                        ; implicit-def: $vgpr97
	v_cmpx_ne_u64_e32 0, v[48:49]
	s_xor_b32 s26, exec_lo, s26
; %bb.1552:                             ;   in Loop: Header=BB2_1292 Depth=2
	v_lshrrev_b32_e32 v17, 24, v83
                                        ; implicit-def: $vgpr83
	s_delay_alu instid0(VALU_DEP_1)
	v_or_b32_e32 v97, 0x7f, v17
; %bb.1553:                             ;   in Loop: Header=BB2_1292 Depth=2
	s_and_not1_saveexec_b32 s26, s26
; %bb.1554:                             ;   in Loop: Header=BB2_1292 Depth=2
	v_cmp_lt_i32_e32 vcc_lo, -1, v83
	v_cndmask_b32_e64 v97, -4, 0x7c, vcc_lo
; %bb.1555:                             ;   in Loop: Header=BB2_1292 Depth=2
	s_or_b32 exec_lo, exec_lo, s26
.LBB2_1556:                             ;   in Loop: Header=BB2_1292 Depth=2
	s_delay_alu instid0(SALU_CYCLE_1)
	s_or_b32 exec_lo, exec_lo, s10
	v_dual_mov_b32 v17, 0 :: v_dual_mov_b32 v48, 0
	s_mov_b32 s10, exec_lo
	v_cmpx_ne_u16_e32 0, v86
	s_cbranch_execz .LBB2_1566
; %bb.1557:                             ;   in Loop: Header=BB2_1292 Depth=2
	v_bfrev_b32_e32 v48, 1
	s_mov_b32 s26, exec_lo
	v_cmpx_ne_u16_e32 0xff80, v86
	s_cbranch_execz .LBB2_1565
; %bb.1558:                             ;   in Loop: Header=BB2_1292 Depth=2
	v_and_b32_e32 v48, 0x7c, v86
	v_and_b32_e32 v83, 3, v86
	s_delay_alu instid0(VALU_DEP_2) | instskip(SKIP_1) | instid1(SALU_CYCLE_1)
	v_cmp_ne_u32_e32 vcc_lo, 0x7c, v48
                                        ; implicit-def: $vgpr48
	s_and_saveexec_b32 s27, vcc_lo
	s_xor_b32 s27, exec_lo, s27
	s_cbranch_execz .LBB2_1562
; %bb.1559:                             ;   in Loop: Header=BB2_1292 Depth=2
	v_and_b32_e32 v48, 0xff, v86
	s_mov_b32 s28, exec_lo
	s_delay_alu instid0(VALU_DEP_1) | instskip(NEXT) | instid1(VALU_DEP_1)
	v_bfe_u32 v48, v48, 2, 5
	v_cmpx_eq_u32_e32 0, v48
	s_cbranch_execz .LBB2_1561
; %bb.1560:                             ;   in Loop: Header=BB2_1292 Depth=2
	v_clz_i32_u32_e32 v48, v83
	s_delay_alu instid0(VALU_DEP_1) | instskip(SKIP_1) | instid1(VALU_DEP_2)
	v_min_u32_e32 v48, 32, v48
	v_mov_b32_e32 v87, v49
	v_subrev_nc_u32_e32 v83, 29, v48
	v_sub_nc_u32_e32 v48, 30, v48
	s_delay_alu instid0(VALU_DEP_2) | instskip(NEXT) | instid1(VALU_DEP_1)
	v_lshlrev_b64_e32 v[98:99], v83, v[86:87]
	v_and_b32_e32 v83, 3, v98
.LBB2_1561:                             ;   in Loop: Header=BB2_1292 Depth=2
	s_or_b32 exec_lo, exec_lo, s28
	v_bfe_i32 v85, v86, 0, 16
                                        ; implicit-def: $vgpr86
	s_delay_alu instid0(VALU_DEP_1) | instskip(NEXT) | instid1(VALU_DEP_1)
	v_and_b32_e32 v85, 0x80000000, v85
	v_lshl_add_u32 v48, v48, 23, v85
	s_delay_alu instid0(VALU_DEP_1) | instskip(NEXT) | instid1(VALU_DEP_1)
	v_lshl_or_b32 v48, v83, 21, v48
                                        ; implicit-def: $vgpr83
	v_add_nc_u32_e32 v48, 0x38000000, v48
.LBB2_1562:                             ;   in Loop: Header=BB2_1292 Depth=2
	s_and_not1_saveexec_b32 s27, s27
; %bb.1563:                             ;   in Loop: Header=BB2_1292 Depth=2
	v_cmp_lt_i16_e32 vcc_lo, -1, v86
	v_cndmask_b32_e32 v48, 0xff800000, v62, vcc_lo
	v_cmp_eq_u32_e32 vcc_lo, 0, v83
	s_delay_alu instid0(VALU_DEP_2)
	v_cndmask_b32_e32 v48, 0x7f800001, v48, vcc_lo
; %bb.1564:                             ;   in Loop: Header=BB2_1292 Depth=2
	s_or_b32 exec_lo, exec_lo, s27
.LBB2_1565:                             ;   in Loop: Header=BB2_1292 Depth=2
	s_delay_alu instid0(SALU_CYCLE_1)
	s_or_b32 exec_lo, exec_lo, s26
.LBB2_1566:                             ;   in Loop: Header=BB2_1292 Depth=2
	s_delay_alu instid0(SALU_CYCLE_1) | instskip(NEXT) | instid1(SALU_CYCLE_1)
	s_or_b32 exec_lo, exec_lo, s10
	s_mov_b32 s10, exec_lo
	s_wait_loadcnt_dscnt 0x101
	v_cmpx_ne_u16_e32 0, v84
	s_cbranch_execz .LBB2_1576
; %bb.1567:                             ;   in Loop: Header=BB2_1292 Depth=2
	v_bfrev_b32_e32 v17, 1
	s_mov_b32 s26, exec_lo
	v_cmpx_ne_u16_e32 0xff80, v84
	s_cbranch_execz .LBB2_1575
; %bb.1568:                             ;   in Loop: Header=BB2_1292 Depth=2
	v_and_b32_e32 v17, 0x7c, v84
	v_and_b32_e32 v83, 3, v84
	s_delay_alu instid0(VALU_DEP_2) | instskip(SKIP_1) | instid1(SALU_CYCLE_1)
	v_cmp_ne_u32_e32 vcc_lo, 0x7c, v17
                                        ; implicit-def: $vgpr17
	s_and_saveexec_b32 s27, vcc_lo
	s_xor_b32 s27, exec_lo, s27
	s_cbranch_execz .LBB2_1572
; %bb.1569:                             ;   in Loop: Header=BB2_1292 Depth=2
	v_and_b32_e32 v17, 0xff, v84
	s_mov_b32 s28, exec_lo
	s_delay_alu instid0(VALU_DEP_1) | instskip(NEXT) | instid1(VALU_DEP_1)
	v_bfe_u32 v17, v17, 2, 5
	v_cmpx_eq_u32_e32 0, v17
	s_cbranch_execz .LBB2_1571
; %bb.1570:                             ;   in Loop: Header=BB2_1292 Depth=2
	v_clz_i32_u32_e32 v17, v83
	s_delay_alu instid0(VALU_DEP_1) | instskip(SKIP_1) | instid1(VALU_DEP_2)
	v_min_u32_e32 v17, 32, v17
	v_mov_b32_e32 v85, v49
	v_subrev_nc_u32_e32 v83, 29, v17
	v_sub_nc_u32_e32 v17, 30, v17
	s_delay_alu instid0(VALU_DEP_2) | instskip(NEXT) | instid1(VALU_DEP_1)
	v_lshlrev_b64_e32 v[86:87], v83, v[84:85]
	v_and_b32_e32 v83, 3, v86
.LBB2_1571:                             ;   in Loop: Header=BB2_1292 Depth=2
	s_or_b32 exec_lo, exec_lo, s28
	v_bfe_i32 v84, v84, 0, 16
	s_delay_alu instid0(VALU_DEP_1) | instskip(NEXT) | instid1(VALU_DEP_1)
	v_and_b32_e32 v84, 0x80000000, v84
	v_lshl_add_u32 v17, v17, 23, v84
                                        ; implicit-def: $vgpr84
	s_delay_alu instid0(VALU_DEP_1) | instskip(NEXT) | instid1(VALU_DEP_1)
	v_lshl_or_b32 v17, v83, 21, v17
                                        ; implicit-def: $vgpr83
	v_add_nc_u32_e32 v17, 0x38000000, v17
.LBB2_1572:                             ;   in Loop: Header=BB2_1292 Depth=2
	s_and_not1_saveexec_b32 s27, s27
; %bb.1573:                             ;   in Loop: Header=BB2_1292 Depth=2
	v_cmp_lt_i16_e32 vcc_lo, -1, v84
	v_cndmask_b32_e32 v17, 0xff800000, v62, vcc_lo
	v_cmp_eq_u32_e32 vcc_lo, 0, v83
	s_delay_alu instid0(VALU_DEP_2)
	v_cndmask_b32_e32 v17, 0x7f800001, v17, vcc_lo
; %bb.1574:                             ;   in Loop: Header=BB2_1292 Depth=2
	s_or_b32 exec_lo, exec_lo, s27
.LBB2_1575:                             ;   in Loop: Header=BB2_1292 Depth=2
	s_delay_alu instid0(SALU_CYCLE_1)
	s_or_b32 exec_lo, exec_lo, s26
.LBB2_1576:                             ;   in Loop: Header=BB2_1292 Depth=2
	s_delay_alu instid0(SALU_CYCLE_1) | instskip(NEXT) | instid1(VALU_DEP_1)
	s_or_b32 exec_lo, exec_lo, s10
	v_dual_mul_f32 v83, v48, v17 :: v_dual_mov_b32 v85, v49
	s_delay_alu instid0(VALU_DEP_1) | instskip(SKIP_1) | instid1(VALU_DEP_2)
	v_and_b32_e32 v84, 0x7f800000, v83
	v_and_b32_e32 v48, 0x7fffff, v83
	v_cmp_ne_u64_e32 vcc_lo, 0x7f800000, v[84:85]
                                        ; implicit-def: $vgpr85
	s_and_saveexec_b32 s10, vcc_lo
	s_delay_alu instid0(SALU_CYCLE_1)
	s_xor_b32 s26, exec_lo, s10
	s_cbranch_execz .LBB2_1594
; %bb.1577:                             ;   in Loop: Header=BB2_1292 Depth=2
	v_and_b32_e32 v84, 0x7fffffff, v83
	v_dual_mov_b32 v85, v49 :: v_dual_lshrrev_b32 v17, 24, v83
	s_delay_alu instid0(VALU_DEP_1) | instskip(NEXT) | instid1(VALU_DEP_2)
	v_cmp_gt_u64_e32 vcc_lo, 0x47600001, v[84:85]
	v_and_b32_e32 v17, 0x80, v17
                                        ; implicit-def: $vgpr85
	s_and_saveexec_b32 s10, vcc_lo
	s_delay_alu instid0(SALU_CYCLE_1)
	s_xor_b32 s27, exec_lo, s10
	s_cbranch_execz .LBB2_1591
; %bb.1578:                             ;   in Loop: Header=BB2_1292 Depth=2
	v_mov_b32_e32 v85, 0
	s_mov_b32 s28, exec_lo
	v_cmpx_ne_u32_e32 0, v83
	s_cbranch_execz .LBB2_1590
; %bb.1579:                             ;   in Loop: Header=BB2_1292 Depth=2
	v_bfe_u32 v83, v83, 23, 8
	v_or_b32_e32 v86, 0x800000, v48
	s_delay_alu instid0(VALU_DEP_2) | instskip(SKIP_1) | instid1(VALU_DEP_2)
	v_sub_nc_u32_e32 v84, 0x71, v83
	v_cmp_gt_u32_e32 vcc_lo, 0x72, v83
	v_cndmask_b32_e32 v84, 0, v84, vcc_lo
	v_cmp_eq_u32_e32 vcc_lo, 0, v83
	s_delay_alu instid0(VALU_DEP_2) | instskip(SKIP_1) | instid1(VALU_DEP_2)
	v_cndmask_b32_e64 v96, v84, 0x70, vcc_lo
	v_cndmask_b32_e32 v48, v86, v48, vcc_lo
	v_dual_add_nc_u32 v84, 21, v96 :: v_dual_add_nc_u32 v87, 20, v96
	s_delay_alu instid0(VALU_DEP_1) | instskip(NEXT) | instid1(VALU_DEP_2)
	v_lshlrev_b64_e64 v[84:85], v84, -1
	v_lshlrev_b64_e64 v[86:87], v87, 1
	s_delay_alu instid0(VALU_DEP_2) | instskip(NEXT) | instid1(VALU_DEP_3)
	v_bfi_b32 v99, v85, 0, 0
	v_bfi_b32 v98, v84, 0, v48
	v_lshrrev_b64 v[84:85], v96, v[48:49]
	s_delay_alu instid0(VALU_DEP_2) | instskip(NEXT) | instid1(VALU_DEP_2)
	v_cmp_eq_u64_e64 s10, v[98:99], v[86:87]
	v_mov_b64_e32 v[86:87], v[84:85]
	s_and_saveexec_b32 s29, s10
; %bb.1580:                             ;   in Loop: Header=BB2_1292 Depth=2
	v_bfe_u32 v48, v84, 21, 1
	s_delay_alu instid0(VALU_DEP_1) | instskip(NEXT) | instid1(VALU_DEP_1)
	v_add_nc_u64_e32 v[86:87], v[84:85], v[48:49]
	v_add_nc_u64_e32 v[86:87], -1, v[86:87]
; %bb.1581:                             ;   in Loop: Header=BB2_1292 Depth=2
	s_or_b32 exec_lo, exec_lo, s29
	v_add_nc_u32_e32 v48, 0xffffff81, v83
	v_lshrrev_b32_e32 v83, 23, v84
	s_mov_b32 s10, exec_lo
	s_delay_alu instid0(VALU_DEP_2) | instskip(NEXT) | instid1(VALU_DEP_1)
	v_cndmask_b32_e64 v48, v48, 0xffffff82, vcc_lo
	v_add3_u32 v87, v96, v48, v83
	v_and_b32_e32 v48, 0x1fffff, v86
                                        ; implicit-def: $vgpr83
	s_delay_alu instid0(VALU_DEP_1) | instskip(NEXT) | instid1(VALU_DEP_1)
	v_dual_add_nc_u32 v86, 14, v87 :: v_dual_add_nc_u32 v48, v48, v84
                                        ; implicit-def: $vgpr84_vgpr85
	v_cmpx_ne_u32_e32 0, v86
	s_xor_b32 s10, exec_lo, s10
; %bb.1582:                             ;   in Loop: Header=BB2_1292 Depth=2
	s_delay_alu instid0(VALU_DEP_2) | instskip(SKIP_2) | instid1(VALU_DEP_2)
	v_cmp_lt_u64_e32 vcc_lo, 0xffffff, v[48:49]
	v_add_nc_u32_e32 v83, 15, v87
	v_cndmask_b32_e64 v84, 0, 1, vcc_lo
	v_cndmask_b32_e32 v83, v86, v83, vcc_lo
	s_delay_alu instid0(VALU_DEP_2)
	v_lshrrev_b64 v[84:85], v84, v[48:49]
; %bb.1583:                             ;   in Loop: Header=BB2_1292 Depth=2
	s_and_not1_saveexec_b32 s10, s10
; %bb.1584:                             ;   in Loop: Header=BB2_1292 Depth=2
	v_mov_b64_e32 v[84:85], v[48:49]
	v_bfe_u32 v83, v48, 23, 1
; %bb.1585:                             ;   in Loop: Header=BB2_1292 Depth=2
	s_or_b32 exec_lo, exec_lo, s10
	s_delay_alu instid0(VALU_DEP_2) | instskip(NEXT) | instid1(VALU_DEP_2)
	v_lshrrev_b64 v[84:85], 21, v[84:85]
	v_cmp_gt_i32_e32 vcc_lo, 32, v83
	v_cmp_ne_u32_e64 s10, 0, v83
	s_delay_alu instid0(VALU_DEP_3) | instskip(NEXT) | instid1(VALU_DEP_1)
	v_dual_cndmask_b32 v85, 0, v85 :: v_dual_cndmask_b32 v84, 3, v84
	v_cmp_ne_u64_e32 vcc_lo, 0, v[84:85]
                                        ; implicit-def: $vgpr85
	s_or_b32 s10, s10, vcc_lo
	s_delay_alu instid0(SALU_CYCLE_1) | instskip(NEXT) | instid1(SALU_CYCLE_1)
	s_and_saveexec_b32 s29, s10
	s_xor_b32 s10, exec_lo, s29
; %bb.1586:                             ;   in Loop: Header=BB2_1292 Depth=2
	v_min_i32_e32 v48, 31, v83
	s_delay_alu instid0(VALU_DEP_1) | instskip(NEXT) | instid1(VALU_DEP_1)
	v_lshl_or_b32 v17, v48, 2, v17
	v_and_or_b32 v85, v84, 3, v17
                                        ; implicit-def: $vgpr17
; %bb.1587:                             ;   in Loop: Header=BB2_1292 Depth=2
	s_and_not1_saveexec_b32 s10, s10
; %bb.1588:                             ;   in Loop: Header=BB2_1292 Depth=2
	v_mov_b32_e32 v85, v17
; %bb.1589:                             ;   in Loop: Header=BB2_1292 Depth=2
	s_or_b32 exec_lo, exec_lo, s10
.LBB2_1590:                             ;   in Loop: Header=BB2_1292 Depth=2
	s_delay_alu instid0(SALU_CYCLE_1)
	s_or_b32 exec_lo, exec_lo, s28
                                        ; implicit-def: $vgpr17
.LBB2_1591:                             ;   in Loop: Header=BB2_1292 Depth=2
	s_and_not1_saveexec_b32 s10, s27
; %bb.1592:                             ;   in Loop: Header=BB2_1292 Depth=2
	v_or_b32_e32 v85, 0x7b, v17
; %bb.1593:                             ;   in Loop: Header=BB2_1292 Depth=2
	s_or_b32 exec_lo, exec_lo, s10
                                        ; implicit-def: $vgpr83
.LBB2_1594:                             ;   in Loop: Header=BB2_1292 Depth=2
	s_and_not1_saveexec_b32 s10, s26
	s_cbranch_execz .LBB2_1600
; %bb.1595:                             ;   in Loop: Header=BB2_1292 Depth=2
	s_mov_b32 s26, exec_lo
                                        ; implicit-def: $vgpr85
	v_cmpx_ne_u64_e32 0, v[48:49]
	s_xor_b32 s26, exec_lo, s26
; %bb.1596:                             ;   in Loop: Header=BB2_1292 Depth=2
	v_lshrrev_b32_e32 v17, 24, v83
                                        ; implicit-def: $vgpr83
	s_delay_alu instid0(VALU_DEP_1)
	v_or_b32_e32 v85, 0x7f, v17
; %bb.1597:                             ;   in Loop: Header=BB2_1292 Depth=2
	s_and_not1_saveexec_b32 s26, s26
; %bb.1598:                             ;   in Loop: Header=BB2_1292 Depth=2
	v_cmp_lt_i32_e32 vcc_lo, -1, v83
	v_cndmask_b32_e64 v85, -4, 0x7c, vcc_lo
; %bb.1599:                             ;   in Loop: Header=BB2_1292 Depth=2
	s_or_b32 exec_lo, exec_lo, s26
.LBB2_1600:                             ;   in Loop: Header=BB2_1292 Depth=2
	s_delay_alu instid0(SALU_CYCLE_1)
	s_or_b32 exec_lo, exec_lo, s10
	v_dual_mov_b32 v17, 0 :: v_dual_mov_b32 v48, 0
	s_mov_b32 s10, exec_lo
	v_cmpx_ne_u16_e32 0, v82
	s_cbranch_execz .LBB2_1610
; %bb.1601:                             ;   in Loop: Header=BB2_1292 Depth=2
	v_bfrev_b32_e32 v48, 1
	s_mov_b32 s26, exec_lo
	v_cmpx_ne_u16_e32 0xff80, v82
	s_cbranch_execz .LBB2_1609
; %bb.1602:                             ;   in Loop: Header=BB2_1292 Depth=2
	v_and_b32_e32 v48, 0x7c, v82
	v_and_b32_e32 v83, 3, v82
	s_delay_alu instid0(VALU_DEP_2) | instskip(SKIP_1) | instid1(SALU_CYCLE_1)
	v_cmp_ne_u32_e32 vcc_lo, 0x7c, v48
                                        ; implicit-def: $vgpr48
	s_and_saveexec_b32 s27, vcc_lo
	s_xor_b32 s27, exec_lo, s27
	s_cbranch_execz .LBB2_1606
; %bb.1603:                             ;   in Loop: Header=BB2_1292 Depth=2
	v_and_b32_e32 v48, 0xff, v82
	s_mov_b32 s28, exec_lo
	s_delay_alu instid0(VALU_DEP_1) | instskip(NEXT) | instid1(VALU_DEP_1)
	v_bfe_u32 v48, v48, 2, 5
	v_cmpx_eq_u32_e32 0, v48
	s_cbranch_execz .LBB2_1605
; %bb.1604:                             ;   in Loop: Header=BB2_1292 Depth=2
	v_clz_i32_u32_e32 v48, v83
	s_delay_alu instid0(VALU_DEP_1) | instskip(SKIP_1) | instid1(VALU_DEP_2)
	v_min_u32_e32 v48, 32, v48
	v_mov_b32_e32 v83, v49
	v_subrev_nc_u32_e32 v84, 29, v48
	v_sub_nc_u32_e32 v48, 30, v48
	s_delay_alu instid0(VALU_DEP_2) | instskip(NEXT) | instid1(VALU_DEP_1)
	v_lshlrev_b64_e32 v[86:87], v84, v[82:83]
	v_and_b32_e32 v83, 3, v86
.LBB2_1605:                             ;   in Loop: Header=BB2_1292 Depth=2
	s_or_b32 exec_lo, exec_lo, s28
	v_bfe_i32 v82, v82, 0, 16
	s_delay_alu instid0(VALU_DEP_1) | instskip(NEXT) | instid1(VALU_DEP_1)
	v_and_b32_e32 v82, 0x80000000, v82
	v_lshl_add_u32 v48, v48, 23, v82
                                        ; implicit-def: $vgpr82
	s_delay_alu instid0(VALU_DEP_1) | instskip(NEXT) | instid1(VALU_DEP_1)
	v_lshl_or_b32 v48, v83, 21, v48
                                        ; implicit-def: $vgpr83
	v_add_nc_u32_e32 v48, 0x38000000, v48
.LBB2_1606:                             ;   in Loop: Header=BB2_1292 Depth=2
	s_and_not1_saveexec_b32 s27, s27
; %bb.1607:                             ;   in Loop: Header=BB2_1292 Depth=2
	v_cmp_lt_i16_e32 vcc_lo, -1, v82
	v_cndmask_b32_e32 v48, 0xff800000, v62, vcc_lo
	v_cmp_eq_u32_e32 vcc_lo, 0, v83
	s_delay_alu instid0(VALU_DEP_2)
	v_cndmask_b32_e32 v48, 0x7f800001, v48, vcc_lo
; %bb.1608:                             ;   in Loop: Header=BB2_1292 Depth=2
	s_or_b32 exec_lo, exec_lo, s27
.LBB2_1609:                             ;   in Loop: Header=BB2_1292 Depth=2
	s_delay_alu instid0(SALU_CYCLE_1)
	s_or_b32 exec_lo, exec_lo, s26
.LBB2_1610:                             ;   in Loop: Header=BB2_1292 Depth=2
	s_delay_alu instid0(SALU_CYCLE_1) | instskip(NEXT) | instid1(SALU_CYCLE_1)
	s_or_b32 exec_lo, exec_lo, s10
	s_mov_b32 s10, exec_lo
	s_wait_loadcnt_dscnt 0x0
	v_cmpx_ne_u16_e32 0, v16
	s_cbranch_execz .LBB2_1620
; %bb.1611:                             ;   in Loop: Header=BB2_1292 Depth=2
	v_bfrev_b32_e32 v17, 1
	s_mov_b32 s26, exec_lo
	v_cmpx_ne_u16_e32 0xff80, v16
	s_cbranch_execz .LBB2_1619
; %bb.1612:                             ;   in Loop: Header=BB2_1292 Depth=2
	v_and_b32_e32 v17, 0x7c, v16
	v_and_b32_e32 v82, 3, v16
	s_delay_alu instid0(VALU_DEP_2) | instskip(SKIP_1) | instid1(SALU_CYCLE_1)
	v_cmp_ne_u32_e32 vcc_lo, 0x7c, v17
                                        ; implicit-def: $vgpr17
	s_and_saveexec_b32 s27, vcc_lo
	s_xor_b32 s27, exec_lo, s27
	s_cbranch_execz .LBB2_1616
; %bb.1613:                             ;   in Loop: Header=BB2_1292 Depth=2
	v_and_b32_e32 v17, 0xff, v16
	s_mov_b32 s28, exec_lo
	s_delay_alu instid0(VALU_DEP_1) | instskip(NEXT) | instid1(VALU_DEP_1)
	v_bfe_u32 v17, v17, 2, 5
	v_cmpx_eq_u32_e32 0, v17
; %bb.1614:                             ;   in Loop: Header=BB2_1292 Depth=2
	v_clz_i32_u32_e32 v17, v82
	s_delay_alu instid0(VALU_DEP_1) | instskip(SKIP_1) | instid1(VALU_DEP_2)
	v_min_u32_e32 v84, 32, v17
	v_mov_b32_e32 v17, v49
	v_subrev_nc_u32_e32 v82, 29, v84
	s_delay_alu instid0(VALU_DEP_1) | instskip(NEXT) | instid1(VALU_DEP_1)
	v_lshlrev_b64_e32 v[82:83], v82, v[16:17]
	v_dual_sub_nc_u32 v17, 30, v84 :: v_dual_bitop2_b32 v82, 3, v82 bitop3:0x40
; %bb.1615:                             ;   in Loop: Header=BB2_1292 Depth=2
	s_or_b32 exec_lo, exec_lo, s28
	v_bfe_i32 v16, v16, 0, 16
	s_delay_alu instid0(VALU_DEP_1) | instskip(NEXT) | instid1(VALU_DEP_1)
	v_and_b32_e32 v16, 0x80000000, v16
	v_lshl_add_u32 v16, v17, 23, v16
	s_delay_alu instid0(VALU_DEP_1) | instskip(NEXT) | instid1(VALU_DEP_1)
	v_lshl_or_b32 v16, v82, 21, v16
                                        ; implicit-def: $vgpr82
	v_add_nc_u32_e32 v17, 0x38000000, v16
                                        ; implicit-def: $vgpr16
.LBB2_1616:                             ;   in Loop: Header=BB2_1292 Depth=2
	s_and_not1_saveexec_b32 s27, s27
; %bb.1617:                             ;   in Loop: Header=BB2_1292 Depth=2
	v_cmp_lt_i16_e32 vcc_lo, -1, v16
	v_cndmask_b32_e32 v16, 0xff800000, v62, vcc_lo
	v_cmp_eq_u32_e32 vcc_lo, 0, v82
	s_delay_alu instid0(VALU_DEP_2)
	v_cndmask_b32_e32 v17, 0x7f800001, v16, vcc_lo
; %bb.1618:                             ;   in Loop: Header=BB2_1292 Depth=2
	s_or_b32 exec_lo, exec_lo, s27
.LBB2_1619:                             ;   in Loop: Header=BB2_1292 Depth=2
	s_delay_alu instid0(SALU_CYCLE_1)
	s_or_b32 exec_lo, exec_lo, s26
.LBB2_1620:                             ;   in Loop: Header=BB2_1292 Depth=2
	s_delay_alu instid0(SALU_CYCLE_1) | instskip(NEXT) | instid1(VALU_DEP_1)
	s_or_b32 exec_lo, exec_lo, s10
	v_dual_mul_f32 v16, v48, v17 :: v_dual_mov_b32 v83, v49
                                        ; implicit-def: $vgpr17
	s_mov_b32 s10, exec_lo
	s_delay_alu instid0(VALU_DEP_1) | instskip(SKIP_1) | instid1(VALU_DEP_2)
	v_and_b32_e32 v82, 0x7f800000, v16
	v_and_b32_e32 v48, 0x7fffff, v16
	v_cmpx_ne_u64_e32 0x7f800000, v[82:83]
	s_xor_b32 s26, exec_lo, s10
	s_cbranch_execz .LBB2_1638
; %bb.1621:                             ;   in Loop: Header=BB2_1292 Depth=2
	v_dual_mov_b32 v83, v49 :: v_dual_lshrrev_b32 v17, 24, v16
	v_and_b32_e32 v82, 0x7fffffff, v16
	s_mov_b32 s10, exec_lo
	s_delay_alu instid0(VALU_DEP_2) | instskip(NEXT) | instid1(VALU_DEP_2)
	v_and_b32_e32 v84, 0x80, v17
                                        ; implicit-def: $vgpr17
	v_cmpx_gt_u64_e32 0x47600001, v[82:83]
	s_xor_b32 s27, exec_lo, s10
	s_cbranch_execz .LBB2_1635
; %bb.1622:                             ;   in Loop: Header=BB2_1292 Depth=2
	v_mov_b32_e32 v17, 0
	s_mov_b32 s28, exec_lo
	v_cmpx_ne_u32_e32 0, v16
	s_cbranch_execz .LBB2_1634
; %bb.1623:                             ;   in Loop: Header=BB2_1292 Depth=2
	v_bfe_u32 v86, v16, 23, 8
	v_or_b32_e32 v82, 0x800000, v48
	s_delay_alu instid0(VALU_DEP_2) | instskip(SKIP_1) | instid1(VALU_DEP_2)
	v_sub_nc_u32_e32 v16, 0x71, v86
	v_cmp_gt_u32_e32 vcc_lo, 0x72, v86
	v_cndmask_b32_e32 v16, 0, v16, vcc_lo
	v_cmp_eq_u32_e32 vcc_lo, 0, v86
	s_delay_alu instid0(VALU_DEP_2) | instskip(NEXT) | instid1(VALU_DEP_1)
	v_cndmask_b32_e64 v87, v16, 0x70, vcc_lo
	v_dual_cndmask_b32 v48, v82, v48, vcc_lo :: v_dual_add_nc_u32 v16, 21, v87
	v_add_nc_u32_e32 v83, 20, v87
	s_delay_alu instid0(VALU_DEP_2) | instskip(NEXT) | instid1(VALU_DEP_2)
	v_lshlrev_b64_e64 v[16:17], v16, -1
	v_lshlrev_b64_e64 v[82:83], v83, 1
	s_delay_alu instid0(VALU_DEP_2) | instskip(NEXT) | instid1(VALU_DEP_3)
	v_bfi_b32 v99, v17, 0, 0
	v_bfi_b32 v98, v16, 0, v48
	v_lshrrev_b64 v[16:17], v87, v[48:49]
	s_delay_alu instid0(VALU_DEP_2) | instskip(NEXT) | instid1(VALU_DEP_2)
	v_cmp_eq_u64_e64 s10, v[98:99], v[82:83]
	v_mov_b64_e32 v[82:83], v[16:17]
	s_and_saveexec_b32 s29, s10
; %bb.1624:                             ;   in Loop: Header=BB2_1292 Depth=2
	v_bfe_u32 v48, v16, 21, 1
	s_delay_alu instid0(VALU_DEP_1) | instskip(NEXT) | instid1(VALU_DEP_1)
	v_add_nc_u64_e32 v[82:83], v[16:17], v[48:49]
	v_add_nc_u64_e32 v[82:83], -1, v[82:83]
; %bb.1625:                             ;   in Loop: Header=BB2_1292 Depth=2
	s_or_b32 exec_lo, exec_lo, s29
	v_add_nc_u32_e32 v17, 0xffffff81, v86
	v_lshrrev_b32_e32 v48, 23, v16
	s_mov_b32 s10, exec_lo
	s_delay_alu instid0(VALU_DEP_2) | instskip(NEXT) | instid1(VALU_DEP_1)
	v_cndmask_b32_e64 v17, v17, 0xffffff82, vcc_lo
	v_add3_u32 v83, v87, v17, v48
	v_and_b32_e32 v17, 0x1fffff, v82
                                        ; implicit-def: $vgpr82
	s_delay_alu instid0(VALU_DEP_1) | instskip(NEXT) | instid1(VALU_DEP_1)
	v_dual_add_nc_u32 v86, 14, v83 :: v_dual_add_nc_u32 v48, v17, v16
                                        ; implicit-def: $vgpr16_vgpr17
	v_cmpx_ne_u32_e32 0, v86
	s_xor_b32 s10, exec_lo, s10
; %bb.1626:                             ;   in Loop: Header=BB2_1292 Depth=2
	s_delay_alu instid0(VALU_DEP_2) | instskip(SKIP_1) | instid1(VALU_DEP_1)
	v_cmp_lt_u64_e32 vcc_lo, 0xffffff, v[48:49]
	v_add_nc_u32_e32 v16, 15, v83
	v_cndmask_b32_e32 v82, v86, v16, vcc_lo
	v_cndmask_b32_e64 v16, 0, 1, vcc_lo
	s_delay_alu instid0(VALU_DEP_1)
	v_lshrrev_b64 v[16:17], v16, v[48:49]
; %bb.1627:                             ;   in Loop: Header=BB2_1292 Depth=2
	s_and_not1_saveexec_b32 s10, s10
; %bb.1628:                             ;   in Loop: Header=BB2_1292 Depth=2
	v_mov_b64_e32 v[16:17], v[48:49]
	v_bfe_u32 v82, v48, 23, 1
; %bb.1629:                             ;   in Loop: Header=BB2_1292 Depth=2
	s_or_b32 exec_lo, exec_lo, s10
	s_delay_alu instid0(VALU_DEP_2) | instskip(NEXT) | instid1(VALU_DEP_2)
	v_lshrrev_b64 v[16:17], 21, v[16:17]
	v_cmp_gt_i32_e32 vcc_lo, 32, v82
	v_cmp_ne_u32_e64 s10, 0, v82
	s_delay_alu instid0(VALU_DEP_3) | instskip(NEXT) | instid1(VALU_DEP_1)
	v_dual_cndmask_b32 v17, 0, v17 :: v_dual_cndmask_b32 v16, 3, v16
	v_cmp_ne_u64_e32 vcc_lo, 0, v[16:17]
                                        ; implicit-def: $vgpr17
	s_or_b32 s10, s10, vcc_lo
	s_delay_alu instid0(SALU_CYCLE_1) | instskip(NEXT) | instid1(SALU_CYCLE_1)
	s_and_saveexec_b32 s29, s10
	s_xor_b32 s10, exec_lo, s29
; %bb.1630:                             ;   in Loop: Header=BB2_1292 Depth=2
	v_min_i32_e32 v17, 31, v82
	s_delay_alu instid0(VALU_DEP_1) | instskip(NEXT) | instid1(VALU_DEP_1)
	v_lshl_or_b32 v17, v17, 2, v84
                                        ; implicit-def: $vgpr84
	v_and_or_b32 v17, v16, 3, v17
; %bb.1631:                             ;   in Loop: Header=BB2_1292 Depth=2
	s_and_not1_saveexec_b32 s10, s10
; %bb.1632:                             ;   in Loop: Header=BB2_1292 Depth=2
	v_mov_b32_e32 v17, v84
; %bb.1633:                             ;   in Loop: Header=BB2_1292 Depth=2
	s_or_b32 exec_lo, exec_lo, s10
.LBB2_1634:                             ;   in Loop: Header=BB2_1292 Depth=2
	s_delay_alu instid0(SALU_CYCLE_1)
	s_or_b32 exec_lo, exec_lo, s28
                                        ; implicit-def: $vgpr84
.LBB2_1635:                             ;   in Loop: Header=BB2_1292 Depth=2
	s_and_not1_saveexec_b32 s10, s27
; %bb.1636:                             ;   in Loop: Header=BB2_1292 Depth=2
	v_or_b32_e32 v17, 0x7b, v84
; %bb.1637:                             ;   in Loop: Header=BB2_1292 Depth=2
	s_or_b32 exec_lo, exec_lo, s10
                                        ; implicit-def: $vgpr16
.LBB2_1638:                             ;   in Loop: Header=BB2_1292 Depth=2
	s_and_not1_saveexec_b32 s10, s26
	s_cbranch_execz .LBB2_1291
; %bb.1639:                             ;   in Loop: Header=BB2_1292 Depth=2
	s_mov_b32 s26, exec_lo
                                        ; implicit-def: $vgpr17
	v_cmpx_ne_u64_e32 0, v[48:49]
	s_xor_b32 s26, exec_lo, s26
; %bb.1640:                             ;   in Loop: Header=BB2_1292 Depth=2
	v_lshrrev_b32_e32 v16, 24, v16
	s_delay_alu instid0(VALU_DEP_1)
	v_or_b32_e32 v17, 0x7f, v16
                                        ; implicit-def: $vgpr16
; %bb.1641:                             ;   in Loop: Header=BB2_1292 Depth=2
	s_and_not1_saveexec_b32 s26, s26
	s_cbranch_execz .LBB2_1290
; %bb.1642:                             ;   in Loop: Header=BB2_1292 Depth=2
	v_cmp_lt_i32_e32 vcc_lo, -1, v16
	v_cndmask_b32_e64 v17, -4, 0x7c, vcc_lo
	s_branch .LBB2_1290
.LBB2_1643:                             ;   in Loop: Header=BB2_49 Depth=1
	s_or_b32 exec_lo, exec_lo, s25
.LBB2_1644:                             ;   in Loop: Header=BB2_49 Depth=1
	s_delay_alu instid0(SALU_CYCLE_1) | instskip(SKIP_1) | instid1(VALU_DEP_1)
	s_or_b32 exec_lo, exec_lo, s24
	v_and_b32_e32 v10, 0x3fffff00, v72
	v_cmp_ne_u32_e32 vcc_lo, v72, v10
	s_and_b32 exec_lo, exec_lo, vcc_lo
	s_cbranch_execz .LBB2_1692
; %bb.1645:                             ;   in Loop: Header=BB2_49 Depth=1
	v_dual_lshlrev_b32 v11, 5, v73 :: v_dual_lshlrev_b32 v12, 5, v74
	s_delay_alu instid0(VALU_DEP_1) | instskip(NEXT) | instid1(VALU_DEP_1)
	v_sub_nc_u32_e32 v11, v30, v11
	v_sub_nc_u32_e32 v11, v11, v12
	v_and_b32_e32 v12, 0xff, v72
	s_delay_alu instid0(VALU_DEP_1) | instskip(NEXT) | instid1(VALU_DEP_1)
	v_sub_nc_u32_e32 v30, v12, v11
	v_cmp_lt_i32_e32 vcc_lo, 0, v30
	s_and_b32 exec_lo, exec_lo, vcc_lo
	s_cbranch_execz .LBB2_1692
; %bb.1646:                             ;   in Loop: Header=BB2_49 Depth=1
	s_trap 2
	ds_load_b128 v[12:15], v0
	ds_load_b64 v[16:17], v0
	v_add3_u32 v82, v10, v81, v11
	s_mov_b32 s24, 0
	s_delay_alu instid0(VALU_DEP_1) | instskip(SKIP_1) | instid1(VALU_DEP_1)
	v_ashrrev_i32_e32 v83, 31, v82
	s_wait_dscnt 0x1
	v_add_nc_u64_e32 v[10:11], v[12:13], v[82:83]
	v_add_nc_u64_e32 v[12:13], v[14:15], v[82:83]
	s_wait_dscnt 0x0
	v_add_nc_u64_e32 v[14:15], v[16:17], v[82:83]
	s_branch .LBB2_1649
.LBB2_1647:                             ;   in Loop: Header=BB2_1649 Depth=2
	s_or_b32 exec_lo, exec_lo, s25
.LBB2_1648:                             ;   in Loop: Header=BB2_1649 Depth=2
	s_delay_alu instid0(SALU_CYCLE_1)
	s_or_b32 exec_lo, exec_lo, s10
	v_sub_nc_u32_e32 v30, v30, v64
	flat_store_b8 v[14:15], v17 th:TH_STORE_NT
	v_add_nc_u64_e32 v[10:11], v[10:11], v[64:65]
	v_add_nc_u64_e32 v[12:13], v[12:13], v[64:65]
	s_wait_xcnt 0x0
	v_add_nc_u64_e32 v[14:15], v[14:15], v[64:65]
	v_cmp_gt_i32_e32 vcc_lo, 1, v30
	s_or_b32 s24, vcc_lo, s24
	s_delay_alu instid0(SALU_CYCLE_1)
	s_and_not1_b32 exec_lo, exec_lo, s24
	s_cbranch_execz .LBB2_1692
.LBB2_1649:                             ;   Parent Loop BB2_49 Depth=1
                                        ; =>  This Inner Loop Header: Depth=2
	flat_load_i8 v48, v[10:11] th:TH_LOAD_NT
	flat_load_i8 v16, v[12:13] th:TH_LOAD_NT
	v_dual_mov_b32 v17, 0 :: v_dual_mov_b32 v81, 0
	s_mov_b32 s10, exec_lo
	s_wait_loadcnt_dscnt 0x101
	s_wait_xcnt 0x0
	v_cmpx_ne_u16_e32 0, v48
	s_cbranch_execz .LBB2_1659
; %bb.1650:                             ;   in Loop: Header=BB2_1649 Depth=2
	v_bfrev_b32_e32 v81, 1
	s_mov_b32 s25, exec_lo
	v_cmpx_ne_u16_e32 0xff80, v48
	s_cbranch_execz .LBB2_1658
; %bb.1651:                             ;   in Loop: Header=BB2_1649 Depth=2
	v_and_b32_e32 v81, 0x7c, v48
	v_and_b32_e32 v82, 3, v48
	s_delay_alu instid0(VALU_DEP_2) | instskip(SKIP_1) | instid1(SALU_CYCLE_1)
	v_cmp_ne_u32_e32 vcc_lo, 0x7c, v81
                                        ; implicit-def: $vgpr81
	s_and_saveexec_b32 s26, vcc_lo
	s_xor_b32 s26, exec_lo, s26
	s_cbranch_execz .LBB2_1655
; %bb.1652:                             ;   in Loop: Header=BB2_1649 Depth=2
	v_and_b32_e32 v81, 0xff, v48
	s_mov_b32 s27, exec_lo
	s_delay_alu instid0(VALU_DEP_1) | instskip(NEXT) | instid1(VALU_DEP_1)
	v_bfe_u32 v81, v81, 2, 5
	v_cmpx_eq_u32_e32 0, v81
; %bb.1653:                             ;   in Loop: Header=BB2_1649 Depth=2
	v_clz_i32_u32_e32 v81, v82
	s_delay_alu instid0(VALU_DEP_1) | instskip(NEXT) | instid1(VALU_DEP_1)
	v_min_u32_e32 v81, 32, v81
	v_subrev_nc_u32_e32 v82, 29, v81
	s_delay_alu instid0(VALU_DEP_1) | instskip(NEXT) | instid1(VALU_DEP_1)
	v_lshlrev_b64_e32 v[82:83], v82, v[48:49]
	v_dual_sub_nc_u32 v81, 30, v81 :: v_dual_bitop2_b32 v82, 3, v82 bitop3:0x40
; %bb.1654:                             ;   in Loop: Header=BB2_1649 Depth=2
	s_or_b32 exec_lo, exec_lo, s27
	v_bfe_i32 v48, v48, 0, 16
	s_delay_alu instid0(VALU_DEP_1) | instskip(NEXT) | instid1(VALU_DEP_1)
	v_and_b32_e32 v48, 0x80000000, v48
	v_lshl_add_u32 v48, v81, 23, v48
	s_delay_alu instid0(VALU_DEP_1) | instskip(NEXT) | instid1(VALU_DEP_1)
	v_lshl_or_b32 v48, v82, 21, v48
                                        ; implicit-def: $vgpr82
	v_add_nc_u32_e32 v81, 0x38000000, v48
.LBB2_1655:                             ;   in Loop: Header=BB2_1649 Depth=2
	s_and_not1_saveexec_b32 s26, s26
; %bb.1656:                             ;   in Loop: Header=BB2_1649 Depth=2
	v_cmp_lt_i16_e32 vcc_lo, -1, v48
	v_cndmask_b32_e32 v48, 0xff800000, v62, vcc_lo
	v_cmp_eq_u32_e32 vcc_lo, 0, v82
	s_delay_alu instid0(VALU_DEP_2)
	v_cndmask_b32_e32 v81, 0x7f800001, v48, vcc_lo
; %bb.1657:                             ;   in Loop: Header=BB2_1649 Depth=2
	s_or_b32 exec_lo, exec_lo, s26
.LBB2_1658:                             ;   in Loop: Header=BB2_1649 Depth=2
	s_delay_alu instid0(SALU_CYCLE_1)
	s_or_b32 exec_lo, exec_lo, s25
.LBB2_1659:                             ;   in Loop: Header=BB2_1649 Depth=2
	s_delay_alu instid0(SALU_CYCLE_1) | instskip(NEXT) | instid1(SALU_CYCLE_1)
	s_or_b32 exec_lo, exec_lo, s10
	s_mov_b32 s10, exec_lo
	s_wait_loadcnt_dscnt 0x0
	v_cmpx_ne_u16_e32 0, v16
	s_cbranch_execz .LBB2_1669
; %bb.1660:                             ;   in Loop: Header=BB2_1649 Depth=2
	v_bfrev_b32_e32 v17, 1
	s_mov_b32 s25, exec_lo
	v_cmpx_ne_u16_e32 0xff80, v16
	s_cbranch_execz .LBB2_1668
; %bb.1661:                             ;   in Loop: Header=BB2_1649 Depth=2
	v_and_b32_e32 v17, 0x7c, v16
	v_and_b32_e32 v48, 3, v16
	s_delay_alu instid0(VALU_DEP_2) | instskip(SKIP_1) | instid1(SALU_CYCLE_1)
	v_cmp_ne_u32_e32 vcc_lo, 0x7c, v17
                                        ; implicit-def: $vgpr17
	s_and_saveexec_b32 s26, vcc_lo
	s_xor_b32 s26, exec_lo, s26
	s_cbranch_execz .LBB2_1665
; %bb.1662:                             ;   in Loop: Header=BB2_1649 Depth=2
	v_and_b32_e32 v17, 0xff, v16
	s_mov_b32 s27, exec_lo
	s_delay_alu instid0(VALU_DEP_1) | instskip(NEXT) | instid1(VALU_DEP_1)
	v_bfe_u32 v17, v17, 2, 5
	v_cmpx_eq_u32_e32 0, v17
; %bb.1663:                             ;   in Loop: Header=BB2_1649 Depth=2
	v_clz_i32_u32_e32 v17, v48
	s_delay_alu instid0(VALU_DEP_1) | instskip(SKIP_1) | instid1(VALU_DEP_2)
	v_min_u32_e32 v48, 32, v17
	v_mov_b32_e32 v17, v49
	v_subrev_nc_u32_e32 v82, 29, v48
	s_delay_alu instid0(VALU_DEP_1) | instskip(NEXT) | instid1(VALU_DEP_1)
	v_lshlrev_b64_e32 v[82:83], v82, v[16:17]
	v_dual_sub_nc_u32 v17, 30, v48 :: v_dual_bitop2_b32 v48, 3, v82 bitop3:0x40
; %bb.1664:                             ;   in Loop: Header=BB2_1649 Depth=2
	s_or_b32 exec_lo, exec_lo, s27
	v_bfe_i32 v16, v16, 0, 16
	s_delay_alu instid0(VALU_DEP_1) | instskip(NEXT) | instid1(VALU_DEP_1)
	v_and_b32_e32 v16, 0x80000000, v16
	v_lshl_add_u32 v16, v17, 23, v16
	s_delay_alu instid0(VALU_DEP_1) | instskip(NEXT) | instid1(VALU_DEP_1)
	v_lshl_or_b32 v16, v48, 21, v16
                                        ; implicit-def: $vgpr48
	v_add_nc_u32_e32 v17, 0x38000000, v16
                                        ; implicit-def: $vgpr16
.LBB2_1665:                             ;   in Loop: Header=BB2_1649 Depth=2
	s_and_not1_saveexec_b32 s26, s26
; %bb.1666:                             ;   in Loop: Header=BB2_1649 Depth=2
	v_cmp_lt_i16_e32 vcc_lo, -1, v16
	v_cndmask_b32_e32 v16, 0xff800000, v62, vcc_lo
	v_cmp_eq_u32_e32 vcc_lo, 0, v48
	s_delay_alu instid0(VALU_DEP_2)
	v_cndmask_b32_e32 v17, 0x7f800001, v16, vcc_lo
; %bb.1667:                             ;   in Loop: Header=BB2_1649 Depth=2
	s_or_b32 exec_lo, exec_lo, s26
.LBB2_1668:                             ;   in Loop: Header=BB2_1649 Depth=2
	s_delay_alu instid0(SALU_CYCLE_1)
	s_or_b32 exec_lo, exec_lo, s25
.LBB2_1669:                             ;   in Loop: Header=BB2_1649 Depth=2
	s_delay_alu instid0(SALU_CYCLE_1) | instskip(NEXT) | instid1(VALU_DEP_1)
	s_or_b32 exec_lo, exec_lo, s10
	v_mul_f32_e32 v16, v81, v17
	v_mov_b32_e32 v83, v49
                                        ; implicit-def: $vgpr17
	s_mov_b32 s10, exec_lo
	s_delay_alu instid0(VALU_DEP_2) | instskip(SKIP_1) | instid1(VALU_DEP_2)
	v_and_b32_e32 v82, 0x7f800000, v16
	v_and_b32_e32 v48, 0x7fffff, v16
	v_cmpx_ne_u64_e32 0x7f800000, v[82:83]
	s_xor_b32 s25, exec_lo, s10
	s_cbranch_execz .LBB2_1687
; %bb.1670:                             ;   in Loop: Header=BB2_1649 Depth=2
	v_dual_mov_b32 v83, v49 :: v_dual_lshrrev_b32 v17, 24, v16
	v_and_b32_e32 v82, 0x7fffffff, v16
	s_mov_b32 s10, exec_lo
	s_delay_alu instid0(VALU_DEP_2) | instskip(NEXT) | instid1(VALU_DEP_2)
	v_and_b32_e32 v81, 0x80, v17
                                        ; implicit-def: $vgpr17
	v_cmpx_gt_u64_e32 0x47600001, v[82:83]
	s_xor_b32 s26, exec_lo, s10
	s_cbranch_execz .LBB2_1684
; %bb.1671:                             ;   in Loop: Header=BB2_1649 Depth=2
	v_mov_b32_e32 v17, 0
	s_mov_b32 s27, exec_lo
	v_cmpx_ne_u32_e32 0, v16
	s_cbranch_execz .LBB2_1683
; %bb.1672:                             ;   in Loop: Header=BB2_1649 Depth=2
	v_bfe_u32 v84, v16, 23, 8
	v_or_b32_e32 v82, 0x800000, v48
	s_delay_alu instid0(VALU_DEP_2) | instskip(SKIP_1) | instid1(VALU_DEP_2)
	v_sub_nc_u32_e32 v16, 0x71, v84
	v_cmp_gt_u32_e32 vcc_lo, 0x72, v84
	v_cndmask_b32_e32 v16, 0, v16, vcc_lo
	v_cmp_eq_u32_e32 vcc_lo, 0, v84
	s_delay_alu instid0(VALU_DEP_2) | instskip(NEXT) | instid1(VALU_DEP_1)
	v_cndmask_b32_e64 v85, v16, 0x70, vcc_lo
	v_dual_cndmask_b32 v48, v82, v48, vcc_lo :: v_dual_add_nc_u32 v16, 21, v85
	v_add_nc_u32_e32 v83, 20, v85
	s_delay_alu instid0(VALU_DEP_2) | instskip(NEXT) | instid1(VALU_DEP_2)
	v_lshlrev_b64_e64 v[16:17], v16, -1
	v_lshlrev_b64_e64 v[82:83], v83, 1
	s_delay_alu instid0(VALU_DEP_2) | instskip(NEXT) | instid1(VALU_DEP_3)
	v_bfi_b32 v87, v17, 0, 0
	v_bfi_b32 v86, v16, 0, v48
	v_lshrrev_b64 v[16:17], v85, v[48:49]
	s_delay_alu instid0(VALU_DEP_2) | instskip(NEXT) | instid1(VALU_DEP_2)
	v_cmp_eq_u64_e64 s10, v[86:87], v[82:83]
	v_mov_b64_e32 v[82:83], v[16:17]
	s_and_saveexec_b32 s28, s10
; %bb.1673:                             ;   in Loop: Header=BB2_1649 Depth=2
	v_bfe_u32 v48, v16, 21, 1
	s_delay_alu instid0(VALU_DEP_1) | instskip(NEXT) | instid1(VALU_DEP_1)
	v_add_nc_u64_e32 v[82:83], v[16:17], v[48:49]
	v_add_nc_u64_e32 v[82:83], -1, v[82:83]
; %bb.1674:                             ;   in Loop: Header=BB2_1649 Depth=2
	s_or_b32 exec_lo, exec_lo, s28
	v_add_nc_u32_e32 v17, 0xffffff81, v84
	v_lshrrev_b32_e32 v48, 23, v16
	s_mov_b32 s10, exec_lo
	s_delay_alu instid0(VALU_DEP_2) | instskip(NEXT) | instid1(VALU_DEP_1)
	v_cndmask_b32_e64 v17, v17, 0xffffff82, vcc_lo
	v_add3_u32 v83, v85, v17, v48
	v_and_b32_e32 v17, 0x1fffff, v82
                                        ; implicit-def: $vgpr82
	s_delay_alu instid0(VALU_DEP_1) | instskip(NEXT) | instid1(VALU_DEP_1)
	v_dual_add_nc_u32 v84, 14, v83 :: v_dual_add_nc_u32 v48, v17, v16
                                        ; implicit-def: $vgpr16_vgpr17
	v_cmpx_ne_u32_e32 0, v84
	s_xor_b32 s10, exec_lo, s10
; %bb.1675:                             ;   in Loop: Header=BB2_1649 Depth=2
	s_delay_alu instid0(VALU_DEP_2) | instskip(SKIP_1) | instid1(VALU_DEP_1)
	v_cmp_lt_u64_e32 vcc_lo, 0xffffff, v[48:49]
	v_add_nc_u32_e32 v16, 15, v83
	v_cndmask_b32_e32 v82, v84, v16, vcc_lo
	v_cndmask_b32_e64 v16, 0, 1, vcc_lo
	s_delay_alu instid0(VALU_DEP_1)
	v_lshrrev_b64 v[16:17], v16, v[48:49]
; %bb.1676:                             ;   in Loop: Header=BB2_1649 Depth=2
	s_and_not1_saveexec_b32 s10, s10
; %bb.1677:                             ;   in Loop: Header=BB2_1649 Depth=2
	v_mov_b64_e32 v[16:17], v[48:49]
	v_bfe_u32 v82, v48, 23, 1
; %bb.1678:                             ;   in Loop: Header=BB2_1649 Depth=2
	s_or_b32 exec_lo, exec_lo, s10
	s_delay_alu instid0(VALU_DEP_2) | instskip(NEXT) | instid1(VALU_DEP_2)
	v_lshrrev_b64 v[16:17], 21, v[16:17]
	v_cmp_gt_i32_e32 vcc_lo, 32, v82
	v_cmp_ne_u32_e64 s10, 0, v82
	s_delay_alu instid0(VALU_DEP_3) | instskip(NEXT) | instid1(VALU_DEP_1)
	v_dual_cndmask_b32 v17, 0, v17 :: v_dual_cndmask_b32 v16, 3, v16
	v_cmp_ne_u64_e32 vcc_lo, 0, v[16:17]
                                        ; implicit-def: $vgpr17
	s_or_b32 s10, s10, vcc_lo
	s_delay_alu instid0(SALU_CYCLE_1) | instskip(NEXT) | instid1(SALU_CYCLE_1)
	s_and_saveexec_b32 s28, s10
	s_xor_b32 s10, exec_lo, s28
; %bb.1679:                             ;   in Loop: Header=BB2_1649 Depth=2
	v_min_i32_e32 v17, 31, v82
	s_delay_alu instid0(VALU_DEP_1) | instskip(NEXT) | instid1(VALU_DEP_1)
	v_lshl_or_b32 v17, v17, 2, v81
                                        ; implicit-def: $vgpr81
	v_and_or_b32 v17, v16, 3, v17
; %bb.1680:                             ;   in Loop: Header=BB2_1649 Depth=2
	s_and_not1_saveexec_b32 s10, s10
; %bb.1681:                             ;   in Loop: Header=BB2_1649 Depth=2
	v_mov_b32_e32 v17, v81
; %bb.1682:                             ;   in Loop: Header=BB2_1649 Depth=2
	s_or_b32 exec_lo, exec_lo, s10
.LBB2_1683:                             ;   in Loop: Header=BB2_1649 Depth=2
	s_delay_alu instid0(SALU_CYCLE_1)
	s_or_b32 exec_lo, exec_lo, s27
                                        ; implicit-def: $vgpr81
.LBB2_1684:                             ;   in Loop: Header=BB2_1649 Depth=2
	s_and_not1_saveexec_b32 s10, s26
; %bb.1685:                             ;   in Loop: Header=BB2_1649 Depth=2
	v_or_b32_e32 v17, 0x7b, v81
; %bb.1686:                             ;   in Loop: Header=BB2_1649 Depth=2
	s_or_b32 exec_lo, exec_lo, s10
                                        ; implicit-def: $vgpr16
.LBB2_1687:                             ;   in Loop: Header=BB2_1649 Depth=2
	s_and_not1_saveexec_b32 s10, s25
	s_cbranch_execz .LBB2_1648
; %bb.1688:                             ;   in Loop: Header=BB2_1649 Depth=2
	s_mov_b32 s25, exec_lo
                                        ; implicit-def: $vgpr17
	v_cmpx_ne_u64_e32 0, v[48:49]
	s_xor_b32 s25, exec_lo, s25
; %bb.1689:                             ;   in Loop: Header=BB2_1649 Depth=2
	v_lshrrev_b32_e32 v16, 24, v16
	s_delay_alu instid0(VALU_DEP_1)
	v_or_b32_e32 v17, 0x7f, v16
                                        ; implicit-def: $vgpr16
; %bb.1690:                             ;   in Loop: Header=BB2_1649 Depth=2
	s_and_not1_saveexec_b32 s25, s25
	s_cbranch_execz .LBB2_1647
; %bb.1691:                             ;   in Loop: Header=BB2_1649 Depth=2
	v_cmp_lt_i32_e32 vcc_lo, -1, v16
	v_cndmask_b32_e64 v17, -4, 0x7c, vcc_lo
	s_branch .LBB2_1647
.LBB2_1692:                             ;   in Loop: Header=BB2_49 Depth=1
	s_or_b32 exec_lo, exec_lo, s11
	v_cmp_ne_u32_e64 s10, 0, v71
	s_and_saveexec_b32 s11, s2
	s_cbranch_execz .LBB2_1711
.LBB2_1693:                             ;   in Loop: Header=BB2_49 Depth=1
	s_and_saveexec_b32 s24, s3
	s_delay_alu instid0(SALU_CYCLE_1)
	s_xor_b32 s24, exec_lo, s24
	s_cbranch_execz .LBB2_1708
; %bb.1694:                             ;   in Loop: Header=BB2_49 Depth=1
	s_and_saveexec_b32 s25, s4
	s_cbranch_execz .LBB2_1707
; %bb.1695:                             ;   in Loop: Header=BB2_49 Depth=1
	s_mov_b32 s27, exec_lo
	s_mov_b32 s26, exec_lo
	v_mbcnt_lo_u32_b32 v10, s27, 0
	global_wb scope:SCOPE_DEV
	s_wait_storecnt 0x0
	s_wait_loadcnt_dscnt 0x0
	global_inv scope:SCOPE_DEV
	v_cmpx_eq_u32_e32 0, v10
	s_cbranch_execz .LBB2_1697
; %bb.1696:                             ;   in Loop: Header=BB2_49 Depth=1
	s_bcnt1_i32_b32 s27, s27
	s_delay_alu instid0(SALU_CYCLE_1)
	v_mov_b32_e32 v48, s27
	s_wait_loadcnt 0x0
	ds_add_u64 v0, v[48:49]
	s_trap 2
.LBB2_1697:                             ;   in Loop: Header=BB2_49 Depth=1
	s_or_b32 exec_lo, exec_lo, s26
	s_trap 2
	ds_load_b64 v[10:11], v0
	s_wait_dscnt 0x0
	v_add_nc_u64_e32 v[32:33], v[32:33], v[38:39]
	s_mov_b32 s26, exec_lo
	s_delay_alu instid0(VALU_DEP_1)
	v_cmpx_lt_u64_e64 v[10:11], v[32:33]
	s_cbranch_execz .LBB2_1706
; %bb.1698:                             ;   in Loop: Header=BB2_49 Depth=1
	s_mov_b32 s27, 0
	s_mov_b32 s40, 0
                                        ; implicit-def: $sgpr28
                                        ; implicit-def: $sgpr29
	s_branch .LBB2_1700
.LBB2_1699:                             ;   in Loop: Header=BB2_1700 Depth=2
	s_or_b32 exec_lo, exec_lo, s42
	s_delay_alu instid0(SALU_CYCLE_1) | instskip(NEXT) | instid1(SALU_CYCLE_1)
	s_and_b32 s41, exec_lo, s43
	s_or_b32 s27, s41, s27
	s_and_not1_b32 s28, s28, exec_lo
	s_and_b32 s41, s29, exec_lo
	s_delay_alu instid0(SALU_CYCLE_1)
	s_or_b32 s28, s28, s41
	s_and_not1_b32 exec_lo, exec_lo, s27
	s_cbranch_execz .LBB2_1704
.LBB2_1700:                             ;   Parent Loop BB2_49 Depth=1
                                        ; =>  This Inner Loop Header: Depth=2
	s_add_co_i32 s40, s40, 1
	s_delay_alu instid0(SALU_CYCLE_1) | instskip(SKIP_1) | instid1(SALU_CYCLE_1)
	s_cmp_lg_u32 s40, 0x2710
	s_cselect_b32 s41, -1, 0
	s_and_b32 vcc_lo, exec_lo, s41
	s_cbranch_vccz .LBB2_1702
; %bb.1701:                             ;   in Loop: Header=BB2_1700 Depth=2
	s_mov_b32 s43, -1
	s_or_b32 s29, s29, exec_lo
	s_and_saveexec_b32 s42, s41
	s_cbranch_execz .LBB2_1699
	s_branch .LBB2_1703
.LBB2_1702:                             ;   in Loop: Header=BB2_1700 Depth=2
	s_trap 2
	ds_load_b64 v[10:11], v0
	s_and_not1_b32 s41, s41, exec_lo
	s_mov_b32 s40, 0
	s_wait_loadcnt_dscnt 0x0
	flat_load_b32 v10, v[10:11] scope:SCOPE_SYS
	s_wait_loadcnt_dscnt 0x0
	global_inv scope:SCOPE_SYS
	v_cmp_eq_u32_e32 vcc_lo, 0, v10
	s_and_b32 s42, vcc_lo, exec_lo
	s_delay_alu instid0(SALU_CYCLE_1)
	s_or_b32 s41, s41, s42
	s_mov_b32 s43, -1
	s_or_b32 s29, s29, exec_lo
	s_and_saveexec_b32 s42, s41
	s_cbranch_execz .LBB2_1699
.LBB2_1703:                             ;   in Loop: Header=BB2_1700 Depth=2
	s_sleep 1
	s_trap 2
	ds_load_b64 v[10:11], v0
	s_wait_dscnt 0x0
	s_and_not1_b32 s29, s29, exec_lo
	v_cmp_ge_u64_e32 vcc_lo, v[10:11], v[32:33]
	s_or_not1_b32 s43, vcc_lo, exec_lo
	s_branch .LBB2_1699
.LBB2_1704:                             ;   in Loop: Header=BB2_49 Depth=1
	s_or_b32 exec_lo, exec_lo, s27
	s_and_saveexec_b32 s27, s28
	s_delay_alu instid0(SALU_CYCLE_1)
	s_xor_b32 s27, exec_lo, s27
	s_cbranch_execz .LBB2_1706
; %bb.1705:                             ;   in Loop: Header=BB2_49 Depth=1
	ds_store_b32 v0, v60
	s_trap 2
.LBB2_1706:                             ;   in Loop: Header=BB2_49 Depth=1
	s_or_b32 exec_lo, exec_lo, s26
	;;#ASMSTART
	s_wakeup
	;;#ASMEND
.LBB2_1707:                             ;   in Loop: Header=BB2_49 Depth=1
	s_or_b32 exec_lo, exec_lo, s25
.LBB2_1708:                             ;   in Loop: Header=BB2_49 Depth=1
	s_and_not1_saveexec_b32 s24, s24
	s_cbranch_execz .LBB2_1710
; %bb.1709:                             ;   in Loop: Header=BB2_49 Depth=1
	global_wb scope:SCOPE_DEV
	s_wait_storecnt 0x0
	s_wait_loadcnt_dscnt 0x0
	global_inv scope:SCOPE_DEV
	s_barrier_signal -1
	s_barrier_wait -1
.LBB2_1710:                             ;   in Loop: Header=BB2_49 Depth=1
	s_or_b32 exec_lo, exec_lo, s24
.LBB2_1711:                             ;   in Loop: Header=BB2_49 Depth=1
	s_delay_alu instid0(SALU_CYCLE_1) | instskip(SKIP_1) | instid1(VALU_DEP_1)
	s_or_b32 exec_lo, exec_lo, s11
	v_and_b32_e32 v10, 16, v56
	v_cmp_ne_u32_e32 vcc_lo, 0, v10
	s_and_b32 s11, vcc_lo, s10
	s_delay_alu instid0(SALU_CYCLE_1)
	s_and_saveexec_b32 s10, s11
	s_cbranch_execz .LBB2_1713
; %bb.1712:                             ;   in Loop: Header=BB2_49 Depth=1
	global_wb scope:SCOPE_SYS
	s_wait_storecnt 0x0
	s_wait_loadcnt_dscnt 0x0
	global_inv scope:SCOPE_SYS
.LBB2_1713:                             ;   in Loop: Header=BB2_49 Depth=1
	s_or_b32 exec_lo, exec_lo, s10
	v_cmp_ne_u32_e32 vcc_lo, 0, v10
	s_xor_b32 s10, s7, -1
	s_delay_alu instid0(SALU_CYCLE_1) | instskip(NEXT) | instid1(SALU_CYCLE_1)
	s_and_b32 s11, vcc_lo, s10
	s_and_saveexec_b32 s10, s11
	s_cbranch_execz .LBB2_1715
; %bb.1714:                             ;   in Loop: Header=BB2_49 Depth=1
	global_wb scope:SCOPE_SYS
	s_wait_storecnt 0x0
	s_wait_loadcnt_dscnt 0x0
	flat_store_b32 v[36:37], v60 scope:SCOPE_SYS
.LBB2_1715:                             ;   in Loop: Header=BB2_49 Depth=1
	s_wait_xcnt 0x0
	s_or_b32 exec_lo, exec_lo, s10
	v_and_b32_e32 v10, 48, v56
	s_mov_b32 s10, exec_lo
	s_delay_alu instid0(VALU_DEP_1)
	v_cmpx_ne_u32_e32 0, v10
	s_cbranch_execz .LBB2_1717
; %bb.1716:                             ;   in Loop: Header=BB2_49 Depth=1
	v_add_nc_u64_e32 v[8:9], 1, v[8:9]
	global_wb scope:SCOPE_SYS
	s_wait_storecnt 0x0
	s_wait_loadcnt_dscnt 0x0
	flat_store_b64 v[22:23], v[8:9] scope:SCOPE_SYS
.LBB2_1717:                             ;   in Loop: Header=BB2_49 Depth=1
	s_wait_xcnt 0x0
	s_or_b32 exec_lo, exec_lo, s10
	v_mov_b32_e32 v10, v80
.LBB2_1718:                             ;   in Loop: Header=BB2_49 Depth=1
	s_or_b32 exec_lo, exec_lo, s23
	s_and_saveexec_b32 s11, s22
	s_cbranch_execz .LBB2_48
; %bb.1719:                             ;   in Loop: Header=BB2_49 Depth=1
	s_delay_alu instid0(VALU_DEP_1) | instskip(SKIP_1) | instid1(VALU_DEP_1)
	v_dual_sub_nc_u32 v10, v70, v10 :: v_dual_bitop2_b32 v11, 12, v56 bitop3:0x40
	s_mov_b32 s22, exec_lo
	v_min_i32_e32 v10, v80, v10
	s_delay_alu instid0(VALU_DEP_2)
	v_cmpx_ne_u32_e32 0, v11
	s_cbranch_execz .LBB2_1745
; %bb.1720:                             ;   in Loop: Header=BB2_49 Depth=1
	v_and_b32_e32 v48, 8, v56
	v_add_nc_u64_e32 v[12:13], 1, v[8:9]
	s_mov_b32 s23, exec_lo
	s_wait_loadcnt 0x0
	s_delay_alu instid0(VALU_DEP_2) | instskip(NEXT) | instid1(VALU_DEP_1)
	v_add_nc_u64_e32 v[14:15], v[28:29], v[48:49]
	v_cmpx_lt_u64_e64 v[14:15], v[12:13]
	s_cbranch_execz .LBB2_1732
; %bb.1721:                             ;   in Loop: Header=BB2_49 Depth=1
	v_and_b32_e32 v9, 64, v56
	s_mov_b32 s24, 0
	s_mov_b32 s28, 0
                                        ; implicit-def: $sgpr25
                                        ; implicit-def: $sgpr26
                                        ; implicit-def: $sgpr27
	s_delay_alu instid0(VALU_DEP_1)
	v_cmp_eq_u32_e32 vcc_lo, 0, v9
	s_branch .LBB2_1725
.LBB2_1722:                             ;   in Loop: Header=BB2_1725 Depth=2
	s_wait_loadcnt_dscnt 0x0
	v_add_nc_u64_e32 v[14:15], v[28:29], v[48:49]
	s_or_b32 s41, s41, exec_lo
	s_delay_alu instid0(VALU_DEP_1)
	v_cmp_ge_u64_e64 s10, v[14:15], v[12:13]
	s_or_not1_b32 s40, s10, exec_lo
.LBB2_1723:                             ;   in Loop: Header=BB2_1725 Depth=2
	s_or_b32 exec_lo, exec_lo, s43
	s_delay_alu instid0(SALU_CYCLE_1)
	s_and_not1_b32 s10, s27, exec_lo
	s_and_b32 s27, s41, exec_lo
	s_and_not1_b32 s26, s26, exec_lo
	s_and_b32 s40, s40, exec_lo
	s_or_b32 s27, s10, s27
	s_or_b32 s26, s26, s40
.LBB2_1724:                             ;   in Loop: Header=BB2_1725 Depth=2
	s_or_b32 exec_lo, exec_lo, s29
	s_delay_alu instid0(SALU_CYCLE_1) | instskip(NEXT) | instid1(SALU_CYCLE_1)
	s_and_b32 s10, exec_lo, s26
	s_or_b32 s24, s10, s24
	s_and_not1_b32 s10, s25, exec_lo
	s_and_b32 s25, s27, exec_lo
	s_delay_alu instid0(SALU_CYCLE_1)
	s_or_b32 s25, s10, s25
	s_and_not1_b32 exec_lo, exec_lo, s24
	s_cbranch_execz .LBB2_1729
.LBB2_1725:                             ;   Parent Loop BB2_49 Depth=1
                                        ; =>  This Inner Loop Header: Depth=2
	s_sleep 1
	s_wait_loadcnt_dscnt 0x0
	flat_load_b64 v[28:29], v[22:23] scope:SCOPE_SYS
	s_or_b32 s27, s27, exec_lo
	s_or_b32 s26, s26, exec_lo
                                        ; implicit-def: $vgpr9
	s_wait_xcnt 0x0
	s_and_saveexec_b32 s29, vcc_lo
	s_cbranch_execz .LBB2_1724
; %bb.1726:                             ;   in Loop: Header=BB2_1725 Depth=2
	s_cmp_lt_i32 s28, 0x270f
	s_mov_b32 s40, -1
	s_cselect_b32 s42, -1, 0
	s_cmp_gt_i32 s28, 0x270e
	s_cbranch_scc0 .LBB2_1728
; %bb.1727:                             ;   in Loop: Header=BB2_1725 Depth=2
	s_trap 2
	ds_load_b64 v[14:15], v0
	s_and_not1_b32 s28, s42, exec_lo
	s_mov_b32 s41, 0
	s_wait_storecnt 0x0
	s_wait_loadcnt_dscnt 0x0
	flat_load_b32 v9, v[14:15] scope:SCOPE_SYS
	s_wait_loadcnt_dscnt 0x0
	global_inv scope:SCOPE_SYS
	v_cmp_eq_u32_e64 s10, 0, v9
	s_and_b32 s10, s10, exec_lo
	s_delay_alu instid0(SALU_CYCLE_1)
	s_or_b32 s42, s28, s10
	s_mov_b32 s28, 0
	s_and_saveexec_b32 s43, s42
	s_cbranch_execz .LBB2_1723
	s_branch .LBB2_1722
.LBB2_1728:                             ;   in Loop: Header=BB2_1725 Depth=2
	s_add_co_i32 s28, s28, 1
	s_mov_b32 s41, -1
                                        ; implicit-def: $vgpr9
	s_and_saveexec_b32 s43, s42
	s_cbranch_execz .LBB2_1723
	s_branch .LBB2_1722
.LBB2_1729:                             ;   in Loop: Header=BB2_49 Depth=1
	s_or_b32 exec_lo, exec_lo, s24
	s_xor_b32 s10, s25, -1
	s_delay_alu instid0(SALU_CYCLE_1) | instskip(NEXT) | instid1(SALU_CYCLE_1)
	s_and_saveexec_b32 s24, s10
	s_xor_b32 s10, exec_lo, s24
	s_cbranch_execz .LBB2_1731
; %bb.1730:                             ;   in Loop: Header=BB2_49 Depth=1
	v_or_b32_e32 v56, 64, v56
	s_wait_storecnt 0x0
	s_wait_loadcnt_dscnt 0x0
	ds_store_b32 v0, v9
	s_trap 2
.LBB2_1731:                             ;   in Loop: Header=BB2_49 Depth=1
	s_or_b32 exec_lo, exec_lo, s10
.LBB2_1732:                             ;   in Loop: Header=BB2_49 Depth=1
	s_delay_alu instid0(SALU_CYCLE_1) | instskip(SKIP_2) | instid1(VALU_DEP_1)
	s_or_b32 exec_lo, exec_lo, s23
	v_and_b32_e32 v9, 0x108, v56
	;;#ASMSTART
	s_wakeup
	;;#ASMEND
	v_cmp_ne_u32_e32 vcc_lo, 0x108, v9
	v_and_b32_e32 v8, 7, v8
	s_and_saveexec_b32 s10, vcc_lo
	s_delay_alu instid0(SALU_CYCLE_1)
	s_xor_b32 s10, exec_lo, s10
; %bb.1733:                             ;   in Loop: Header=BB2_49 Depth=1
	v_mov_b32_e32 v9, v49
; %bb.1734:                             ;   in Loop: Header=BB2_49 Depth=1
	s_and_not1_saveexec_b32 s10, s10
	s_cbranch_execz .LBB2_1736
; %bb.1735:                             ;   in Loop: Header=BB2_49 Depth=1
	v_mad_nc_u64_u32 v[14:15], v8, 24, v[6:7]
	v_dual_ashrrev_i32 v11, 31, v10 :: v_dual_mov_b32 v9, v49
	flat_store_b64 v[14:15], v[10:11] offset:8
.LBB2_1736:                             ;   in Loop: Header=BB2_49 Depth=1
	s_wait_xcnt 0x0
	s_or_b32 exec_lo, exec_lo, s10
	v_and_b32_e32 v11, 0x100, v56
	s_mov_b32 s10, -1
	s_mov_b32 s23, exec_lo
                                        ; implicit-def: $vgpr14_vgpr15
	s_delay_alu instid0(VALU_DEP_1)
	v_cmpx_ne_u32_e32 0, v11
	s_cbranch_execz .LBB2_1740
; %bb.1737:                             ;   in Loop: Header=BB2_49 Depth=1
	v_mad_nc_u64_u32 v[16:17], v8, 24, v[6:7]
	s_mov_b32 s24, exec_lo
                                        ; implicit-def: $vgpr14_vgpr15
	s_delay_alu instid0(VALU_DEP_1)
	v_mad_u32 v17, v9, 24, v17
	flat_load_b32 v11, v[16:17]
	s_wait_loadcnt_dscnt 0x0
	v_cmp_ne_u32_e32 vcc_lo, 1, v11
	s_wait_xcnt 0x0
	v_cmpx_eq_u32_e32 1, v11
	s_cbranch_execz .LBB2_1739
; %bb.1738:                             ;   in Loop: Header=BB2_49 Depth=1
	flat_load_b32 v14, v[16:17] offset:4 scope:SCOPE_SYS
	s_wait_loadcnt_dscnt 0x0
	v_ashrrev_i32_e32 v15, 31, v14
.LBB2_1739:                             ;   in Loop: Header=BB2_49 Depth=1
	s_wait_xcnt 0x0
	s_or_b32 exec_lo, exec_lo, s24
	s_delay_alu instid0(SALU_CYCLE_1)
	s_or_not1_b32 s10, vcc_lo, exec_lo
.LBB2_1740:                             ;   in Loop: Header=BB2_49 Depth=1
	s_or_b32 exec_lo, exec_lo, s23
	s_and_saveexec_b32 s23, s10
; %bb.1741:                             ;   in Loop: Header=BB2_49 Depth=1
	v_mul_u64_e32 v[14:15], v[8:9], v[24:25]
; %bb.1742:                             ;   in Loop: Header=BB2_49 Depth=1
	s_or_b32 exec_lo, exec_lo, s23
	v_cmp_eq_u32_e32 vcc_lo, 0, v48
	s_delay_alu instid0(VALU_DEP_2) | instskip(SKIP_3) | instid1(VALU_DEP_1)
	v_add_nc_u64_e32 v[8:9], v[26:27], v[14:15]
	v_and_b32_e32 v16, 0x2000, v56
	s_mov_b32 s10, exec_lo
	v_cndmask_b32_e32 v11, 0xc8, v61, vcc_lo
	v_add_nc_u32_e32 v11, v0, v11
	ds_store_b64 v11, v[8:9] offset:584
	v_cmpx_ne_u32_e32 0, v16
	s_cbranch_execz .LBB2_1744
; %bb.1743:                             ;   in Loop: Header=BB2_49 Depth=1
	ds_load_b64 v[8:9], v0 offset:872
	s_wait_dscnt 0x0
	v_add_nc_u64_e32 v[8:9], 1, v[8:9]
	ds_store_b64 v0, v[8:9] offset:872
.LBB2_1744:                             ;   in Loop: Header=BB2_49 Depth=1
	s_or_b32 exec_lo, exec_lo, s10
	v_mov_b64_e32 v[8:9], v[12:13]
.LBB2_1745:                             ;   in Loop: Header=BB2_49 Depth=1
	s_or_b32 exec_lo, exec_lo, s22
	s_and_saveexec_b32 s10, s2
	s_cbranch_execz .LBB2_1764
; %bb.1746:                             ;   in Loop: Header=BB2_49 Depth=1
	s_and_saveexec_b32 s22, s3
	s_delay_alu instid0(SALU_CYCLE_1)
	s_xor_b32 s22, exec_lo, s22
	s_cbranch_execz .LBB2_1761
; %bb.1747:                             ;   in Loop: Header=BB2_49 Depth=1
	s_and_saveexec_b32 s23, s4
	s_cbranch_execz .LBB2_1760
; %bb.1748:                             ;   in Loop: Header=BB2_49 Depth=1
	s_mov_b32 s25, exec_lo
	s_mov_b32 s24, exec_lo
	v_mbcnt_lo_u32_b32 v11, s25, 0
	global_wb scope:SCOPE_DEV
	s_wait_storecnt 0x0
	s_wait_loadcnt_dscnt 0x0
	global_inv scope:SCOPE_DEV
	v_cmpx_eq_u32_e32 0, v11
	s_cbranch_execz .LBB2_1750
; %bb.1749:                             ;   in Loop: Header=BB2_49 Depth=1
	s_bcnt1_i32_b32 s25, s25
	s_delay_alu instid0(SALU_CYCLE_1)
	v_mov_b32_e32 v48, s25
	s_wait_loadcnt 0x0
	ds_add_u64 v0, v[48:49]
	s_trap 2
.LBB2_1750:                             ;   in Loop: Header=BB2_49 Depth=1
	s_or_b32 exec_lo, exec_lo, s24
	s_trap 2
	ds_load_b64 v[12:13], v0
	s_wait_dscnt 0x0
	v_add_nc_u64_e32 v[32:33], v[32:33], v[38:39]
	s_mov_b32 s24, exec_lo
	s_delay_alu instid0(VALU_DEP_1)
	v_cmpx_lt_u64_e64 v[12:13], v[32:33]
	s_cbranch_execz .LBB2_1759
; %bb.1751:                             ;   in Loop: Header=BB2_49 Depth=1
	s_mov_b32 s25, 0
	s_mov_b32 s28, 0
                                        ; implicit-def: $sgpr26
                                        ; implicit-def: $sgpr27
	s_branch .LBB2_1753
.LBB2_1752:                             ;   in Loop: Header=BB2_1753 Depth=2
	s_or_b32 exec_lo, exec_lo, s40
	s_delay_alu instid0(SALU_CYCLE_1) | instskip(NEXT) | instid1(SALU_CYCLE_1)
	s_and_b32 s29, exec_lo, s41
	s_or_b32 s25, s29, s25
	s_and_not1_b32 s26, s26, exec_lo
	s_and_b32 s29, s27, exec_lo
	s_delay_alu instid0(SALU_CYCLE_1)
	s_or_b32 s26, s26, s29
	s_and_not1_b32 exec_lo, exec_lo, s25
	s_cbranch_execz .LBB2_1757
.LBB2_1753:                             ;   Parent Loop BB2_49 Depth=1
                                        ; =>  This Inner Loop Header: Depth=2
	s_add_co_i32 s28, s28, 1
	s_delay_alu instid0(SALU_CYCLE_1) | instskip(SKIP_1) | instid1(SALU_CYCLE_1)
	s_cmp_lg_u32 s28, 0x2710
	s_cselect_b32 s29, -1, 0
	s_and_b32 vcc_lo, exec_lo, s29
	s_cbranch_vccz .LBB2_1755
; %bb.1754:                             ;   in Loop: Header=BB2_1753 Depth=2
	s_mov_b32 s41, -1
	s_or_b32 s27, s27, exec_lo
	s_and_saveexec_b32 s40, s29
	s_cbranch_execz .LBB2_1752
	s_branch .LBB2_1756
.LBB2_1755:                             ;   in Loop: Header=BB2_1753 Depth=2
	s_trap 2
	ds_load_b64 v[12:13], v0
	s_and_not1_b32 s29, s29, exec_lo
	s_mov_b32 s28, 0
	s_wait_loadcnt_dscnt 0x0
	flat_load_b32 v11, v[12:13] scope:SCOPE_SYS
	s_wait_loadcnt_dscnt 0x0
	global_inv scope:SCOPE_SYS
	v_cmp_eq_u32_e32 vcc_lo, 0, v11
	s_and_b32 s40, vcc_lo, exec_lo
	s_delay_alu instid0(SALU_CYCLE_1)
	s_or_b32 s29, s29, s40
	s_mov_b32 s41, -1
	s_or_b32 s27, s27, exec_lo
	s_and_saveexec_b32 s40, s29
	s_cbranch_execz .LBB2_1752
.LBB2_1756:                             ;   in Loop: Header=BB2_1753 Depth=2
	s_sleep 1
	s_trap 2
	ds_load_b64 v[12:13], v0
	s_wait_dscnt 0x0
	s_and_not1_b32 s27, s27, exec_lo
	v_cmp_ge_u64_e32 vcc_lo, v[12:13], v[32:33]
	s_or_not1_b32 s41, vcc_lo, exec_lo
	s_branch .LBB2_1752
.LBB2_1757:                             ;   in Loop: Header=BB2_49 Depth=1
	s_or_b32 exec_lo, exec_lo, s25
	s_and_saveexec_b32 s25, s26
	s_delay_alu instid0(SALU_CYCLE_1)
	s_xor_b32 s25, exec_lo, s25
	s_cbranch_execz .LBB2_1759
; %bb.1758:                             ;   in Loop: Header=BB2_49 Depth=1
	ds_store_b32 v0, v60
	s_trap 2
.LBB2_1759:                             ;   in Loop: Header=BB2_49 Depth=1
	s_or_b32 exec_lo, exec_lo, s24
	;;#ASMSTART
	s_wakeup
	;;#ASMEND
.LBB2_1760:                             ;   in Loop: Header=BB2_49 Depth=1
	s_or_b32 exec_lo, exec_lo, s23
.LBB2_1761:                             ;   in Loop: Header=BB2_49 Depth=1
	s_and_not1_saveexec_b32 s22, s22
	s_cbranch_execz .LBB2_1763
; %bb.1762:                             ;   in Loop: Header=BB2_49 Depth=1
	global_wb scope:SCOPE_DEV
	s_wait_storecnt 0x0
	s_wait_loadcnt_dscnt 0x0
	global_inv scope:SCOPE_DEV
	s_barrier_signal -1
	s_barrier_wait -1
.LBB2_1763:                             ;   in Loop: Header=BB2_49 Depth=1
	s_or_b32 exec_lo, exec_lo, s22
.LBB2_1764:                             ;   in Loop: Header=BB2_49 Depth=1
	s_delay_alu instid0(SALU_CYCLE_1)
	s_or_b32 exec_lo, exec_lo, s10
	s_trap 2
	ds_load_b32 v11, v0
	v_cmp_lt_i32_e32 vcc_lo, 0, v10
	s_wait_dscnt 0x0
	v_readfirstlane_b32 s10, v11
	v_and_b32_e32 v11, 16, v56
	s_cmp_eq_u32 s10, 0
	s_delay_alu instid0(VALU_DEP_1) | instskip(SKIP_1) | instid1(SALU_CYCLE_1)
	v_cmp_ne_u32_e64 s10, 0, v11
	s_cselect_b32 s22, -1, 0
	s_and_b32 s22, vcc_lo, s22
	s_delay_alu instid0(SALU_CYCLE_1) | instskip(NEXT) | instid1(SALU_CYCLE_1)
	s_and_b32 s22, s10, s22
	s_and_saveexec_b32 s10, s22
	s_cbranch_execz .LBB2_1766
; %bb.1765:                             ;   in Loop: Header=BB2_49 Depth=1
	global_wb scope:SCOPE_SYS
	s_wait_loadcnt 0x0
	s_wait_storecnt 0x0
	global_inv scope:SCOPE_SYS
.LBB2_1766:                             ;   in Loop: Header=BB2_49 Depth=1
	s_or_b32 exec_lo, exec_lo, s10
	v_cmp_ne_u32_e32 vcc_lo, 0, v11
	s_xor_b32 s10, s7, -1
	s_delay_alu instid0(SALU_CYCLE_1) | instskip(NEXT) | instid1(SALU_CYCLE_1)
	s_and_b32 s22, vcc_lo, s10
	s_and_saveexec_b32 s10, s22
	s_cbranch_execz .LBB2_1768
; %bb.1767:                             ;   in Loop: Header=BB2_49 Depth=1
	global_wb scope:SCOPE_SYS
	s_wait_loadcnt 0x0
	s_wait_storecnt 0x0
	flat_store_b32 v[36:37], v60 scope:SCOPE_SYS
.LBB2_1768:                             ;   in Loop: Header=BB2_49 Depth=1
	s_wait_xcnt 0x0
	s_or_b32 exec_lo, exec_lo, s10
	v_and_b32_e32 v10, 48, v56
	s_mov_b32 s10, exec_lo
	s_delay_alu instid0(VALU_DEP_1)
	v_cmpx_ne_u32_e32 0, v10
	s_cbranch_execz .LBB2_47
; %bb.1769:                             ;   in Loop: Header=BB2_49 Depth=1
	v_add_nc_u64_e32 v[8:9], 1, v[8:9]
	global_wb scope:SCOPE_SYS
	s_wait_storecnt 0x0
	s_wait_loadcnt_dscnt 0x0
	flat_store_b64 v[22:23], v[8:9] scope:SCOPE_SYS
	s_branch .LBB2_47
.LBB2_1770:
	s_or_b32 exec_lo, exec_lo, s19
.LBB2_1771:
	s_delay_alu instid0(SALU_CYCLE_1)
	s_or_b32 exec_lo, exec_lo, s18
                                        ; implicit-def: $vgpr18_vgpr19
                                        ; implicit-def: $vgpr4_vgpr5
                                        ; implicit-def: $vgpr24
                                        ; implicit-def: $vgpr28_vgpr29
                                        ; implicit-def: $vgpr26_vgpr27
                                        ; implicit-def: $vgpr22_vgpr23
                                        ; implicit-def: $vgpr0
                                        ; implicit-def: $vgpr15
                                        ; implicit-def: $vgpr34_vgpr35
.LBB2_1772:
	s_and_not1_saveexec_b32 s11, s17
	s_cbranch_execz .LBB2_3488
; %bb.1773:
	s_wait_dscnt 0x0
	v_mov_b64_e32 v[32:33], 0
	s_mov_b32 s17, exec_lo
	v_cmpx_ne_u64_e32 0, v[4:5]
	s_cbranch_execz .LBB2_3487
; %bb.1774:
	v_dual_ashrrev_i32 v10, 31, v0 :: v_dual_bitop2_b32 v11, 31, v31 bitop3:0x40
	v_dual_ashrrev_i32 v25, 31, v24 :: v_dual_mov_b32 v39, 0
	s_delay_alu instid0(VALU_DEP_2)
	v_dual_lshlrev_b32 v48, 4, v0 :: v_dual_lshrrev_b32 v10, 27, v10
	s_ashr_i32 s4, s15, 31
	v_cmp_eq_u32_e32 vcc_lo, 32, v1
	s_lshr_b32 s4, s4, 24
	v_mov_b64_e32 v[64:65], 0
	v_dual_add_nc_u32 v10, v0, v10 :: v_dual_lshrrev_b32 v36, 5, v1
	v_mov_b32_e32 v37, v39
	v_mov_b64_e32 v[32:33], 0
	v_cmp_ge_i32_e64 s1, v0, v1
	s_delay_alu instid0(VALU_DEP_4)
	v_and_b32_e32 v12, 0xffffffe0, v10
	v_ashrrev_i32_e32 v10, 5, v10
	v_cmp_ne_u32_e64 s2, 32, v1
	v_cmp_ne_u32_e64 s3, v1, v57
	s_add_co_i32 s7, s15, s4
	v_dual_mov_b32 v51, v39 :: v_dual_sub_nc_u32 v42, v0, v12
	v_cmp_eq_u32_e64 s4, 0, v11
	v_dual_ashrrev_i32 v49, 31, v48 :: v_dual_sub_nc_u32 v43, 0, v10
	v_dual_lshlrev_b32 v50, 9, v36 :: v_dual_lshlrev_b32 v52, 8, v36
	s_delay_alu instid0(VALU_DEP_4)
	v_cmp_le_i32_e64 s5, v42, v15
	v_cmp_gt_i32_e64 s6, 1, v42
	v_dual_mov_b32 v53, v39 :: v_dual_mov_b32 v55, v39
	v_and_b32_e32 v54, 0x1fe0, v1
	v_dual_mov_b32 v44, 1 :: v_dual_mov_b32 v45, 0x7f800000
	v_mov_b32_e32 v46, 0x7c
	s_mov_b64 s[12:13], 0xffffffffffffff
	s_ashr_i32 s19, s7, 8
	s_mov_b32 s18, 0
	s_xor_b32 s20, vcc_lo, -1
	s_trap 2
	s_branch .LBB2_1777
.LBB2_1775:                             ;   in Loop: Header=BB2_1777 Depth=1
	s_wait_xcnt 0x0
	s_or_b32 exec_lo, exec_lo, s7
.LBB2_1776:                             ;   in Loop: Header=BB2_1777 Depth=1
	s_delay_alu instid0(SALU_CYCLE_1) | instskip(SKIP_1) | instid1(VALU_DEP_1)
	s_or_b32 exec_lo, exec_lo, s10
	v_add_nc_u64_e32 v[64:65], v[64:65], v[34:35]
	v_cmp_ge_u64_e32 vcc_lo, v[64:65], v[4:5]
	s_or_b32 s18, vcc_lo, s18
	s_delay_alu instid0(SALU_CYCLE_1)
	s_and_not1_b32 exec_lo, exec_lo, s18
	s_cbranch_execz .LBB2_3486
.LBB2_1777:                             ; =>This Loop Header: Depth=1
                                        ;     Child Loop BB2_1786 Depth 2
                                        ;     Child Loop BB2_1810 Depth 2
	;; [unrolled: 1-line block ×10, first 2 shown]
	v_sub_nc_u64_e32 v[10:11], v[4:5], v[64:65]
	v_mov_b32_e32 v14, v39
	s_delay_alu instid0(VALU_DEP_2) | instskip(NEXT) | instid1(VALU_DEP_1)
	v_min_u64 v[66:67], v[34:35], v[10:11]
	v_add_nc_u32_e32 v10, 15, v66
	s_delay_alu instid0(VALU_DEP_2) | instskip(NEXT) | instid1(VALU_DEP_2)
	v_cmp_eq_u64_e32 vcc_lo, 0, v[66:67]
	v_and_b32_e32 v10, 0x7ffffff0, v10
	s_or_b32 s21, s1, vcc_lo
	s_delay_alu instid0(SALU_CYCLE_1) | instskip(NEXT) | instid1(VALU_DEP_1)
	s_xor_b32 s7, s21, -1
	v_max_i32_e32 v67, s19, v10
	s_and_saveexec_b32 s22, s7
	s_cbranch_execz .LBB2_3440
; %bb.1778:                             ;   in Loop: Header=BB2_1777 Depth=1
	s_and_saveexec_b32 s7, s0
	s_cbranch_execz .LBB2_1780
; %bb.1779:                             ;   in Loop: Header=BB2_1777 Depth=1
	s_trap 2
	ds_load_b64 v[14:15], v0
	ds_load_2addr_b64 v[10:13], v0 offset1:1
	v_add_nc_u64_e32 v[16:17], v[64:65], v[18:19]
	s_wait_dscnt 0x1
	s_delay_alu instid0(VALU_DEP_1) | instskip(SKIP_4) | instid1(VALU_DEP_4)
	v_add_nc_u64_e32 v[68:69], v[14:15], v[16:17]
	v_cmp_ne_u64_e32 vcc_lo, 0, v[14:15]
	s_wait_dscnt 0x0
	v_add_nc_u64_e32 v[10:11], v[10:11], v[16:17]
	v_add_nc_u64_e32 v[12:13], v[12:13], v[16:17]
	v_dual_cndmask_b32 v15, 0, v69 :: v_dual_cndmask_b32 v14, 0, v68
	ds_store_b64 v0, v[10:11]
	ds_store_b64 v0, v[12:13]
	;; [unrolled: 1-line block ×3, first 2 shown]
.LBB2_1780:                             ;   in Loop: Header=BB2_1777 Depth=1
	s_or_b32 exec_lo, exec_lo, s7
	v_and_b32_e32 v10, 4, v56
	s_mov_b32 s10, exec_lo
	s_delay_alu instid0(VALU_DEP_1)
	v_cmpx_ne_u32_e32 0, v10
	s_cbranch_execz .LBB2_1802
; %bb.1781:                             ;   in Loop: Header=BB2_1777 Depth=1
	v_add_nc_u64_e32 v[10:11], 1, v[8:9]
	s_mov_b32 s23, exec_lo
	s_wait_loadcnt 0x0
	s_delay_alu instid0(VALU_DEP_1)
	v_cmpx_lt_u64_e64 v[28:29], v[10:11]
	s_cbranch_execz .LBB2_1793
; %bb.1782:                             ;   in Loop: Header=BB2_1777 Depth=1
	v_and_b32_e32 v9, 64, v56
	s_mov_b32 s24, 0
	s_mov_b32 s28, 0
                                        ; implicit-def: $sgpr25
                                        ; implicit-def: $sgpr26
                                        ; implicit-def: $sgpr27
	s_delay_alu instid0(VALU_DEP_1)
	v_cmp_eq_u32_e32 vcc_lo, 0, v9
	s_branch .LBB2_1786
.LBB2_1783:                             ;   in Loop: Header=BB2_1786 Depth=2
	s_wait_loadcnt_dscnt 0x0
	v_cmp_ge_u64_e64 s7, v[28:29], v[10:11]
	s_or_b32 s41, s41, exec_lo
	s_or_not1_b32 s40, s7, exec_lo
.LBB2_1784:                             ;   in Loop: Header=BB2_1786 Depth=2
	s_or_b32 exec_lo, exec_lo, s43
	s_delay_alu instid0(SALU_CYCLE_1)
	s_and_not1_b32 s7, s27, exec_lo
	s_and_b32 s27, s41, exec_lo
	s_and_not1_b32 s26, s26, exec_lo
	s_and_b32 s40, s40, exec_lo
	s_or_b32 s27, s7, s27
	s_or_b32 s26, s26, s40
.LBB2_1785:                             ;   in Loop: Header=BB2_1786 Depth=2
	s_or_b32 exec_lo, exec_lo, s29
	s_delay_alu instid0(SALU_CYCLE_1) | instskip(NEXT) | instid1(SALU_CYCLE_1)
	s_and_b32 s7, exec_lo, s26
	s_or_b32 s24, s7, s24
	s_and_not1_b32 s7, s25, exec_lo
	s_and_b32 s25, s27, exec_lo
	s_delay_alu instid0(SALU_CYCLE_1)
	s_or_b32 s25, s7, s25
	s_and_not1_b32 exec_lo, exec_lo, s24
	s_cbranch_execz .LBB2_1790
.LBB2_1786:                             ;   Parent Loop BB2_1777 Depth=1
                                        ; =>  This Inner Loop Header: Depth=2
	s_sleep 1
	s_wait_loadcnt_dscnt 0x0
	flat_load_b64 v[28:29], v[22:23] scope:SCOPE_SYS
	s_or_b32 s27, s27, exec_lo
	s_or_b32 s26, s26, exec_lo
                                        ; implicit-def: $vgpr9
	s_wait_xcnt 0x0
	s_and_saveexec_b32 s29, vcc_lo
	s_cbranch_execz .LBB2_1785
; %bb.1787:                             ;   in Loop: Header=BB2_1786 Depth=2
	s_cmp_lt_i32 s28, 0x270f
	s_mov_b32 s40, -1
	s_cselect_b32 s42, -1, 0
	s_cmp_gt_i32 s28, 0x270e
	s_cbranch_scc0 .LBB2_1789
; %bb.1788:                             ;   in Loop: Header=BB2_1786 Depth=2
	s_trap 2
	ds_load_b64 v[12:13], v0
	s_and_not1_b32 s28, s42, exec_lo
	s_mov_b32 s41, 0
	s_wait_storecnt 0x0
	s_wait_loadcnt_dscnt 0x0
	flat_load_b32 v9, v[12:13] scope:SCOPE_SYS
	s_wait_loadcnt_dscnt 0x0
	global_inv scope:SCOPE_SYS
	v_cmp_eq_u32_e64 s7, 0, v9
	s_and_b32 s7, s7, exec_lo
	s_delay_alu instid0(SALU_CYCLE_1)
	s_or_b32 s42, s28, s7
	s_mov_b32 s28, 0
	s_and_saveexec_b32 s43, s42
	s_cbranch_execz .LBB2_1784
	s_branch .LBB2_1783
.LBB2_1789:                             ;   in Loop: Header=BB2_1786 Depth=2
	s_add_co_i32 s28, s28, 1
	s_mov_b32 s41, -1
                                        ; implicit-def: $vgpr9
	s_and_saveexec_b32 s43, s42
	s_cbranch_execz .LBB2_1784
	s_branch .LBB2_1783
.LBB2_1790:                             ;   in Loop: Header=BB2_1777 Depth=1
	s_or_b32 exec_lo, exec_lo, s24
	s_xor_b32 s7, s25, -1
	s_delay_alu instid0(SALU_CYCLE_1) | instskip(NEXT) | instid1(SALU_CYCLE_1)
	s_and_saveexec_b32 s24, s7
	s_xor_b32 s7, exec_lo, s24
	s_cbranch_execz .LBB2_1792
; %bb.1791:                             ;   in Loop: Header=BB2_1777 Depth=1
	v_or_b32_e32 v56, 64, v56
	s_wait_storecnt 0x0
	s_wait_loadcnt_dscnt 0x0
	ds_store_b32 v0, v9
	s_trap 2
.LBB2_1792:                             ;   in Loop: Header=BB2_1777 Depth=1
	s_or_b32 exec_lo, exec_lo, s7
.LBB2_1793:                             ;   in Loop: Header=BB2_1777 Depth=1
	s_delay_alu instid0(SALU_CYCLE_1) | instskip(SKIP_4) | instid1(VALU_DEP_2)
	s_or_b32 exec_lo, exec_lo, s23
	v_and_b32_e32 v9, 0x100, v56
	v_and_b32_e32 v38, 7, v8
	s_mov_b32 s7, -1
	;;#ASMSTART
	s_wakeup
	;;#ASMEND
	v_cmp_ne_u32_e32 vcc_lo, 0, v9
                                        ; implicit-def: $vgpr8_vgpr9
	s_and_saveexec_b32 s23, vcc_lo
	s_cbranch_execz .LBB2_1797
; %bb.1794:                             ;   in Loop: Header=BB2_1777 Depth=1
	v_mad_nc_u64_u32 v[12:13], v38, 24, v[6:7]
	flat_load_b32 v8, v[12:13]
	s_wait_loadcnt_dscnt 0x0
	v_cmp_eq_u32_e64 s7, 1, v8
	v_cmp_ne_u32_e32 vcc_lo, 1, v8
                                        ; implicit-def: $vgpr8_vgpr9
	s_wait_xcnt 0x0
	s_and_saveexec_b32 s24, s7
	s_cbranch_execz .LBB2_1796
; %bb.1795:                             ;   in Loop: Header=BB2_1777 Depth=1
	flat_load_b32 v8, v[12:13] offset:4 scope:SCOPE_SYS
	s_wait_loadcnt_dscnt 0x0
	v_ashrrev_i32_e32 v9, 31, v8
.LBB2_1796:                             ;   in Loop: Header=BB2_1777 Depth=1
	s_wait_xcnt 0x0
	s_or_b32 exec_lo, exec_lo, s24
	s_delay_alu instid0(SALU_CYCLE_1)
	s_or_not1_b32 s7, vcc_lo, exec_lo
.LBB2_1797:                             ;   in Loop: Header=BB2_1777 Depth=1
	s_or_b32 exec_lo, exec_lo, s23
	s_and_saveexec_b32 s23, s7
; %bb.1798:                             ;   in Loop: Header=BB2_1777 Depth=1
	v_mul_u64_e32 v[8:9], v[38:39], v[24:25]
; %bb.1799:                             ;   in Loop: Header=BB2_1777 Depth=1
	s_or_b32 exec_lo, exec_lo, s23
	s_delay_alu instid0(VALU_DEP_1)
	v_add_nc_u64_e32 v[8:9], v[26:27], v[8:9]
	v_and_b32_e32 v12, 0x2000, v56
	s_mov_b32 s7, exec_lo
	ds_store_b64 v0, v[8:9] offset:728
	v_cmpx_ne_u32_e32 0, v12
	s_cbranch_execz .LBB2_1801
; %bb.1800:                             ;   in Loop: Header=BB2_1777 Depth=1
	ds_load_b64 v[8:9], v0 offset:872
	s_wait_dscnt 0x0
	v_add_nc_u64_e32 v[8:9], 1, v[8:9]
	ds_store_b64 v0, v[8:9] offset:872
.LBB2_1801:                             ;   in Loop: Header=BB2_1777 Depth=1
	s_or_b32 exec_lo, exec_lo, s7
	v_mov_b64_e32 v[8:9], v[10:11]
.LBB2_1802:                             ;   in Loop: Header=BB2_1777 Depth=1
	s_or_b32 exec_lo, exec_lo, s10
	s_and_saveexec_b32 s7, s2
	s_cbranch_execz .LBB2_1821
; %bb.1803:                             ;   in Loop: Header=BB2_1777 Depth=1
	s_and_saveexec_b32 s10, s3
	s_delay_alu instid0(SALU_CYCLE_1)
	s_xor_b32 s10, exec_lo, s10
	s_cbranch_execz .LBB2_1818
; %bb.1804:                             ;   in Loop: Header=BB2_1777 Depth=1
	s_and_saveexec_b32 s23, s4
	s_cbranch_execz .LBB2_1817
; %bb.1805:                             ;   in Loop: Header=BB2_1777 Depth=1
	s_mov_b32 s25, exec_lo
	s_mov_b32 s24, exec_lo
	v_mbcnt_lo_u32_b32 v10, s25, 0
	global_wb scope:SCOPE_DEV
	s_wait_storecnt 0x0
	s_wait_loadcnt_dscnt 0x0
	global_inv scope:SCOPE_DEV
	v_cmpx_eq_u32_e32 0, v10
	s_cbranch_execz .LBB2_1807
; %bb.1806:                             ;   in Loop: Header=BB2_1777 Depth=1
	s_bcnt1_i32_b32 s25, s25
	s_delay_alu instid0(SALU_CYCLE_1)
	v_mov_b32_e32 v38, s25
	s_wait_loadcnt 0x0
	ds_add_u64 v0, v[38:39]
	s_trap 2
.LBB2_1807:                             ;   in Loop: Header=BB2_1777 Depth=1
	s_or_b32 exec_lo, exec_lo, s24
	s_trap 2
	ds_load_b64 v[10:11], v0
	s_wait_dscnt 0x0
	v_add_nc_u64_e32 v[32:33], v[32:33], v[36:37]
	s_mov_b32 s24, exec_lo
	s_delay_alu instid0(VALU_DEP_1)
	v_cmpx_lt_u64_e64 v[10:11], v[32:33]
	s_cbranch_execz .LBB2_1816
; %bb.1808:                             ;   in Loop: Header=BB2_1777 Depth=1
	s_mov_b32 s25, 0
	s_mov_b32 s28, 0
                                        ; implicit-def: $sgpr26
                                        ; implicit-def: $sgpr27
	s_branch .LBB2_1810
.LBB2_1809:                             ;   in Loop: Header=BB2_1810 Depth=2
	s_or_b32 exec_lo, exec_lo, s40
	s_delay_alu instid0(SALU_CYCLE_1) | instskip(NEXT) | instid1(SALU_CYCLE_1)
	s_and_b32 s29, exec_lo, s41
	s_or_b32 s25, s29, s25
	s_and_not1_b32 s26, s26, exec_lo
	s_and_b32 s29, s27, exec_lo
	s_delay_alu instid0(SALU_CYCLE_1)
	s_or_b32 s26, s26, s29
	s_and_not1_b32 exec_lo, exec_lo, s25
	s_cbranch_execz .LBB2_1814
.LBB2_1810:                             ;   Parent Loop BB2_1777 Depth=1
                                        ; =>  This Inner Loop Header: Depth=2
	s_add_co_i32 s28, s28, 1
	s_delay_alu instid0(SALU_CYCLE_1) | instskip(SKIP_1) | instid1(SALU_CYCLE_1)
	s_cmp_lg_u32 s28, 0x2710
	s_cselect_b32 s29, -1, 0
	s_and_b32 vcc_lo, exec_lo, s29
	s_cbranch_vccz .LBB2_1812
; %bb.1811:                             ;   in Loop: Header=BB2_1810 Depth=2
	s_mov_b32 s41, -1
	s_or_b32 s27, s27, exec_lo
	s_and_saveexec_b32 s40, s29
	s_cbranch_execz .LBB2_1809
	s_branch .LBB2_1813
.LBB2_1812:                             ;   in Loop: Header=BB2_1810 Depth=2
	s_trap 2
	ds_load_b64 v[10:11], v0
	s_and_not1_b32 s29, s29, exec_lo
	s_mov_b32 s28, 0
	s_wait_loadcnt_dscnt 0x0
	flat_load_b32 v10, v[10:11] scope:SCOPE_SYS
	s_wait_loadcnt_dscnt 0x0
	global_inv scope:SCOPE_SYS
	v_cmp_eq_u32_e32 vcc_lo, 0, v10
	s_and_b32 s40, vcc_lo, exec_lo
	s_delay_alu instid0(SALU_CYCLE_1)
	s_or_b32 s29, s29, s40
	s_mov_b32 s41, -1
	s_or_b32 s27, s27, exec_lo
	s_and_saveexec_b32 s40, s29
	s_cbranch_execz .LBB2_1809
.LBB2_1813:                             ;   in Loop: Header=BB2_1810 Depth=2
	s_sleep 1
	s_trap 2
	ds_load_b64 v[10:11], v0
	s_wait_dscnt 0x0
	s_and_not1_b32 s27, s27, exec_lo
	v_cmp_ge_u64_e32 vcc_lo, v[10:11], v[32:33]
	s_or_not1_b32 s41, vcc_lo, exec_lo
	s_branch .LBB2_1809
.LBB2_1814:                             ;   in Loop: Header=BB2_1777 Depth=1
	s_or_b32 exec_lo, exec_lo, s25
	s_and_saveexec_b32 s25, s26
	s_delay_alu instid0(SALU_CYCLE_1)
	s_xor_b32 s25, exec_lo, s25
	s_cbranch_execz .LBB2_1816
; %bb.1815:                             ;   in Loop: Header=BB2_1777 Depth=1
	ds_store_b32 v0, v44
	s_trap 2
.LBB2_1816:                             ;   in Loop: Header=BB2_1777 Depth=1
	s_or_b32 exec_lo, exec_lo, s24
	;;#ASMSTART
	s_wakeup
	;;#ASMEND
.LBB2_1817:                             ;   in Loop: Header=BB2_1777 Depth=1
	s_or_b32 exec_lo, exec_lo, s23
.LBB2_1818:                             ;   in Loop: Header=BB2_1777 Depth=1
	s_and_not1_saveexec_b32 s10, s10
	s_cbranch_execz .LBB2_1820
; %bb.1819:                             ;   in Loop: Header=BB2_1777 Depth=1
	global_wb scope:SCOPE_DEV
	s_wait_storecnt 0x0
	s_wait_loadcnt_dscnt 0x0
	global_inv scope:SCOPE_DEV
	s_barrier_signal -1
	s_barrier_wait -1
.LBB2_1820:                             ;   in Loop: Header=BB2_1777 Depth=1
	s_or_b32 exec_lo, exec_lo, s10
.LBB2_1821:                             ;   in Loop: Header=BB2_1777 Depth=1
	s_delay_alu instid0(SALU_CYCLE_1) | instskip(SKIP_3) | instid1(VALU_DEP_1)
	s_or_b32 exec_lo, exec_lo, s7
	s_trap 2
	ds_load_b32 v10, v0
	v_and_b32_e32 v11, 0x4000, v56
	v_cmp_ne_u32_e32 vcc_lo, 0, v11
	s_and_b32 s10, s20, vcc_lo
	s_delay_alu instid0(SALU_CYCLE_1)
	s_and_saveexec_b32 s7, s10
	s_cbranch_execz .LBB2_1840
; %bb.1822:                             ;   in Loop: Header=BB2_1777 Depth=1
	s_and_saveexec_b32 s10, s3
	s_delay_alu instid0(SALU_CYCLE_1)
	s_xor_b32 s10, exec_lo, s10
	s_cbranch_execz .LBB2_1837
; %bb.1823:                             ;   in Loop: Header=BB2_1777 Depth=1
	s_and_saveexec_b32 s23, s4
	s_cbranch_execz .LBB2_1836
; %bb.1824:                             ;   in Loop: Header=BB2_1777 Depth=1
	s_mov_b32 s25, exec_lo
	s_mov_b32 s24, exec_lo
	v_mbcnt_lo_u32_b32 v11, s25, 0
	global_wb scope:SCOPE_DEV
	s_wait_storecnt 0x0
	s_wait_loadcnt_dscnt 0x0
	global_inv scope:SCOPE_DEV
	v_cmpx_eq_u32_e32 0, v11
	s_cbranch_execz .LBB2_1826
; %bb.1825:                             ;   in Loop: Header=BB2_1777 Depth=1
	s_bcnt1_i32_b32 s25, s25
	s_delay_alu instid0(SALU_CYCLE_1)
	v_mov_b32_e32 v38, s25
	s_wait_loadcnt 0x0
	ds_add_u64 v0, v[38:39]
	s_trap 2
.LBB2_1826:                             ;   in Loop: Header=BB2_1777 Depth=1
	s_or_b32 exec_lo, exec_lo, s24
	s_trap 2
	ds_load_b64 v[12:13], v0
	s_wait_dscnt 0x0
	v_add_nc_u64_e32 v[32:33], v[32:33], v[36:37]
	s_mov_b32 s24, exec_lo
	s_delay_alu instid0(VALU_DEP_1)
	v_cmpx_lt_u64_e64 v[12:13], v[32:33]
	s_cbranch_execz .LBB2_1835
; %bb.1827:                             ;   in Loop: Header=BB2_1777 Depth=1
	s_mov_b32 s25, 0
	s_mov_b32 s28, 0
                                        ; implicit-def: $sgpr26
                                        ; implicit-def: $sgpr27
	s_branch .LBB2_1829
.LBB2_1828:                             ;   in Loop: Header=BB2_1829 Depth=2
	s_or_b32 exec_lo, exec_lo, s40
	s_delay_alu instid0(SALU_CYCLE_1) | instskip(NEXT) | instid1(SALU_CYCLE_1)
	s_and_b32 s29, exec_lo, s41
	s_or_b32 s25, s29, s25
	s_and_not1_b32 s26, s26, exec_lo
	s_and_b32 s29, s27, exec_lo
	s_delay_alu instid0(SALU_CYCLE_1)
	s_or_b32 s26, s26, s29
	s_and_not1_b32 exec_lo, exec_lo, s25
	s_cbranch_execz .LBB2_1833
.LBB2_1829:                             ;   Parent Loop BB2_1777 Depth=1
                                        ; =>  This Inner Loop Header: Depth=2
	s_add_co_i32 s28, s28, 1
	s_delay_alu instid0(SALU_CYCLE_1) | instskip(SKIP_1) | instid1(SALU_CYCLE_1)
	s_cmp_lg_u32 s28, 0x2710
	s_cselect_b32 s29, -1, 0
	s_and_b32 vcc_lo, exec_lo, s29
	s_cbranch_vccz .LBB2_1831
; %bb.1830:                             ;   in Loop: Header=BB2_1829 Depth=2
	s_mov_b32 s41, -1
	s_or_b32 s27, s27, exec_lo
	s_and_saveexec_b32 s40, s29
	s_cbranch_execz .LBB2_1828
	s_branch .LBB2_1832
.LBB2_1831:                             ;   in Loop: Header=BB2_1829 Depth=2
	s_trap 2
	ds_load_b64 v[12:13], v0
	s_and_not1_b32 s29, s29, exec_lo
	s_mov_b32 s28, 0
	s_wait_loadcnt_dscnt 0x0
	flat_load_b32 v11, v[12:13] scope:SCOPE_SYS
	s_wait_loadcnt_dscnt 0x0
	global_inv scope:SCOPE_SYS
	v_cmp_eq_u32_e32 vcc_lo, 0, v11
	s_and_b32 s40, vcc_lo, exec_lo
	s_delay_alu instid0(SALU_CYCLE_1)
	s_or_b32 s29, s29, s40
	s_mov_b32 s41, -1
	s_or_b32 s27, s27, exec_lo
	s_and_saveexec_b32 s40, s29
	s_cbranch_execz .LBB2_1828
.LBB2_1832:                             ;   in Loop: Header=BB2_1829 Depth=2
	s_sleep 1
	s_trap 2
	ds_load_b64 v[12:13], v0
	s_wait_dscnt 0x0
	s_and_not1_b32 s27, s27, exec_lo
	v_cmp_ge_u64_e32 vcc_lo, v[12:13], v[32:33]
	s_or_not1_b32 s41, vcc_lo, exec_lo
	s_branch .LBB2_1828
.LBB2_1833:                             ;   in Loop: Header=BB2_1777 Depth=1
	s_or_b32 exec_lo, exec_lo, s25
	s_and_saveexec_b32 s25, s26
	s_delay_alu instid0(SALU_CYCLE_1)
	s_xor_b32 s25, exec_lo, s25
	s_cbranch_execz .LBB2_1835
; %bb.1834:                             ;   in Loop: Header=BB2_1777 Depth=1
	ds_store_b32 v0, v44
	s_trap 2
.LBB2_1835:                             ;   in Loop: Header=BB2_1777 Depth=1
	s_or_b32 exec_lo, exec_lo, s24
	;;#ASMSTART
	s_wakeup
	;;#ASMEND
.LBB2_1836:                             ;   in Loop: Header=BB2_1777 Depth=1
	s_or_b32 exec_lo, exec_lo, s23
.LBB2_1837:                             ;   in Loop: Header=BB2_1777 Depth=1
	s_and_not1_saveexec_b32 s10, s10
	s_cbranch_execz .LBB2_1839
; %bb.1838:                             ;   in Loop: Header=BB2_1777 Depth=1
	global_wb scope:SCOPE_DEV
	s_wait_storecnt 0x0
	s_wait_loadcnt_dscnt 0x0
	global_inv scope:SCOPE_DEV
	s_barrier_signal -1
	s_barrier_wait -1
.LBB2_1839:                             ;   in Loop: Header=BB2_1777 Depth=1
	s_or_b32 exec_lo, exec_lo, s10
.LBB2_1840:                             ;   in Loop: Header=BB2_1777 Depth=1
	s_delay_alu instid0(SALU_CYCLE_1)
	s_or_b32 exec_lo, exec_lo, s7
	s_trap 2
	ds_load_b64 v[68:69], v0
	v_min_u32_e32 v67, v67, v66
	s_wait_dscnt 0x0
	v_cmp_eq_u64_e32 vcc_lo, 0, v[68:69]
	s_cbranch_vccnz .LBB2_1848
; %bb.1841:                             ;   in Loop: Header=BB2_1777 Depth=1
	s_trap 2
	ds_load_b64 v[70:71], v0
	s_wait_dscnt 0x0
	v_cmp_eq_u64_e32 vcc_lo, 0, v[70:71]
	s_cbranch_vccnz .LBB2_1848
; %bb.1842:                             ;   in Loop: Header=BB2_1777 Depth=1
	s_mov_b32 s7, -1
	s_and_saveexec_b32 s10, s5
	s_cbranch_execz .LBB2_1844
; %bb.1843:                             ;   in Loop: Header=BB2_1777 Depth=1
	ds_load_b32 v11, v0 offset:720
	s_wait_dscnt 0x0
	v_and_b32_e32 v11, 15, v11
	s_delay_alu instid0(VALU_DEP_1)
	v_cmp_eq_u32_e32 vcc_lo, 0, v11
	s_or_not1_b32 s7, vcc_lo, exec_lo
.LBB2_1844:                             ;   in Loop: Header=BB2_1777 Depth=1
	s_or_b32 exec_lo, exec_lo, s10
	s_and_saveexec_b32 s10, s6
	s_cbranch_execz .LBB2_1846
; %bb.1845:                             ;   in Loop: Header=BB2_1777 Depth=1
	ds_load_b32 v11, v0 offset:784
	s_wait_dscnt 0x0
	v_and_b32_e32 v11, 15, v11
	s_delay_alu instid0(VALU_DEP_1) | instskip(SKIP_3) | instid1(SALU_CYCLE_1)
	v_cmp_eq_u32_e32 vcc_lo, 0, v11
	s_and_b32 s23, s7, vcc_lo
	s_and_not1_b32 s7, s7, exec_lo
	s_and_b32 s23, s23, exec_lo
	s_or_b32 s7, s7, s23
.LBB2_1846:                             ;   in Loop: Header=BB2_1777 Depth=1
	s_or_b32 exec_lo, exec_lo, s10
	v_cmp_eq_u32_e32 vcc_lo, 0, v10
	s_xor_b32 s7, s7, -1
	s_mov_b32 s23, -1
	v_cndmask_b32_e64 v11, 0, 1, s7
	v_dual_mov_b32 v58, 0 :: v_dual_cndmask_b32 v47, 0, v67
	v_mov_b32_e32 v30, v0
	s_delay_alu instid0(VALU_DEP_3) | instskip(NEXT) | instid1(VALU_DEP_3)
	v_cmp_ne_u32_e32 vcc_lo, 0, v11
	v_mov_b32_e32 v59, v47
	s_cbranch_vccz .LBB2_1849
; %bb.1847:                             ;   in Loop: Header=BB2_1777 Depth=1
	s_and_saveexec_b32 s10, s23
	s_cbranch_execnz .LBB2_3012
	s_branch .LBB2_3416
.LBB2_1848:                             ;   in Loop: Header=BB2_1777 Depth=1
	s_mov_b32 s7, 0
	s_and_saveexec_b32 s10, s2
	s_cbranch_execnz .LBB2_3417
	s_branch .LBB2_3435
.LBB2_1849:                             ;   in Loop: Header=BB2_1777 Depth=1
	v_and_b32_e32 v101, 0x1ff, v47
	v_dual_lshrrev_b32 v10, 9, v47 :: v_dual_sub_nc_u32 v102, v47, v48
	s_mov_b32 s23, exec_lo
	s_delay_alu instid0(VALU_DEP_2) | instskip(NEXT) | instid1(VALU_DEP_2)
	v_cmp_lt_u32_e32 vcc_lo, 15, v101
	v_add_co_ci_u32_e64 v100, null, v10, v43, vcc_lo
	s_delay_alu instid0(VALU_DEP_3)
	v_cmpx_lt_i32_e32 15, v102
	s_cbranch_execz .LBB2_2429
; %bb.1850:                             ;   in Loop: Header=BB2_1777 Depth=1
	s_trap 2
	ds_load_b64 v[10:11], v0
	v_add_nc_u64_e32 v[80:81], v[68:69], v[48:49]
	v_add_nc_u64_e32 v[84:85], v[70:71], v[48:49]
	s_mov_b32 s24, 0
	s_wait_dscnt 0x0
	v_add_nc_u64_e32 v[82:83], v[10:11], v[48:49]
	s_branch .LBB2_1853
.LBB2_1851:                             ;   in Loop: Header=BB2_1853 Depth=2
	s_or_b32 exec_lo, exec_lo, s25
.LBB2_1852:                             ;   in Loop: Header=BB2_1853 Depth=2
	s_delay_alu instid0(SALU_CYCLE_1)
	s_or_b32 exec_lo, exec_lo, s10
	v_lshl_or_b32 v11, v99, 8, v98
	v_dual_lshlrev_b32 v12, 16, v96 :: v_dual_lshlrev_b32 v13, 24, v30
	v_lshl_or_b32 v15, v112, 8, v103
	v_dual_lshlrev_b32 v16, 16, v113 :: v_dual_lshlrev_b32 v17, 24, v114
	;; [unrolled: 2-line block ×3, first 2 shown]
	v_dual_lshlrev_b32 v97, 24, v10 :: v_dual_sub_nc_u32 v100, v100, v36
	v_lshlrev_b32_e32 v14, 16, v14
	v_lshl_or_b32 v86, v87, 8, v86
	v_or3_b32 v11, v11, v12, v13
	v_or3_b32 v10, v15, v16, v17
	;; [unrolled: 1-line block ×3, first 2 shown]
	v_sub_nc_u32_e32 v102, v102, v50
	v_or3_b32 v13, v86, v14, v97
	v_add_nc_u64_e32 v[80:81], v[80:81], v[50:51]
	v_add_nc_u64_e32 v[82:83], v[82:83], v[50:51]
	s_delay_alu instid0(VALU_DEP_4) | instskip(SKIP_4) | instid1(SALU_CYCLE_1)
	v_cmp_gt_i32_e64 s7, 16, v102
	global_store_b128 v[84:85], v[10:13], off th:TH_STORE_NT
	s_wait_xcnt 0x0
	v_add_nc_u64_e32 v[84:85], v[84:85], v[50:51]
	s_or_b32 s24, s7, s24
	s_and_not1_b32 exec_lo, exec_lo, s24
	s_cbranch_execz .LBB2_2428
.LBB2_1853:                             ;   Parent Loop BB2_1777 Depth=1
                                        ; =>  This Inner Loop Header: Depth=2
	global_load_b128 v[14:17], v[80:81], off th:TH_LOAD_NT
	global_load_b128 v[10:13], v[82:83], off th:TH_LOAD_NT
	s_wait_loadcnt 0x1
	v_and_b32_e32 v30, 0xff, v14
	s_delay_alu instid0(VALU_DEP_1)
	v_cmp_ne_u16_e64 s7, 0, v30
	v_mov_b32_e32 v30, 0
	s_wait_xcnt 0x0
	s_and_saveexec_b32 s10, s7
	s_cbranch_execz .LBB2_1863
; %bb.1854:                             ;   in Loop: Header=BB2_1853 Depth=2
	v_bfe_i32 v86, v14, 0, 8
	v_bfrev_b32_e32 v30, 1
	s_mov_b32 s25, exec_lo
	s_delay_alu instid0(VALU_DEP_2)
	v_cmpx_ne_u16_e32 0xff80, v86
	s_cbranch_execz .LBB2_1862
; %bb.1855:                             ;   in Loop: Header=BB2_1853 Depth=2
	v_and_b32_e32 v30, 0x7c, v14
	v_and_b32_e32 v38, 3, v14
	s_delay_alu instid0(VALU_DEP_2) | instskip(SKIP_1) | instid1(SALU_CYCLE_1)
	v_cmp_ne_u32_e64 s7, 0x7c, v30
                                        ; implicit-def: $vgpr30
	s_and_saveexec_b32 s26, s7
	s_xor_b32 s26, exec_lo, s26
	s_cbranch_execz .LBB2_1859
; %bb.1856:                             ;   in Loop: Header=BB2_1853 Depth=2
	v_bfe_u32 v30, v14, 2, 5
	s_mov_b32 s27, exec_lo
	s_delay_alu instid0(VALU_DEP_1)
	v_cmpx_eq_u32_e32 0, v30
; %bb.1857:                             ;   in Loop: Header=BB2_1853 Depth=2
	v_clz_i32_u32_e32 v30, v38
	s_delay_alu instid0(VALU_DEP_1) | instskip(NEXT) | instid1(VALU_DEP_1)
	v_min_u32_e32 v30, 32, v30
	v_subrev_nc_u32_e32 v38, 29, v30
	v_sub_nc_u32_e32 v30, 30, v30
	s_delay_alu instid0(VALU_DEP_2) | instskip(NEXT) | instid1(VALU_DEP_1)
	v_lshlrev_b64_e32 v[86:87], v38, v[14:15]
	v_and_b32_e32 v38, 3, v86
; %bb.1858:                             ;   in Loop: Header=BB2_1853 Depth=2
	s_or_b32 exec_lo, exec_lo, s27
	v_lshlrev_b32_e32 v86, 24, v14
	s_delay_alu instid0(VALU_DEP_1) | instskip(NEXT) | instid1(VALU_DEP_1)
	v_and_b32_e32 v86, 0x80000000, v86
	v_lshl_add_u32 v30, v30, 23, v86
                                        ; implicit-def: $vgpr86
	s_delay_alu instid0(VALU_DEP_1) | instskip(NEXT) | instid1(VALU_DEP_1)
	v_lshl_or_b32 v30, v38, 21, v30
                                        ; implicit-def: $vgpr38
	v_add_nc_u32_e32 v30, 0x38000000, v30
.LBB2_1859:                             ;   in Loop: Header=BB2_1853 Depth=2
	s_and_not1_saveexec_b32 s26, s26
; %bb.1860:                             ;   in Loop: Header=BB2_1853 Depth=2
	v_cmp_lt_i16_e64 s7, -1, v86
	s_delay_alu instid0(VALU_DEP_1) | instskip(SKIP_1) | instid1(VALU_DEP_1)
	v_cndmask_b32_e64 v30, 0xff800000, v45, s7
	v_cmp_eq_u32_e64 s7, 0, v38
	v_cndmask_b32_e64 v30, 0x7f800001, v30, s7
; %bb.1861:                             ;   in Loop: Header=BB2_1853 Depth=2
	s_or_b32 exec_lo, exec_lo, s26
.LBB2_1862:                             ;   in Loop: Header=BB2_1853 Depth=2
	s_delay_alu instid0(SALU_CYCLE_1)
	s_or_b32 exec_lo, exec_lo, s25
.LBB2_1863:                             ;   in Loop: Header=BB2_1853 Depth=2
	s_delay_alu instid0(SALU_CYCLE_1) | instskip(SKIP_4) | instid1(VALU_DEP_1)
	s_or_b32 exec_lo, exec_lo, s10
	s_wait_loadcnt 0x0
	v_and_b32_e32 v86, 0xff, v10
	s_mov_b32 s25, 0
	s_mov_b32 s10, exec_lo
	v_cmpx_lt_i16_e32 0x7f, v86
	s_xor_b32 s10, exec_lo, s10
	s_cbranch_execz .LBB2_2404
; %bb.1864:                             ;   in Loop: Header=BB2_1853 Depth=2
	s_mov_b32 s25, -1
	s_mov_b32 s26, exec_lo
	v_cmpx_eq_u16_e32 0x80, v86
; %bb.1865:                             ;   in Loop: Header=BB2_1853 Depth=2
	s_xor_b32 s25, exec_lo, -1
; %bb.1866:                             ;   in Loop: Header=BB2_1853 Depth=2
	s_or_b32 exec_lo, exec_lo, s26
	s_delay_alu instid0(SALU_CYCLE_1)
	s_and_b32 s25, s25, exec_lo
                                        ; implicit-def: $vgpr86
	s_or_saveexec_b32 s10, s10
	v_bfrev_b32_e32 v38, 1
	s_xor_b32 exec_lo, exec_lo, s10
	s_cbranch_execnz .LBB2_2405
.LBB2_1867:                             ;   in Loop: Header=BB2_1853 Depth=2
	s_or_b32 exec_lo, exec_lo, s10
	s_and_saveexec_b32 s10, s25
	s_cbranch_execz .LBB2_1869
.LBB2_1868:                             ;   in Loop: Header=BB2_1853 Depth=2
	v_and_b32_e32 v38, 3, v10
	v_bfe_u32 v97, v10, 2, 5
	s_delay_alu instid0(VALU_DEP_2) | instskip(NEXT) | instid1(VALU_DEP_2)
	v_clz_i32_u32_e32 v86, v38
	v_cmp_eq_u32_e64 s7, 0, v97
	s_delay_alu instid0(VALU_DEP_2) | instskip(NEXT) | instid1(VALU_DEP_1)
	v_min_u32_e32 v96, 32, v86
	v_subrev_nc_u32_e32 v86, 29, v96
	s_delay_alu instid0(VALU_DEP_1) | instskip(SKIP_1) | instid1(VALU_DEP_1)
	v_lshlrev_b64_e32 v[86:87], v86, v[10:11]
	v_dual_lshlrev_b32 v87, 24, v10 :: v_dual_sub_nc_u32 v96, 30, v96
	v_and_b32_e32 v87, 0x80000000, v87
	s_delay_alu instid0(VALU_DEP_2) | instskip(SKIP_1) | instid1(VALU_DEP_2)
	v_dual_cndmask_b32 v96, v97, v96, s7 :: v_dual_bitop2_b32 v86, 3, v86 bitop3:0x40
	v_bfe_i32 v97, v10, 0, 8
	v_cndmask_b32_e64 v86, v38, v86, s7
	s_delay_alu instid0(VALU_DEP_3) | instskip(NEXT) | instid1(VALU_DEP_3)
	v_lshl_add_u32 v87, v96, 23, v87
	v_cmp_lt_i16_e64 s7, -1, v97
	s_delay_alu instid0(VALU_DEP_2) | instskip(NEXT) | instid1(VALU_DEP_2)
	v_lshl_or_b32 v86, v86, 21, v87
	v_cndmask_b32_e64 v96, 0xff800000, v45, s7
	v_and_b32_e32 v87, 0x7c, v10
	v_cmp_eq_u32_e64 s7, 0, v38
	s_delay_alu instid0(VALU_DEP_4) | instskip(NEXT) | instid1(VALU_DEP_2)
	v_add_nc_u32_e32 v86, 0x38000000, v86
	v_cndmask_b32_e64 v38, 0x7f800001, v96, s7
	s_delay_alu instid0(VALU_DEP_4) | instskip(NEXT) | instid1(VALU_DEP_1)
	v_cmp_eq_u32_e64 s7, 0x7c, v87
	v_cndmask_b32_e64 v38, v86, v38, s7
.LBB2_1869:                             ;   in Loop: Header=BB2_1853 Depth=2
	s_or_b32 exec_lo, exec_lo, s10
	s_delay_alu instid0(VALU_DEP_1) | instskip(SKIP_1) | instid1(VALU_DEP_1)
	v_dual_mul_f32 v86, v30, v38 :: v_dual_mov_b32 v97, v39
                                        ; implicit-def: $vgpr103
	s_mov_b32 s10, exec_lo
	v_and_b32_e32 v96, 0x7f800000, v86
	v_and_b32_e32 v38, 0x7fffff, v86
	v_lshrrev_b32_e32 v30, 24, v86
	s_delay_alu instid0(VALU_DEP_3)
	v_cmpx_ne_u64_e32 0x7f800000, v[96:97]
	s_xor_b32 s25, exec_lo, s10
	s_cbranch_execz .LBB2_1883
; %bb.1870:                             ;   in Loop: Header=BB2_1853 Depth=2
	v_and_b32_e32 v96, 0x7fffffff, v86
	v_mov_b32_e32 v97, v39
	v_and_b32_e32 v30, 0x80, v30
                                        ; implicit-def: $vgpr103
	s_mov_b32 s10, exec_lo
	s_delay_alu instid0(VALU_DEP_2)
	v_cmpx_gt_u64_e32 0x47600001, v[96:97]
	s_xor_b32 s26, exec_lo, s10
	s_cbranch_execz .LBB2_1880
; %bb.1871:                             ;   in Loop: Header=BB2_1853 Depth=2
	v_mov_b32_e32 v103, 0
	s_mov_b32 s27, exec_lo
	v_cmpx_ne_u32_e32 0, v86
	s_cbranch_execz .LBB2_1879
; %bb.1872:                             ;   in Loop: Header=BB2_1853 Depth=2
	v_bfe_u32 v98, v86, 23, 8
	v_or_b32_e32 v96, 0x800000, v38
	s_delay_alu instid0(VALU_DEP_2) | instskip(SKIP_1) | instid1(VALU_DEP_1)
	v_sub_nc_u32_e32 v86, 0x71, v98
	v_cmp_gt_u32_e64 s7, 0x72, v98
	v_cndmask_b32_e64 v86, 0, v86, s7
	v_cmp_eq_u32_e64 s7, 0, v98
	s_delay_alu instid0(VALU_DEP_1) | instskip(NEXT) | instid1(VALU_DEP_1)
	v_cndmask_b32_e64 v99, v86, 0x70, s7
	v_dual_cndmask_b32 v38, v96, v38, s7 :: v_dual_add_nc_u32 v86, 21, v99
	v_add_nc_u32_e32 v97, 20, v99
	s_delay_alu instid0(VALU_DEP_2) | instskip(NEXT) | instid1(VALU_DEP_2)
	v_lshlrev_b64_e64 v[86:87], v86, -1
	v_lshlrev_b64_e64 v[96:97], v97, 1
	s_delay_alu instid0(VALU_DEP_2) | instskip(NEXT) | instid1(VALU_DEP_3)
	v_bfi_b32 v113, v87, 0, 0
	v_bfi_b32 v112, v86, 0, v38
	v_lshrrev_b64 v[86:87], v99, v[38:39]
	s_delay_alu instid0(VALU_DEP_2) | instskip(NEXT) | instid1(VALU_DEP_2)
	v_cmp_eq_u64_e64 s10, v[112:113], v[96:97]
	v_mov_b64_e32 v[96:97], v[86:87]
	s_and_saveexec_b32 s28, s10
; %bb.1873:                             ;   in Loop: Header=BB2_1853 Depth=2
	v_bfe_u32 v38, v86, 21, 1
	s_delay_alu instid0(VALU_DEP_1) | instskip(NEXT) | instid1(VALU_DEP_1)
	v_add_nc_u64_e32 v[96:97], v[86:87], v[38:39]
	v_add_nc_u64_e32 v[96:97], -1, v[96:97]
; %bb.1874:                             ;   in Loop: Header=BB2_1853 Depth=2
	s_or_b32 exec_lo, exec_lo, s28
	v_add_nc_u32_e32 v38, 0xffffff81, v98
	v_lshrrev_b32_e32 v87, 23, v86
	s_mov_b32 s10, exec_lo
	s_delay_alu instid0(VALU_DEP_2) | instskip(NEXT) | instid1(VALU_DEP_1)
	v_cndmask_b32_e64 v38, v38, 0xffffff82, s7
	v_add3_u32 v97, v99, v38, v87
	v_and_b32_e32 v38, 0x1fffff, v96
                                        ; implicit-def: $vgpr96
	s_delay_alu instid0(VALU_DEP_1) | instskip(NEXT) | instid1(VALU_DEP_1)
	v_dual_add_nc_u32 v98, 14, v97 :: v_dual_add_nc_u32 v38, v38, v86
                                        ; implicit-def: $vgpr86_vgpr87
	v_cmpx_ne_u32_e32 0, v98
	s_xor_b32 s10, exec_lo, s10
; %bb.1875:                             ;   in Loop: Header=BB2_1853 Depth=2
	s_delay_alu instid0(VALU_DEP_2) | instskip(SKIP_1) | instid1(VALU_DEP_1)
	v_cmp_lt_u64_e64 s7, 0xffffff, v[38:39]
	v_add_nc_u32_e32 v86, 15, v97
	v_cndmask_b32_e64 v96, v98, v86, s7
	v_cndmask_b32_e64 v86, 0, 1, s7
	s_delay_alu instid0(VALU_DEP_1)
	v_lshrrev_b64 v[86:87], v86, v[38:39]
; %bb.1876:                             ;   in Loop: Header=BB2_1853 Depth=2
	s_and_not1_saveexec_b32 s7, s10
; %bb.1877:                             ;   in Loop: Header=BB2_1853 Depth=2
	v_mov_b64_e32 v[86:87], v[38:39]
	v_bfe_u32 v96, v38, 23, 1
; %bb.1878:                             ;   in Loop: Header=BB2_1853 Depth=2
	s_or_b32 exec_lo, exec_lo, s7
	s_delay_alu instid0(VALU_DEP_2) | instskip(NEXT) | instid1(VALU_DEP_2)
	v_lshrrev_b64 v[86:87], 21, v[86:87]
	v_cmp_gt_i32_e64 s7, 32, v96
	v_min_i32_e32 v38, 31, v96
	v_cmp_eq_u32_e64 s10, 0, v96
	s_delay_alu instid0(VALU_DEP_2) | instskip(SKIP_1) | instid1(VALU_DEP_2)
	v_dual_cndmask_b32 v87, 0, v87, s7 :: v_dual_lshlrev_b32 v38, 2, v38
	v_cndmask_b32_e64 v86, 3, v86, s7
	v_and_b32_e32 v38, 0xfc, v38
	s_delay_alu instid0(VALU_DEP_2) | instskip(NEXT) | instid1(VALU_DEP_2)
	v_cmp_eq_u64_e64 s7, 0, v[86:87]
	v_and_or_b32 v38, v86, 3, v38
	s_and_b32 s7, s10, s7
	s_delay_alu instid0(VALU_DEP_1) | instid1(SALU_CYCLE_1)
	v_cndmask_b32_e64 v38, v38, 0, s7
	s_delay_alu instid0(VALU_DEP_1)
	v_or_b32_e32 v103, v38, v30
.LBB2_1879:                             ;   in Loop: Header=BB2_1853 Depth=2
	s_or_b32 exec_lo, exec_lo, s27
                                        ; implicit-def: $vgpr30
.LBB2_1880:                             ;   in Loop: Header=BB2_1853 Depth=2
	s_and_not1_saveexec_b32 s7, s26
; %bb.1881:                             ;   in Loop: Header=BB2_1853 Depth=2
	v_or_b32_e32 v103, 0x7b, v30
; %bb.1882:                             ;   in Loop: Header=BB2_1853 Depth=2
	s_or_b32 exec_lo, exec_lo, s7
                                        ; implicit-def: $vgpr86
                                        ; implicit-def: $vgpr30
.LBB2_1883:                             ;   in Loop: Header=BB2_1853 Depth=2
	s_and_not1_saveexec_b32 s10, s25
	s_cbranch_execz .LBB2_1889
; %bb.1884:                             ;   in Loop: Header=BB2_1853 Depth=2
	v_cmp_ne_u64_e64 s7, 0, v[38:39]
                                        ; implicit-def: $vgpr103
	s_and_saveexec_b32 s25, s7
	s_delay_alu instid0(SALU_CYCLE_1)
	s_xor_b32 s7, exec_lo, s25
; %bb.1885:                             ;   in Loop: Header=BB2_1853 Depth=2
	v_or_b32_e32 v103, 0x7f, v30
                                        ; implicit-def: $vgpr86
; %bb.1886:                             ;   in Loop: Header=BB2_1853 Depth=2
	s_and_not1_saveexec_b32 s25, s7
; %bb.1887:                             ;   in Loop: Header=BB2_1853 Depth=2
	v_cmp_lt_i32_e64 s7, -1, v86
	s_delay_alu instid0(VALU_DEP_1)
	v_cndmask_b32_e64 v103, 0xfc, v46, s7
; %bb.1888:                             ;   in Loop: Header=BB2_1853 Depth=2
	s_or_b32 exec_lo, exec_lo, s25
.LBB2_1889:                             ;   in Loop: Header=BB2_1853 Depth=2
	s_delay_alu instid0(SALU_CYCLE_1) | instskip(SKIP_3) | instid1(VALU_DEP_2)
	s_or_b32 exec_lo, exec_lo, s10
	v_lshrrev_b16 v38, 8, v14
	v_mov_b32_e32 v30, 0
	s_mov_b32 s10, exec_lo
	v_cmpx_ne_u16_e32 0, v38
	s_cbranch_execz .LBB2_1899
; %bb.1890:                             ;   in Loop: Header=BB2_1853 Depth=2
	v_bfrev_b32_e32 v30, 1
	s_mov_b32 s25, exec_lo
	v_cmpx_ne_u16_e32 0x80, v38
	s_cbranch_execz .LBB2_1898
; %bb.1891:                             ;   in Loop: Header=BB2_1853 Depth=2
	v_and_b32_e32 v87, 0xffff, v38
	s_delay_alu instid0(VALU_DEP_1) | instskip(SKIP_1) | instid1(VALU_DEP_2)
	v_and_b32_e32 v30, 0x7c, v87
	v_and_b32_e32 v86, 3, v87
	v_cmp_ne_u32_e64 s7, 0x7c, v30
                                        ; implicit-def: $vgpr30
	s_and_saveexec_b32 s26, s7
	s_delay_alu instid0(SALU_CYCLE_1)
	s_xor_b32 s26, exec_lo, s26
	s_cbranch_execz .LBB2_1895
; %bb.1892:                             ;   in Loop: Header=BB2_1853 Depth=2
	v_bfe_u32 v30, v87, 2, 5
	s_mov_b32 s27, exec_lo
	s_delay_alu instid0(VALU_DEP_1)
	v_cmpx_eq_u32_e32 0, v30
; %bb.1893:                             ;   in Loop: Header=BB2_1853 Depth=2
	v_clz_i32_u32_e32 v30, v86
	s_delay_alu instid0(VALU_DEP_1) | instskip(NEXT) | instid1(VALU_DEP_1)
	v_min_u32_e32 v30, 32, v30
	v_subrev_nc_u32_e32 v86, 29, v30
	v_sub_nc_u32_e32 v30, 30, v30
	s_delay_alu instid0(VALU_DEP_2) | instskip(NEXT) | instid1(VALU_DEP_1)
	v_lshlrev_b64_e32 v[86:87], v86, v[38:39]
	v_and_b32_e32 v86, 3, v86
; %bb.1894:                             ;   in Loop: Header=BB2_1853 Depth=2
	s_or_b32 exec_lo, exec_lo, s27
	v_lshlrev_b32_e32 v38, 16, v14
	s_delay_alu instid0(VALU_DEP_1) | instskip(NEXT) | instid1(VALU_DEP_1)
	v_and_b32_e32 v38, 0x80000000, v38
	v_lshl_add_u32 v30, v30, 23, v38
	s_delay_alu instid0(VALU_DEP_1) | instskip(NEXT) | instid1(VALU_DEP_1)
	v_lshl_or_b32 v30, v86, 21, v30
                                        ; implicit-def: $vgpr86
	v_add_nc_u32_e32 v30, 0x38000000, v30
.LBB2_1895:                             ;   in Loop: Header=BB2_1853 Depth=2
	s_and_not1_saveexec_b32 s26, s26
; %bb.1896:                             ;   in Loop: Header=BB2_1853 Depth=2
	v_cmp_lt_i16_e64 s7, -1, v14
	s_delay_alu instid0(VALU_DEP_1) | instskip(SKIP_1) | instid1(VALU_DEP_1)
	v_cndmask_b32_e64 v30, 0xff800000, v45, s7
	v_cmp_eq_u32_e64 s7, 0, v86
	v_cndmask_b32_e64 v30, 0x7f800001, v30, s7
; %bb.1897:                             ;   in Loop: Header=BB2_1853 Depth=2
	s_or_b32 exec_lo, exec_lo, s26
.LBB2_1898:                             ;   in Loop: Header=BB2_1853 Depth=2
	s_delay_alu instid0(SALU_CYCLE_1)
	s_or_b32 exec_lo, exec_lo, s25
.LBB2_1899:                             ;   in Loop: Header=BB2_1853 Depth=2
	s_delay_alu instid0(SALU_CYCLE_1) | instskip(SKIP_3) | instid1(VALU_DEP_1)
	s_or_b32 exec_lo, exec_lo, s10
	v_lshrrev_b16 v38, 8, v10
	s_mov_b32 s25, 0
	s_mov_b32 s10, exec_lo
	v_cmpx_lt_i16_e32 0x7f, v38
	s_xor_b32 s10, exec_lo, s10
	s_cbranch_execz .LBB2_2406
; %bb.1900:                             ;   in Loop: Header=BB2_1853 Depth=2
	s_mov_b32 s25, -1
	s_mov_b32 s26, exec_lo
	v_cmpx_eq_u16_e32 0x80, v38
; %bb.1901:                             ;   in Loop: Header=BB2_1853 Depth=2
	s_xor_b32 s25, exec_lo, -1
; %bb.1902:                             ;   in Loop: Header=BB2_1853 Depth=2
	s_or_b32 exec_lo, exec_lo, s26
	s_delay_alu instid0(SALU_CYCLE_1)
	s_and_b32 s25, s25, exec_lo
	s_or_saveexec_b32 s10, s10
	v_bfrev_b32_e32 v86, 1
	s_xor_b32 exec_lo, exec_lo, s10
	s_cbranch_execnz .LBB2_2407
.LBB2_1903:                             ;   in Loop: Header=BB2_1853 Depth=2
	s_or_b32 exec_lo, exec_lo, s10
	s_and_saveexec_b32 s10, s25
	s_cbranch_execz .LBB2_1905
.LBB2_1904:                             ;   in Loop: Header=BB2_1853 Depth=2
	v_and_b32_e32 v96, 0xffff, v38
	s_delay_alu instid0(VALU_DEP_1) | instskip(NEXT) | instid1(VALU_DEP_1)
	v_and_b32_e32 v97, 3, v96
	v_clz_i32_u32_e32 v86, v97
	s_delay_alu instid0(VALU_DEP_1) | instskip(NEXT) | instid1(VALU_DEP_1)
	v_min_u32_e32 v98, 32, v86
	v_subrev_nc_u32_e32 v86, 29, v98
	v_sub_nc_u32_e32 v98, 30, v98
	s_delay_alu instid0(VALU_DEP_2) | instskip(SKIP_2) | instid1(VALU_DEP_2)
	v_lshlrev_b64_e32 v[86:87], v86, v[38:39]
	v_bfe_u32 v87, v96, 2, 5
	v_lshlrev_b32_e32 v38, 24, v38
	v_cmp_eq_u32_e64 s7, 0, v87
	s_delay_alu instid0(VALU_DEP_2) | instskip(SKIP_1) | instid1(VALU_DEP_3)
	v_and_b32_e32 v38, 0x80000000, v38
	v_and_b32_e32 v86, 3, v86
	v_cndmask_b32_e64 v87, v87, v98, s7
	s_delay_alu instid0(VALU_DEP_2) | instskip(SKIP_1) | instid1(VALU_DEP_3)
	v_cndmask_b32_e64 v86, v97, v86, s7
	v_cmp_lt_i16_e64 s7, -1, v10
	v_lshl_add_u32 v38, v87, 23, v38
	s_delay_alu instid0(VALU_DEP_2) | instskip(SKIP_1) | instid1(VALU_DEP_3)
	v_cndmask_b32_e64 v87, 0xff800000, v45, s7
	v_cmp_eq_u32_e64 s7, 0, v97
	v_lshl_or_b32 v38, v86, 21, v38
	v_and_b32_e32 v86, 0x7c, v96
	s_delay_alu instid0(VALU_DEP_3) | instskip(NEXT) | instid1(VALU_DEP_3)
	v_cndmask_b32_e64 v87, 0x7f800001, v87, s7
	v_add_nc_u32_e32 v38, 0x38000000, v38
	s_delay_alu instid0(VALU_DEP_3) | instskip(NEXT) | instid1(VALU_DEP_1)
	v_cmp_eq_u32_e64 s7, 0x7c, v86
	v_cndmask_b32_e64 v86, v38, v87, s7
.LBB2_1905:                             ;   in Loop: Header=BB2_1853 Depth=2
	s_or_b32 exec_lo, exec_lo, s10
	s_delay_alu instid0(VALU_DEP_1) | instskip(SKIP_1) | instid1(VALU_DEP_1)
	v_dual_mul_f32 v86, v30, v86 :: v_dual_mov_b32 v97, v39
                                        ; implicit-def: $vgpr112
	s_mov_b32 s10, exec_lo
	v_and_b32_e32 v96, 0x7f800000, v86
	v_and_b32_e32 v38, 0x7fffff, v86
	v_lshrrev_b32_e32 v30, 24, v86
	s_delay_alu instid0(VALU_DEP_3)
	v_cmpx_ne_u64_e32 0x7f800000, v[96:97]
	s_xor_b32 s25, exec_lo, s10
	s_cbranch_execz .LBB2_1919
; %bb.1906:                             ;   in Loop: Header=BB2_1853 Depth=2
	v_and_b32_e32 v96, 0x7fffffff, v86
	v_mov_b32_e32 v97, v39
	v_and_b32_e32 v30, 0x80, v30
                                        ; implicit-def: $vgpr112
	s_mov_b32 s10, exec_lo
	s_delay_alu instid0(VALU_DEP_2)
	v_cmpx_gt_u64_e32 0x47600001, v[96:97]
	s_xor_b32 s26, exec_lo, s10
	s_cbranch_execz .LBB2_1916
; %bb.1907:                             ;   in Loop: Header=BB2_1853 Depth=2
	v_mov_b32_e32 v112, 0
	s_mov_b32 s27, exec_lo
	v_cmpx_ne_u32_e32 0, v86
	s_cbranch_execz .LBB2_1915
; %bb.1908:                             ;   in Loop: Header=BB2_1853 Depth=2
	v_bfe_u32 v98, v86, 23, 8
	v_or_b32_e32 v96, 0x800000, v38
	s_delay_alu instid0(VALU_DEP_2) | instskip(SKIP_1) | instid1(VALU_DEP_1)
	v_sub_nc_u32_e32 v86, 0x71, v98
	v_cmp_gt_u32_e64 s7, 0x72, v98
	v_cndmask_b32_e64 v86, 0, v86, s7
	v_cmp_eq_u32_e64 s7, 0, v98
	s_delay_alu instid0(VALU_DEP_1) | instskip(NEXT) | instid1(VALU_DEP_1)
	v_cndmask_b32_e64 v99, v86, 0x70, s7
	v_dual_cndmask_b32 v38, v96, v38, s7 :: v_dual_add_nc_u32 v86, 21, v99
	v_add_nc_u32_e32 v97, 20, v99
	s_delay_alu instid0(VALU_DEP_2) | instskip(NEXT) | instid1(VALU_DEP_2)
	v_lshlrev_b64_e64 v[86:87], v86, -1
	v_lshlrev_b64_e64 v[96:97], v97, 1
	s_delay_alu instid0(VALU_DEP_2) | instskip(NEXT) | instid1(VALU_DEP_3)
	v_bfi_b32 v113, v87, 0, 0
	v_bfi_b32 v112, v86, 0, v38
	v_lshrrev_b64 v[86:87], v99, v[38:39]
	s_delay_alu instid0(VALU_DEP_2) | instskip(NEXT) | instid1(VALU_DEP_2)
	v_cmp_eq_u64_e64 s10, v[112:113], v[96:97]
	v_mov_b64_e32 v[96:97], v[86:87]
	s_and_saveexec_b32 s28, s10
; %bb.1909:                             ;   in Loop: Header=BB2_1853 Depth=2
	v_bfe_u32 v38, v86, 21, 1
	s_delay_alu instid0(VALU_DEP_1) | instskip(NEXT) | instid1(VALU_DEP_1)
	v_add_nc_u64_e32 v[96:97], v[86:87], v[38:39]
	v_add_nc_u64_e32 v[96:97], -1, v[96:97]
; %bb.1910:                             ;   in Loop: Header=BB2_1853 Depth=2
	s_or_b32 exec_lo, exec_lo, s28
	v_add_nc_u32_e32 v38, 0xffffff81, v98
	v_lshrrev_b32_e32 v87, 23, v86
	s_mov_b32 s10, exec_lo
	s_delay_alu instid0(VALU_DEP_2) | instskip(NEXT) | instid1(VALU_DEP_1)
	v_cndmask_b32_e64 v38, v38, 0xffffff82, s7
	v_add3_u32 v97, v99, v38, v87
	v_and_b32_e32 v38, 0x1fffff, v96
                                        ; implicit-def: $vgpr96
	s_delay_alu instid0(VALU_DEP_1) | instskip(NEXT) | instid1(VALU_DEP_1)
	v_dual_add_nc_u32 v98, 14, v97 :: v_dual_add_nc_u32 v38, v38, v86
                                        ; implicit-def: $vgpr86_vgpr87
	v_cmpx_ne_u32_e32 0, v98
	s_xor_b32 s10, exec_lo, s10
; %bb.1911:                             ;   in Loop: Header=BB2_1853 Depth=2
	s_delay_alu instid0(VALU_DEP_2) | instskip(SKIP_1) | instid1(VALU_DEP_1)
	v_cmp_lt_u64_e64 s7, 0xffffff, v[38:39]
	v_add_nc_u32_e32 v86, 15, v97
	v_cndmask_b32_e64 v96, v98, v86, s7
	v_cndmask_b32_e64 v86, 0, 1, s7
	s_delay_alu instid0(VALU_DEP_1)
	v_lshrrev_b64 v[86:87], v86, v[38:39]
; %bb.1912:                             ;   in Loop: Header=BB2_1853 Depth=2
	s_and_not1_saveexec_b32 s7, s10
; %bb.1913:                             ;   in Loop: Header=BB2_1853 Depth=2
	v_mov_b64_e32 v[86:87], v[38:39]
	v_bfe_u32 v96, v38, 23, 1
; %bb.1914:                             ;   in Loop: Header=BB2_1853 Depth=2
	s_or_b32 exec_lo, exec_lo, s7
	s_delay_alu instid0(VALU_DEP_2) | instskip(NEXT) | instid1(VALU_DEP_2)
	v_lshrrev_b64 v[86:87], 21, v[86:87]
	v_cmp_gt_i32_e64 s7, 32, v96
	v_min_i32_e32 v38, 31, v96
	v_cmp_eq_u32_e64 s10, 0, v96
	s_delay_alu instid0(VALU_DEP_2) | instskip(SKIP_1) | instid1(VALU_DEP_2)
	v_dual_cndmask_b32 v87, 0, v87, s7 :: v_dual_lshlrev_b32 v38, 2, v38
	v_cndmask_b32_e64 v86, 3, v86, s7
	v_and_b32_e32 v38, 0xfc, v38
	s_delay_alu instid0(VALU_DEP_2) | instskip(NEXT) | instid1(VALU_DEP_2)
	v_cmp_eq_u64_e64 s7, 0, v[86:87]
	v_and_or_b32 v38, v86, 3, v38
	s_and_b32 s7, s10, s7
	s_delay_alu instid0(VALU_DEP_1) | instid1(SALU_CYCLE_1)
	v_cndmask_b32_e64 v38, v38, 0, s7
	s_delay_alu instid0(VALU_DEP_1)
	v_or_b32_e32 v112, v38, v30
.LBB2_1915:                             ;   in Loop: Header=BB2_1853 Depth=2
	s_or_b32 exec_lo, exec_lo, s27
                                        ; implicit-def: $vgpr30
.LBB2_1916:                             ;   in Loop: Header=BB2_1853 Depth=2
	s_and_not1_saveexec_b32 s7, s26
; %bb.1917:                             ;   in Loop: Header=BB2_1853 Depth=2
	v_or_b32_e32 v112, 0x7b, v30
; %bb.1918:                             ;   in Loop: Header=BB2_1853 Depth=2
	s_or_b32 exec_lo, exec_lo, s7
                                        ; implicit-def: $vgpr86
                                        ; implicit-def: $vgpr30
.LBB2_1919:                             ;   in Loop: Header=BB2_1853 Depth=2
	s_and_not1_saveexec_b32 s10, s25
	s_cbranch_execz .LBB2_1925
; %bb.1920:                             ;   in Loop: Header=BB2_1853 Depth=2
	v_cmp_ne_u64_e64 s7, 0, v[38:39]
                                        ; implicit-def: $vgpr112
	s_and_saveexec_b32 s25, s7
	s_delay_alu instid0(SALU_CYCLE_1)
	s_xor_b32 s7, exec_lo, s25
; %bb.1921:                             ;   in Loop: Header=BB2_1853 Depth=2
	v_or_b32_e32 v112, 0x7f, v30
                                        ; implicit-def: $vgpr86
; %bb.1922:                             ;   in Loop: Header=BB2_1853 Depth=2
	s_and_not1_saveexec_b32 s25, s7
; %bb.1923:                             ;   in Loop: Header=BB2_1853 Depth=2
	v_cmp_lt_i32_e64 s7, -1, v86
	s_delay_alu instid0(VALU_DEP_1)
	v_cndmask_b32_e64 v112, 0xfc, v46, s7
; %bb.1924:                             ;   in Loop: Header=BB2_1853 Depth=2
	s_or_b32 exec_lo, exec_lo, s25
.LBB2_1925:                             ;   in Loop: Header=BB2_1853 Depth=2
	s_delay_alu instid0(SALU_CYCLE_1) | instskip(SKIP_2) | instid1(VALU_DEP_1)
	s_or_b32 exec_lo, exec_lo, s10
	v_dual_lshrrev_b32 v30, 16, v14 :: v_dual_mov_b32 v38, 0
	s_mov_b32 s10, exec_lo
	v_and_b32_e32 v86, 0xff, v30
	s_delay_alu instid0(VALU_DEP_1)
	v_cmpx_ne_u16_e32 0, v86
	s_cbranch_execz .LBB2_1935
; %bb.1926:                             ;   in Loop: Header=BB2_1853 Depth=2
	v_bfrev_b32_e32 v38, 1
	s_mov_b32 s25, exec_lo
	v_cmpx_ne_u16_e32 0x80, v86
	s_cbranch_execz .LBB2_1934
; %bb.1927:                             ;   in Loop: Header=BB2_1853 Depth=2
	v_and_b32_e32 v38, 0x7c0000, v14
	v_bfe_u32 v86, v14, 16, 2
	s_delay_alu instid0(VALU_DEP_2) | instskip(SKIP_1) | instid1(SALU_CYCLE_1)
	v_cmp_ne_u32_e64 s7, 0x7c0000, v38
                                        ; implicit-def: $vgpr38
	s_and_saveexec_b32 s26, s7
	s_xor_b32 s26, exec_lo, s26
	s_cbranch_execz .LBB2_1931
; %bb.1928:                             ;   in Loop: Header=BB2_1853 Depth=2
	v_bfe_u32 v38, v14, 18, 5
	s_mov_b32 s27, exec_lo
	s_delay_alu instid0(VALU_DEP_1)
	v_cmpx_eq_u32_e32 0, v38
; %bb.1929:                             ;   in Loop: Header=BB2_1853 Depth=2
	v_clz_i32_u32_e32 v38, v86
	s_delay_alu instid0(VALU_DEP_1) | instskip(NEXT) | instid1(VALU_DEP_1)
	v_min_u32_e32 v38, 32, v38
	v_subrev_nc_u32_e32 v86, 29, v38
	v_sub_nc_u32_e32 v38, 30, v38
	s_delay_alu instid0(VALU_DEP_2) | instskip(NEXT) | instid1(VALU_DEP_1)
	v_lshlrev_b64_e32 v[86:87], v86, v[30:31]
	v_and_b32_e32 v86, 3, v86
; %bb.1930:                             ;   in Loop: Header=BB2_1853 Depth=2
	s_or_b32 exec_lo, exec_lo, s27
	v_lshlrev_b32_e32 v30, 24, v30
	s_delay_alu instid0(VALU_DEP_1) | instskip(NEXT) | instid1(VALU_DEP_1)
	v_and_b32_e32 v30, 0x80000000, v30
	v_lshl_add_u32 v30, v38, 23, v30
	s_delay_alu instid0(VALU_DEP_1) | instskip(NEXT) | instid1(VALU_DEP_1)
	v_lshl_or_b32 v30, v86, 21, v30
                                        ; implicit-def: $vgpr86
	v_add_nc_u32_e32 v38, 0x38000000, v30
                                        ; implicit-def: $vgpr30
.LBB2_1931:                             ;   in Loop: Header=BB2_1853 Depth=2
	s_and_not1_saveexec_b32 s26, s26
; %bb.1932:                             ;   in Loop: Header=BB2_1853 Depth=2
	v_bfe_i32 v30, v30, 0, 8
	s_delay_alu instid0(VALU_DEP_1) | instskip(NEXT) | instid1(VALU_DEP_1)
	v_cmp_lt_i16_e64 s7, -1, v30
	v_cndmask_b32_e64 v30, 0xff800000, v45, s7
	v_cmp_eq_u32_e64 s7, 0, v86
	s_delay_alu instid0(VALU_DEP_1)
	v_cndmask_b32_e64 v38, 0x7f800001, v30, s7
; %bb.1933:                             ;   in Loop: Header=BB2_1853 Depth=2
	s_or_b32 exec_lo, exec_lo, s26
.LBB2_1934:                             ;   in Loop: Header=BB2_1853 Depth=2
	s_delay_alu instid0(SALU_CYCLE_1)
	s_or_b32 exec_lo, exec_lo, s25
.LBB2_1935:                             ;   in Loop: Header=BB2_1853 Depth=2
	s_delay_alu instid0(SALU_CYCLE_1) | instskip(SKIP_3) | instid1(VALU_DEP_1)
	s_or_b32 exec_lo, exec_lo, s10
	v_lshrrev_b32_e32 v30, 16, v10
	s_mov_b32 s25, 0
	s_mov_b32 s10, exec_lo
	v_and_b32_e32 v87, 0xff, v30
	s_delay_alu instid0(VALU_DEP_1)
	v_cmpx_lt_i16_e32 0x7f, v87
	s_xor_b32 s10, exec_lo, s10
	s_cbranch_execz .LBB2_2408
; %bb.1936:                             ;   in Loop: Header=BB2_1853 Depth=2
	s_mov_b32 s25, -1
	s_mov_b32 s26, exec_lo
	v_cmpx_eq_u16_e32 0x80, v87
; %bb.1937:                             ;   in Loop: Header=BB2_1853 Depth=2
	s_xor_b32 s25, exec_lo, -1
; %bb.1938:                             ;   in Loop: Header=BB2_1853 Depth=2
	s_or_b32 exec_lo, exec_lo, s26
	s_delay_alu instid0(SALU_CYCLE_1)
	s_and_b32 s25, s25, exec_lo
                                        ; implicit-def: $vgpr87
	s_or_saveexec_b32 s10, s10
	v_bfrev_b32_e32 v86, 1
	s_xor_b32 exec_lo, exec_lo, s10
	s_cbranch_execnz .LBB2_2409
.LBB2_1939:                             ;   in Loop: Header=BB2_1853 Depth=2
	s_or_b32 exec_lo, exec_lo, s10
	s_and_saveexec_b32 s10, s25
	s_cbranch_execz .LBB2_1941
.LBB2_1940:                             ;   in Loop: Header=BB2_1853 Depth=2
	v_and_b32_e32 v96, 3, v30
	v_bfe_u32 v98, v10, 18, 5
	s_delay_alu instid0(VALU_DEP_2) | instskip(NEXT) | instid1(VALU_DEP_2)
	v_clz_i32_u32_e32 v86, v96
	v_cmp_eq_u32_e64 s7, 0, v98
	s_delay_alu instid0(VALU_DEP_2) | instskip(NEXT) | instid1(VALU_DEP_1)
	v_min_u32_e32 v97, 32, v86
	v_subrev_nc_u32_e32 v86, 29, v97
	s_delay_alu instid0(VALU_DEP_1) | instskip(SKIP_2) | instid1(VALU_DEP_2)
	v_lshlrev_b64_e32 v[86:87], v86, v[30:31]
	v_dual_lshlrev_b32 v87, 24, v30 :: v_dual_sub_nc_u32 v97, 30, v97
	v_bfe_i32 v30, v30, 0, 8
	v_and_b32_e32 v87, 0x80000000, v87
	s_delay_alu instid0(VALU_DEP_3) | instskip(NEXT) | instid1(VALU_DEP_1)
	v_dual_cndmask_b32 v97, v98, v97, s7 :: v_dual_bitop2_b32 v86, 3, v86 bitop3:0x40
	v_cndmask_b32_e64 v86, v96, v86, s7
	s_delay_alu instid0(VALU_DEP_2) | instskip(SKIP_1) | instid1(VALU_DEP_2)
	v_lshl_add_u32 v87, v97, 23, v87
	v_cmp_lt_i16_e64 s7, -1, v30
	v_lshl_or_b32 v86, v86, 21, v87
	s_delay_alu instid0(VALU_DEP_2) | instskip(SKIP_2) | instid1(VALU_DEP_4)
	v_cndmask_b32_e64 v30, 0xff800000, v45, s7
	v_and_b32_e32 v87, 0x7c0000, v10
	v_cmp_eq_u32_e64 s7, 0, v96
	v_add_nc_u32_e32 v86, 0x38000000, v86
	s_delay_alu instid0(VALU_DEP_2) | instskip(NEXT) | instid1(VALU_DEP_4)
	v_cndmask_b32_e64 v30, 0x7f800001, v30, s7
	v_cmp_eq_u32_e64 s7, 0x7c0000, v87
	s_delay_alu instid0(VALU_DEP_1)
	v_cndmask_b32_e64 v86, v86, v30, s7
.LBB2_1941:                             ;   in Loop: Header=BB2_1853 Depth=2
	s_or_b32 exec_lo, exec_lo, s10
	s_delay_alu instid0(VALU_DEP_1) | instskip(SKIP_1) | instid1(VALU_DEP_1)
	v_dual_mul_f32 v86, v38, v86 :: v_dual_mov_b32 v97, v39
                                        ; implicit-def: $vgpr113
	s_mov_b32 s10, exec_lo
	v_and_b32_e32 v96, 0x7f800000, v86
	v_and_b32_e32 v38, 0x7fffff, v86
	v_lshrrev_b32_e32 v30, 24, v86
	s_delay_alu instid0(VALU_DEP_3)
	v_cmpx_ne_u64_e32 0x7f800000, v[96:97]
	s_xor_b32 s25, exec_lo, s10
	s_cbranch_execz .LBB2_1955
; %bb.1942:                             ;   in Loop: Header=BB2_1853 Depth=2
	v_and_b32_e32 v96, 0x7fffffff, v86
	v_mov_b32_e32 v97, v39
	v_and_b32_e32 v30, 0x80, v30
                                        ; implicit-def: $vgpr113
	s_mov_b32 s10, exec_lo
	s_delay_alu instid0(VALU_DEP_2)
	v_cmpx_gt_u64_e32 0x47600001, v[96:97]
	s_xor_b32 s26, exec_lo, s10
	s_cbranch_execz .LBB2_1952
; %bb.1943:                             ;   in Loop: Header=BB2_1853 Depth=2
	v_mov_b32_e32 v113, 0
	s_mov_b32 s27, exec_lo
	v_cmpx_ne_u32_e32 0, v86
	s_cbranch_execz .LBB2_1951
; %bb.1944:                             ;   in Loop: Header=BB2_1853 Depth=2
	v_bfe_u32 v98, v86, 23, 8
	v_or_b32_e32 v96, 0x800000, v38
	s_delay_alu instid0(VALU_DEP_2) | instskip(SKIP_1) | instid1(VALU_DEP_1)
	v_sub_nc_u32_e32 v86, 0x71, v98
	v_cmp_gt_u32_e64 s7, 0x72, v98
	v_cndmask_b32_e64 v86, 0, v86, s7
	v_cmp_eq_u32_e64 s7, 0, v98
	s_delay_alu instid0(VALU_DEP_1) | instskip(NEXT) | instid1(VALU_DEP_1)
	v_cndmask_b32_e64 v99, v86, 0x70, s7
	v_dual_cndmask_b32 v38, v96, v38, s7 :: v_dual_add_nc_u32 v86, 21, v99
	v_add_nc_u32_e32 v97, 20, v99
	s_delay_alu instid0(VALU_DEP_2) | instskip(NEXT) | instid1(VALU_DEP_2)
	v_lshlrev_b64_e64 v[86:87], v86, -1
	v_lshlrev_b64_e64 v[96:97], v97, 1
	s_delay_alu instid0(VALU_DEP_2) | instskip(NEXT) | instid1(VALU_DEP_3)
	v_bfi_b32 v115, v87, 0, 0
	v_bfi_b32 v114, v86, 0, v38
	v_lshrrev_b64 v[86:87], v99, v[38:39]
	s_delay_alu instid0(VALU_DEP_2) | instskip(NEXT) | instid1(VALU_DEP_2)
	v_cmp_eq_u64_e64 s10, v[114:115], v[96:97]
	v_mov_b64_e32 v[96:97], v[86:87]
	s_and_saveexec_b32 s28, s10
; %bb.1945:                             ;   in Loop: Header=BB2_1853 Depth=2
	v_bfe_u32 v38, v86, 21, 1
	s_delay_alu instid0(VALU_DEP_1) | instskip(NEXT) | instid1(VALU_DEP_1)
	v_add_nc_u64_e32 v[96:97], v[86:87], v[38:39]
	v_add_nc_u64_e32 v[96:97], -1, v[96:97]
; %bb.1946:                             ;   in Loop: Header=BB2_1853 Depth=2
	s_or_b32 exec_lo, exec_lo, s28
	v_add_nc_u32_e32 v38, 0xffffff81, v98
	v_lshrrev_b32_e32 v87, 23, v86
	s_mov_b32 s10, exec_lo
	s_delay_alu instid0(VALU_DEP_2) | instskip(NEXT) | instid1(VALU_DEP_1)
	v_cndmask_b32_e64 v38, v38, 0xffffff82, s7
	v_add3_u32 v97, v99, v38, v87
	v_and_b32_e32 v38, 0x1fffff, v96
                                        ; implicit-def: $vgpr96
	s_delay_alu instid0(VALU_DEP_1) | instskip(NEXT) | instid1(VALU_DEP_1)
	v_dual_add_nc_u32 v98, 14, v97 :: v_dual_add_nc_u32 v38, v38, v86
                                        ; implicit-def: $vgpr86_vgpr87
	v_cmpx_ne_u32_e32 0, v98
	s_xor_b32 s10, exec_lo, s10
; %bb.1947:                             ;   in Loop: Header=BB2_1853 Depth=2
	s_delay_alu instid0(VALU_DEP_2) | instskip(SKIP_1) | instid1(VALU_DEP_1)
	v_cmp_lt_u64_e64 s7, 0xffffff, v[38:39]
	v_add_nc_u32_e32 v86, 15, v97
	v_cndmask_b32_e64 v96, v98, v86, s7
	v_cndmask_b32_e64 v86, 0, 1, s7
	s_delay_alu instid0(VALU_DEP_1)
	v_lshrrev_b64 v[86:87], v86, v[38:39]
; %bb.1948:                             ;   in Loop: Header=BB2_1853 Depth=2
	s_and_not1_saveexec_b32 s7, s10
; %bb.1949:                             ;   in Loop: Header=BB2_1853 Depth=2
	v_mov_b64_e32 v[86:87], v[38:39]
	v_bfe_u32 v96, v38, 23, 1
; %bb.1950:                             ;   in Loop: Header=BB2_1853 Depth=2
	s_or_b32 exec_lo, exec_lo, s7
	s_delay_alu instid0(VALU_DEP_2) | instskip(NEXT) | instid1(VALU_DEP_2)
	v_lshrrev_b64 v[86:87], 21, v[86:87]
	v_cmp_gt_i32_e64 s7, 32, v96
	v_min_i32_e32 v38, 31, v96
	v_cmp_eq_u32_e64 s10, 0, v96
	s_delay_alu instid0(VALU_DEP_2) | instskip(SKIP_1) | instid1(VALU_DEP_2)
	v_dual_cndmask_b32 v87, 0, v87, s7 :: v_dual_lshlrev_b32 v38, 2, v38
	v_cndmask_b32_e64 v86, 3, v86, s7
	v_and_b32_e32 v38, 0xfc, v38
	s_delay_alu instid0(VALU_DEP_2) | instskip(NEXT) | instid1(VALU_DEP_2)
	v_cmp_eq_u64_e64 s7, 0, v[86:87]
	v_and_or_b32 v38, v86, 3, v38
	s_and_b32 s7, s10, s7
	s_delay_alu instid0(VALU_DEP_1) | instid1(SALU_CYCLE_1)
	v_cndmask_b32_e64 v38, v38, 0, s7
	s_delay_alu instid0(VALU_DEP_1)
	v_or_b32_e32 v113, v38, v30
.LBB2_1951:                             ;   in Loop: Header=BB2_1853 Depth=2
	s_or_b32 exec_lo, exec_lo, s27
                                        ; implicit-def: $vgpr30
.LBB2_1952:                             ;   in Loop: Header=BB2_1853 Depth=2
	s_and_not1_saveexec_b32 s7, s26
; %bb.1953:                             ;   in Loop: Header=BB2_1853 Depth=2
	v_or_b32_e32 v113, 0x7b, v30
; %bb.1954:                             ;   in Loop: Header=BB2_1853 Depth=2
	s_or_b32 exec_lo, exec_lo, s7
                                        ; implicit-def: $vgpr86
                                        ; implicit-def: $vgpr30
.LBB2_1955:                             ;   in Loop: Header=BB2_1853 Depth=2
	s_and_not1_saveexec_b32 s10, s25
	s_cbranch_execz .LBB2_1961
; %bb.1956:                             ;   in Loop: Header=BB2_1853 Depth=2
	v_cmp_ne_u64_e64 s7, 0, v[38:39]
                                        ; implicit-def: $vgpr113
	s_and_saveexec_b32 s25, s7
	s_delay_alu instid0(SALU_CYCLE_1)
	s_xor_b32 s7, exec_lo, s25
; %bb.1957:                             ;   in Loop: Header=BB2_1853 Depth=2
	v_or_b32_e32 v113, 0x7f, v30
                                        ; implicit-def: $vgpr86
; %bb.1958:                             ;   in Loop: Header=BB2_1853 Depth=2
	s_and_not1_saveexec_b32 s25, s7
; %bb.1959:                             ;   in Loop: Header=BB2_1853 Depth=2
	v_cmp_lt_i32_e64 s7, -1, v86
	s_delay_alu instid0(VALU_DEP_1)
	v_cndmask_b32_e64 v113, 0xfc, v46, s7
; %bb.1960:                             ;   in Loop: Header=BB2_1853 Depth=2
	s_or_b32 exec_lo, exec_lo, s25
.LBB2_1961:                             ;   in Loop: Header=BB2_1853 Depth=2
	s_delay_alu instid0(SALU_CYCLE_1)
	s_or_b32 exec_lo, exec_lo, s10
	v_mov_b32_e32 v38, 0
	s_mov_b32 s10, exec_lo
	v_cmpx_lt_u32_e32 0xffffff, v14
	s_cbranch_execz .LBB2_1971
; %bb.1962:                             ;   in Loop: Header=BB2_1853 Depth=2
	v_lshrrev_b32_e32 v30, 24, v14
	v_bfrev_b32_e32 v38, 1
	s_mov_b32 s25, exec_lo
	s_delay_alu instid0(VALU_DEP_2)
	v_cmpx_ne_u32_e32 0x80, v30
	s_cbranch_execz .LBB2_1970
; %bb.1963:                             ;   in Loop: Header=BB2_1853 Depth=2
	v_and_b32_e32 v38, 0x7c000000, v14
	v_bfe_u32 v86, v14, 24, 2
	s_delay_alu instid0(VALU_DEP_2) | instskip(SKIP_1) | instid1(SALU_CYCLE_1)
	v_cmp_ne_u32_e64 s7, 0x7c000000, v38
                                        ; implicit-def: $vgpr38
	s_and_saveexec_b32 s26, s7
	s_xor_b32 s26, exec_lo, s26
	s_cbranch_execz .LBB2_1967
; %bb.1964:                             ;   in Loop: Header=BB2_1853 Depth=2
	v_bfe_u32 v38, v14, 26, 5
	s_mov_b32 s27, exec_lo
	s_delay_alu instid0(VALU_DEP_1)
	v_cmpx_eq_u32_e32 0, v38
; %bb.1965:                             ;   in Loop: Header=BB2_1853 Depth=2
	v_clz_i32_u32_e32 v38, v86
	s_delay_alu instid0(VALU_DEP_1) | instskip(NEXT) | instid1(VALU_DEP_1)
	v_min_u32_e32 v38, 32, v38
	v_subrev_nc_u32_e32 v86, 29, v38
	v_sub_nc_u32_e32 v38, 30, v38
	s_delay_alu instid0(VALU_DEP_2) | instskip(NEXT) | instid1(VALU_DEP_1)
	v_lshlrev_b64_e32 v[86:87], v86, v[30:31]
	v_and_b32_e32 v86, 3, v86
; %bb.1966:                             ;   in Loop: Header=BB2_1853 Depth=2
	s_or_b32 exec_lo, exec_lo, s27
	v_and_b32_e32 v30, 0x80000000, v14
	s_delay_alu instid0(VALU_DEP_1) | instskip(NEXT) | instid1(VALU_DEP_1)
	v_lshl_add_u32 v30, v38, 23, v30
	v_lshl_or_b32 v30, v86, 21, v30
                                        ; implicit-def: $vgpr86
	s_delay_alu instid0(VALU_DEP_1)
	v_add_nc_u32_e32 v38, 0x38000000, v30
.LBB2_1967:                             ;   in Loop: Header=BB2_1853 Depth=2
	s_and_not1_saveexec_b32 s26, s26
; %bb.1968:                             ;   in Loop: Header=BB2_1853 Depth=2
	v_cmp_lt_i32_e64 s7, -1, v14
	s_delay_alu instid0(VALU_DEP_1) | instskip(SKIP_1) | instid1(VALU_DEP_1)
	v_cndmask_b32_e64 v30, 0xff800000, v45, s7
	v_cmp_eq_u32_e64 s7, 0, v86
	v_cndmask_b32_e64 v38, 0x7f800001, v30, s7
; %bb.1969:                             ;   in Loop: Header=BB2_1853 Depth=2
	s_or_b32 exec_lo, exec_lo, s26
.LBB2_1970:                             ;   in Loop: Header=BB2_1853 Depth=2
	s_delay_alu instid0(SALU_CYCLE_1)
	s_or_b32 exec_lo, exec_lo, s25
.LBB2_1971:                             ;   in Loop: Header=BB2_1853 Depth=2
	s_delay_alu instid0(SALU_CYCLE_1) | instskip(SKIP_3) | instid1(VALU_DEP_2)
	s_or_b32 exec_lo, exec_lo, s10
	v_bfe_u32 v96, v10, 24, 2
	v_bfe_u32 v98, v10, 26, 5
                                        ; implicit-def: $vgpr114
	s_mov_b32 s10, exec_lo
	v_clz_i32_u32_e32 v30, v96
	s_delay_alu instid0(VALU_DEP_2) | instskip(NEXT) | instid1(VALU_DEP_2)
	v_cmp_eq_u32_e64 s7, 0, v98
	v_min_u32_e32 v97, 32, v30
	v_lshrrev_b32_e32 v30, 24, v10
	s_delay_alu instid0(VALU_DEP_2) | instskip(NEXT) | instid1(VALU_DEP_1)
	v_subrev_nc_u32_e32 v86, 29, v97
	v_lshlrev_b64_e32 v[86:87], v86, v[30:31]
	v_sub_nc_u32_e32 v87, 30, v97
	v_and_b32_e32 v97, 0x80000000, v10
	s_delay_alu instid0(VALU_DEP_2) | instskip(NEXT) | instid1(VALU_DEP_1)
	v_dual_cndmask_b32 v87, v98, v87, s7 :: v_dual_bitop2_b32 v86, 3, v86 bitop3:0x40
	v_lshl_add_u32 v87, v87, 23, v97
	s_delay_alu instid0(VALU_DEP_2) | instskip(SKIP_1) | instid1(VALU_DEP_1)
	v_cndmask_b32_e64 v86, v96, v86, s7
	v_cmp_lt_i32_e64 s7, -1, v10
	v_cndmask_b32_e64 v97, 0xff800000, v45, s7
	v_cmp_eq_u32_e64 s7, 0, v96
	s_delay_alu instid0(VALU_DEP_1) | instskip(SKIP_3) | instid1(VALU_DEP_2)
	v_cndmask_b32_e64 v96, 0x7f800001, v97, s7
	v_mov_b32_e32 v97, v39
	v_lshl_or_b32 v86, v86, 21, v87
	v_and_b32_e32 v87, 0x7c000000, v10
	v_add_nc_u32_e32 v86, 0x38000000, v86
	s_delay_alu instid0(VALU_DEP_2) | instskip(NEXT) | instid1(VALU_DEP_1)
	v_cmp_eq_u32_e64 s7, 0x7c000000, v87
	v_cndmask_b32_e64 v86, v86, v96, s7
	v_cmp_ne_u32_e64 s7, 0x80, v30
	s_delay_alu instid0(VALU_DEP_1) | instskip(SKIP_1) | instid1(VALU_DEP_1)
	v_cndmask_b32_e64 v30, 0x80000000, v86, s7
	v_cmp_lt_u32_e64 s7, 0xffffff, v10
	v_cndmask_b32_e64 v30, 0, v30, s7
	s_delay_alu instid0(VALU_DEP_1) | instskip(NEXT) | instid1(VALU_DEP_1)
	v_mul_f32_e32 v86, v30, v38
	v_and_b32_e32 v96, 0x7f800000, v86
	v_and_b32_e32 v38, 0x7fffff, v86
	v_lshrrev_b32_e32 v30, 24, v86
	s_delay_alu instid0(VALU_DEP_3)
	v_cmpx_ne_u64_e32 0x7f800000, v[96:97]
	s_xor_b32 s25, exec_lo, s10
	s_cbranch_execz .LBB2_1985
; %bb.1972:                             ;   in Loop: Header=BB2_1853 Depth=2
	v_and_b32_e32 v96, 0x7fffffff, v86
	v_mov_b32_e32 v97, v39
	v_and_b32_e32 v30, 0x80, v30
                                        ; implicit-def: $vgpr114
	s_mov_b32 s10, exec_lo
	s_delay_alu instid0(VALU_DEP_2)
	v_cmpx_gt_u64_e32 0x47600001, v[96:97]
	s_xor_b32 s26, exec_lo, s10
	s_cbranch_execz .LBB2_1982
; %bb.1973:                             ;   in Loop: Header=BB2_1853 Depth=2
	v_mov_b32_e32 v114, 0
	s_mov_b32 s27, exec_lo
	v_cmpx_ne_u32_e32 0, v86
	s_cbranch_execz .LBB2_1981
; %bb.1974:                             ;   in Loop: Header=BB2_1853 Depth=2
	v_bfe_u32 v98, v86, 23, 8
	v_or_b32_e32 v96, 0x800000, v38
	s_delay_alu instid0(VALU_DEP_2) | instskip(SKIP_1) | instid1(VALU_DEP_1)
	v_sub_nc_u32_e32 v86, 0x71, v98
	v_cmp_gt_u32_e64 s7, 0x72, v98
	v_cndmask_b32_e64 v86, 0, v86, s7
	v_cmp_eq_u32_e64 s7, 0, v98
	s_delay_alu instid0(VALU_DEP_1) | instskip(NEXT) | instid1(VALU_DEP_1)
	v_cndmask_b32_e64 v99, v86, 0x70, s7
	v_dual_cndmask_b32 v38, v96, v38, s7 :: v_dual_add_nc_u32 v86, 21, v99
	v_add_nc_u32_e32 v97, 20, v99
	s_delay_alu instid0(VALU_DEP_2) | instskip(NEXT) | instid1(VALU_DEP_2)
	v_lshlrev_b64_e64 v[86:87], v86, -1
	v_lshlrev_b64_e64 v[96:97], v97, 1
	s_delay_alu instid0(VALU_DEP_2) | instskip(NEXT) | instid1(VALU_DEP_3)
	v_bfi_b32 v115, v87, 0, 0
	v_bfi_b32 v114, v86, 0, v38
	v_lshrrev_b64 v[86:87], v99, v[38:39]
	s_delay_alu instid0(VALU_DEP_2) | instskip(NEXT) | instid1(VALU_DEP_2)
	v_cmp_eq_u64_e64 s10, v[114:115], v[96:97]
	v_mov_b64_e32 v[96:97], v[86:87]
	s_and_saveexec_b32 s28, s10
; %bb.1975:                             ;   in Loop: Header=BB2_1853 Depth=2
	v_bfe_u32 v38, v86, 21, 1
	s_delay_alu instid0(VALU_DEP_1) | instskip(NEXT) | instid1(VALU_DEP_1)
	v_add_nc_u64_e32 v[96:97], v[86:87], v[38:39]
	v_add_nc_u64_e32 v[96:97], -1, v[96:97]
; %bb.1976:                             ;   in Loop: Header=BB2_1853 Depth=2
	s_or_b32 exec_lo, exec_lo, s28
	v_add_nc_u32_e32 v38, 0xffffff81, v98
	v_lshrrev_b32_e32 v87, 23, v86
	s_mov_b32 s10, exec_lo
	s_delay_alu instid0(VALU_DEP_2) | instskip(NEXT) | instid1(VALU_DEP_1)
	v_cndmask_b32_e64 v38, v38, 0xffffff82, s7
	v_add3_u32 v97, v99, v38, v87
	v_and_b32_e32 v38, 0x1fffff, v96
                                        ; implicit-def: $vgpr96
	s_delay_alu instid0(VALU_DEP_1) | instskip(NEXT) | instid1(VALU_DEP_1)
	v_dual_add_nc_u32 v98, 14, v97 :: v_dual_add_nc_u32 v38, v38, v86
                                        ; implicit-def: $vgpr86_vgpr87
	v_cmpx_ne_u32_e32 0, v98
	s_xor_b32 s10, exec_lo, s10
; %bb.1977:                             ;   in Loop: Header=BB2_1853 Depth=2
	s_delay_alu instid0(VALU_DEP_2) | instskip(SKIP_1) | instid1(VALU_DEP_1)
	v_cmp_lt_u64_e64 s7, 0xffffff, v[38:39]
	v_add_nc_u32_e32 v86, 15, v97
	v_cndmask_b32_e64 v96, v98, v86, s7
	v_cndmask_b32_e64 v86, 0, 1, s7
	s_delay_alu instid0(VALU_DEP_1)
	v_lshrrev_b64 v[86:87], v86, v[38:39]
; %bb.1978:                             ;   in Loop: Header=BB2_1853 Depth=2
	s_and_not1_saveexec_b32 s7, s10
; %bb.1979:                             ;   in Loop: Header=BB2_1853 Depth=2
	v_mov_b64_e32 v[86:87], v[38:39]
	v_bfe_u32 v96, v38, 23, 1
; %bb.1980:                             ;   in Loop: Header=BB2_1853 Depth=2
	s_or_b32 exec_lo, exec_lo, s7
	s_delay_alu instid0(VALU_DEP_2) | instskip(NEXT) | instid1(VALU_DEP_2)
	v_lshrrev_b64 v[86:87], 21, v[86:87]
	v_cmp_gt_i32_e64 s7, 32, v96
	v_min_i32_e32 v38, 31, v96
	v_cmp_eq_u32_e64 s10, 0, v96
	s_delay_alu instid0(VALU_DEP_2) | instskip(SKIP_1) | instid1(VALU_DEP_2)
	v_dual_cndmask_b32 v87, 0, v87, s7 :: v_dual_lshlrev_b32 v38, 2, v38
	v_cndmask_b32_e64 v86, 3, v86, s7
	v_and_b32_e32 v38, 0xfc, v38
	s_delay_alu instid0(VALU_DEP_2) | instskip(NEXT) | instid1(VALU_DEP_2)
	v_cmp_eq_u64_e64 s7, 0, v[86:87]
	v_and_or_b32 v38, v86, 3, v38
	s_and_b32 s7, s10, s7
	s_delay_alu instid0(VALU_DEP_1) | instid1(SALU_CYCLE_1)
	v_cndmask_b32_e64 v38, v38, 0, s7
	s_delay_alu instid0(VALU_DEP_1)
	v_or_b32_e32 v114, v38, v30
.LBB2_1981:                             ;   in Loop: Header=BB2_1853 Depth=2
	s_or_b32 exec_lo, exec_lo, s27
                                        ; implicit-def: $vgpr30
.LBB2_1982:                             ;   in Loop: Header=BB2_1853 Depth=2
	s_and_not1_saveexec_b32 s7, s26
; %bb.1983:                             ;   in Loop: Header=BB2_1853 Depth=2
	v_or_b32_e32 v114, 0x7b, v30
; %bb.1984:                             ;   in Loop: Header=BB2_1853 Depth=2
	s_or_b32 exec_lo, exec_lo, s7
                                        ; implicit-def: $vgpr86
                                        ; implicit-def: $vgpr30
.LBB2_1985:                             ;   in Loop: Header=BB2_1853 Depth=2
	s_and_not1_saveexec_b32 s10, s25
	s_cbranch_execz .LBB2_1991
; %bb.1986:                             ;   in Loop: Header=BB2_1853 Depth=2
	v_cmp_ne_u64_e64 s7, 0, v[38:39]
                                        ; implicit-def: $vgpr114
	s_and_saveexec_b32 s25, s7
	s_delay_alu instid0(SALU_CYCLE_1)
	s_xor_b32 s7, exec_lo, s25
; %bb.1987:                             ;   in Loop: Header=BB2_1853 Depth=2
	v_or_b32_e32 v114, 0x7f, v30
                                        ; implicit-def: $vgpr86
; %bb.1988:                             ;   in Loop: Header=BB2_1853 Depth=2
	s_and_not1_saveexec_b32 s25, s7
; %bb.1989:                             ;   in Loop: Header=BB2_1853 Depth=2
	v_cmp_lt_i32_e64 s7, -1, v86
	s_delay_alu instid0(VALU_DEP_1)
	v_cndmask_b32_e64 v114, 0xfc, v46, s7
; %bb.1990:                             ;   in Loop: Header=BB2_1853 Depth=2
	s_or_b32 exec_lo, exec_lo, s25
.LBB2_1991:                             ;   in Loop: Header=BB2_1853 Depth=2
	s_delay_alu instid0(SALU_CYCLE_1) | instskip(SKIP_3) | instid1(VALU_DEP_2)
	s_or_b32 exec_lo, exec_lo, s10
	v_and_b32_e32 v86, 0xff, v15
	v_dual_mov_b32 v38, v15 :: v_dual_mov_b32 v30, 0
	s_mov_b32 s10, exec_lo
	v_cmpx_ne_u16_e32 0, v86
	s_cbranch_execz .LBB2_2001
; %bb.1992:                             ;   in Loop: Header=BB2_1853 Depth=2
	v_bfrev_b32_e32 v30, 1
	s_mov_b32 s25, exec_lo
	v_cmpx_ne_u16_e32 0x80, v86
	s_cbranch_execz .LBB2_2000
; %bb.1993:                             ;   in Loop: Header=BB2_1853 Depth=2
	v_and_b32_e32 v30, 0x7c, v15
	v_and_b32_e32 v86, 3, v15
	s_delay_alu instid0(VALU_DEP_2) | instskip(SKIP_1) | instid1(SALU_CYCLE_1)
	v_cmp_ne_u32_e64 s7, 0x7c, v30
                                        ; implicit-def: $vgpr30
	s_and_saveexec_b32 s26, s7
	s_xor_b32 s26, exec_lo, s26
	s_cbranch_execz .LBB2_1997
; %bb.1994:                             ;   in Loop: Header=BB2_1853 Depth=2
	v_bfe_u32 v30, v15, 2, 5
	s_mov_b32 s27, exec_lo
	s_delay_alu instid0(VALU_DEP_1)
	v_cmpx_eq_u32_e32 0, v30
; %bb.1995:                             ;   in Loop: Header=BB2_1853 Depth=2
	v_clz_i32_u32_e32 v30, v86
	s_delay_alu instid0(VALU_DEP_1) | instskip(NEXT) | instid1(VALU_DEP_1)
	v_min_u32_e32 v30, 32, v30
	v_subrev_nc_u32_e32 v86, 29, v30
	v_sub_nc_u32_e32 v30, 30, v30
	s_delay_alu instid0(VALU_DEP_2) | instskip(NEXT) | instid1(VALU_DEP_1)
	v_lshlrev_b64_e32 v[86:87], v86, v[38:39]
	v_and_b32_e32 v86, 3, v86
; %bb.1996:                             ;   in Loop: Header=BB2_1853 Depth=2
	s_or_b32 exec_lo, exec_lo, s27
	v_lshlrev_b32_e32 v87, 24, v15
	s_delay_alu instid0(VALU_DEP_1) | instskip(NEXT) | instid1(VALU_DEP_1)
	v_and_b32_e32 v87, 0x80000000, v87
	v_lshl_add_u32 v30, v30, 23, v87
	s_delay_alu instid0(VALU_DEP_1) | instskip(NEXT) | instid1(VALU_DEP_1)
	v_lshl_or_b32 v30, v86, 21, v30
                                        ; implicit-def: $vgpr86
	v_add_nc_u32_e32 v30, 0x38000000, v30
.LBB2_1997:                             ;   in Loop: Header=BB2_1853 Depth=2
	s_and_not1_saveexec_b32 s26, s26
; %bb.1998:                             ;   in Loop: Header=BB2_1853 Depth=2
	v_bfe_i32 v30, v15, 0, 8
	s_delay_alu instid0(VALU_DEP_1) | instskip(NEXT) | instid1(VALU_DEP_1)
	v_cmp_lt_i16_e64 s7, -1, v30
	v_cndmask_b32_e64 v30, 0xff800000, v45, s7
	v_cmp_eq_u32_e64 s7, 0, v86
	s_delay_alu instid0(VALU_DEP_1)
	v_cndmask_b32_e64 v30, 0x7f800001, v30, s7
; %bb.1999:                             ;   in Loop: Header=BB2_1853 Depth=2
	s_or_b32 exec_lo, exec_lo, s26
.LBB2_2000:                             ;   in Loop: Header=BB2_1853 Depth=2
	s_delay_alu instid0(SALU_CYCLE_1)
	s_or_b32 exec_lo, exec_lo, s25
.LBB2_2001:                             ;   in Loop: Header=BB2_1853 Depth=2
	s_delay_alu instid0(SALU_CYCLE_1) | instskip(SKIP_4) | instid1(VALU_DEP_2)
	s_or_b32 exec_lo, exec_lo, s10
	v_and_b32_e32 v87, 0xff, v11
	v_mov_b32_e32 v86, v11
	s_mov_b32 s25, 0
	s_mov_b32 s10, exec_lo
	v_cmpx_lt_i16_e32 0x7f, v87
	s_xor_b32 s10, exec_lo, s10
	s_cbranch_execz .LBB2_2410
; %bb.2002:                             ;   in Loop: Header=BB2_1853 Depth=2
	s_mov_b32 s25, -1
	s_mov_b32 s26, exec_lo
	v_cmpx_eq_u16_e32 0x80, v87
; %bb.2003:                             ;   in Loop: Header=BB2_1853 Depth=2
	s_xor_b32 s25, exec_lo, -1
; %bb.2004:                             ;   in Loop: Header=BB2_1853 Depth=2
	s_or_b32 exec_lo, exec_lo, s26
	s_delay_alu instid0(SALU_CYCLE_1)
	s_and_b32 s25, s25, exec_lo
                                        ; implicit-def: $vgpr87
	s_or_saveexec_b32 s10, s10
	v_bfrev_b32_e32 v96, 1
	s_xor_b32 exec_lo, exec_lo, s10
	s_cbranch_execnz .LBB2_2411
.LBB2_2005:                             ;   in Loop: Header=BB2_1853 Depth=2
	s_or_b32 exec_lo, exec_lo, s10
	v_mov_b32_e32 v87, v39
	s_and_saveexec_b32 s10, s25
	s_cbranch_execz .LBB2_2007
.LBB2_2006:                             ;   in Loop: Header=BB2_1853 Depth=2
	v_and_b32_e32 v98, 3, v11
	s_delay_alu instid0(VALU_DEP_1) | instskip(NEXT) | instid1(VALU_DEP_1)
	v_clz_i32_u32_e32 v96, v98
	v_min_u32_e32 v99, 32, v96
	s_delay_alu instid0(VALU_DEP_1) | instskip(NEXT) | instid1(VALU_DEP_1)
	v_subrev_nc_u32_e32 v96, 29, v99
	v_lshlrev_b64_e32 v[96:97], v96, v[86:87]
	v_bfe_u32 v97, v11, 2, 5
	v_lshlrev_b32_e32 v87, 24, v11
	v_sub_nc_u32_e32 v99, 30, v99
	s_delay_alu instid0(VALU_DEP_3) | instskip(NEXT) | instid1(VALU_DEP_3)
	v_cmp_eq_u32_e64 s7, 0, v97
	v_and_b32_e32 v87, 0x80000000, v87
	s_delay_alu instid0(VALU_DEP_2) | instskip(SKIP_1) | instid1(VALU_DEP_2)
	v_dual_cndmask_b32 v97, v97, v99, s7 :: v_dual_bitop2_b32 v96, 3, v96 bitop3:0x40
	v_bfe_i32 v99, v11, 0, 8
	v_cndmask_b32_e64 v96, v98, v96, s7
	s_delay_alu instid0(VALU_DEP_3) | instskip(NEXT) | instid1(VALU_DEP_3)
	v_lshl_add_u32 v87, v97, 23, v87
	v_cmp_lt_i16_e64 s7, -1, v99
	s_delay_alu instid0(VALU_DEP_2) | instskip(NEXT) | instid1(VALU_DEP_2)
	v_lshl_or_b32 v87, v96, 21, v87
	v_cndmask_b32_e64 v97, 0xff800000, v45, s7
	v_and_b32_e32 v96, 0x7c, v11
	v_cmp_eq_u32_e64 s7, 0, v98
	s_delay_alu instid0(VALU_DEP_4) | instskip(NEXT) | instid1(VALU_DEP_2)
	v_add_nc_u32_e32 v87, 0x38000000, v87
	v_cndmask_b32_e64 v97, 0x7f800001, v97, s7
	s_delay_alu instid0(VALU_DEP_4) | instskip(NEXT) | instid1(VALU_DEP_1)
	v_cmp_eq_u32_e64 s7, 0x7c, v96
	v_cndmask_b32_e64 v96, v87, v97, s7
.LBB2_2007:                             ;   in Loop: Header=BB2_1853 Depth=2
	s_or_b32 exec_lo, exec_lo, s10
	s_delay_alu instid0(VALU_DEP_1) | instskip(NEXT) | instid1(VALU_DEP_1)
	v_dual_mul_f32 v87, v30, v96 :: v_dual_mov_b32 v99, v39
	v_dual_mov_b32 v97, v39 :: v_dual_lshrrev_b32 v30, 24, v87
	v_and_b32_e32 v98, 0x7f800000, v87
	v_and_b32_e32 v96, 0x7fffff, v87
	s_delay_alu instid0(VALU_DEP_2) | instskip(SKIP_1) | instid1(SALU_CYCLE_1)
	v_cmp_ne_u64_e64 s7, 0x7f800000, v[98:99]
                                        ; implicit-def: $vgpr98
	s_and_saveexec_b32 s10, s7
	s_xor_b32 s25, exec_lo, s10
	s_cbranch_execz .LBB2_2021
; %bb.2008:                             ;   in Loop: Header=BB2_1853 Depth=2
	v_and_b32_e32 v98, 0x7fffffff, v87
	v_mov_b32_e32 v99, v39
	v_and_b32_e32 v30, 0x80, v30
	s_delay_alu instid0(VALU_DEP_2) | instskip(SKIP_1) | instid1(SALU_CYCLE_1)
	v_cmp_gt_u64_e64 s7, 0x47600001, v[98:99]
                                        ; implicit-def: $vgpr98
	s_and_saveexec_b32 s10, s7
	s_xor_b32 s26, exec_lo, s10
	s_cbranch_execz .LBB2_2018
; %bb.2009:                             ;   in Loop: Header=BB2_1853 Depth=2
	v_mov_b32_e32 v98, 0
	s_mov_b32 s27, exec_lo
	v_cmpx_ne_u32_e32 0, v87
	s_cbranch_execz .LBB2_2017
; %bb.2010:                             ;   in Loop: Header=BB2_1853 Depth=2
	v_bfe_u32 v87, v87, 23, 8
	v_or_b32_e32 v116, 0x800000, v96
	s_delay_alu instid0(VALU_DEP_2) | instskip(SKIP_1) | instid1(VALU_DEP_1)
	v_sub_nc_u32_e32 v98, 0x71, v87
	v_cmp_gt_u32_e64 s7, 0x72, v87
	v_cndmask_b32_e64 v98, 0, v98, s7
	v_cmp_eq_u32_e64 s7, 0, v87
	s_delay_alu instid0(VALU_DEP_1) | instskip(NEXT) | instid1(VALU_DEP_1)
	v_cndmask_b32_e64 v115, v98, 0x70, s7
	v_dual_cndmask_b32 v96, v116, v96, s7 :: v_dual_add_nc_u32 v98, 21, v115
	v_add_nc_u32_e32 v117, 20, v115
	s_delay_alu instid0(VALU_DEP_2) | instskip(NEXT) | instid1(VALU_DEP_2)
	v_lshlrev_b64_e64 v[98:99], v98, -1
	v_lshlrev_b64_e64 v[116:117], v117, 1
	s_delay_alu instid0(VALU_DEP_2) | instskip(SKIP_1) | instid1(VALU_DEP_4)
	v_bfi_b32 v98, v98, 0, v96
	v_lshrrev_b64 v[96:97], v115, v[96:97]
	v_bfi_b32 v99, v99, 0, 0
	s_delay_alu instid0(VALU_DEP_1) | instskip(NEXT) | instid1(VALU_DEP_3)
	v_cmp_eq_u64_e64 s10, v[98:99], v[116:117]
	v_mov_b64_e32 v[98:99], v[96:97]
	s_and_saveexec_b32 s28, s10
; %bb.2011:                             ;   in Loop: Header=BB2_1853 Depth=2
	v_bfe_u32 v98, v96, 21, 1
	v_mov_b32_e32 v99, v39
	s_delay_alu instid0(VALU_DEP_1) | instskip(NEXT) | instid1(VALU_DEP_1)
	v_add_nc_u64_e32 v[98:99], v[96:97], v[98:99]
	v_add_nc_u64_e32 v[98:99], -1, v[98:99]
; %bb.2012:                             ;   in Loop: Header=BB2_1853 Depth=2
	s_or_b32 exec_lo, exec_lo, s28
	v_add_nc_u32_e32 v87, 0xffffff81, v87
	v_lshrrev_b32_e32 v97, 23, v96
	s_mov_b32 s10, exec_lo
	s_delay_alu instid0(VALU_DEP_2) | instskip(NEXT) | instid1(VALU_DEP_1)
	v_cndmask_b32_e64 v87, v87, 0xffffff82, s7
	v_add3_u32 v99, v115, v87, v97
	v_and_b32_e32 v87, 0x1fffff, v98
	s_delay_alu instid0(VALU_DEP_2) | instskip(NEXT) | instid1(VALU_DEP_2)
	v_dual_mov_b32 v97, v39 :: v_dual_add_nc_u32 v98, 14, v99
	v_add_nc_u32_e32 v96, v87, v96
                                        ; implicit-def: $vgpr87
	s_delay_alu instid0(VALU_DEP_2)
	v_cmpx_ne_u32_e32 0, v98
	s_xor_b32 s10, exec_lo, s10
; %bb.2013:                             ;   in Loop: Header=BB2_1853 Depth=2
	s_delay_alu instid0(VALU_DEP_2) | instskip(SKIP_1) | instid1(VALU_DEP_1)
	v_cmp_lt_u64_e64 s7, 0xffffff, v[96:97]
	v_add_nc_u32_e32 v87, 15, v99
	v_cndmask_b32_e64 v87, v98, v87, s7
	v_cndmask_b32_e64 v98, 0, 1, s7
	s_delay_alu instid0(VALU_DEP_1)
	v_lshrrev_b64 v[96:97], v98, v[96:97]
; %bb.2014:                             ;   in Loop: Header=BB2_1853 Depth=2
	s_and_not1_saveexec_b32 s7, s10
; %bb.2015:                             ;   in Loop: Header=BB2_1853 Depth=2
	s_delay_alu instid0(VALU_DEP_1)
	v_bfe_u32 v87, v96, 23, 1
; %bb.2016:                             ;   in Loop: Header=BB2_1853 Depth=2
	s_or_b32 exec_lo, exec_lo, s7
	s_delay_alu instid0(VALU_DEP_2) | instskip(NEXT) | instid1(VALU_DEP_2)
	v_lshrrev_b64 v[96:97], 21, v[96:97]
	v_cmp_gt_i32_e64 s7, 32, v87
	v_min_i32_e32 v98, 31, v87
	v_cmp_eq_u32_e64 s10, 0, v87
	s_delay_alu instid0(VALU_DEP_2) | instskip(SKIP_1) | instid1(VALU_DEP_2)
	v_dual_cndmask_b32 v97, 0, v97, s7 :: v_dual_lshlrev_b32 v98, 2, v98
	v_cndmask_b32_e64 v96, 3, v96, s7
	v_and_b32_e32 v98, 0xfc, v98
	s_delay_alu instid0(VALU_DEP_2) | instskip(NEXT) | instid1(VALU_DEP_2)
	v_cmp_eq_u64_e64 s7, 0, v[96:97]
	v_and_or_b32 v87, v96, 3, v98
	s_and_b32 s7, s10, s7
	s_delay_alu instid0(VALU_DEP_1) | instid1(SALU_CYCLE_1)
	v_cndmask_b32_e64 v87, v87, 0, s7
	s_delay_alu instid0(VALU_DEP_1)
	v_or_b32_e32 v98, v87, v30
.LBB2_2017:                             ;   in Loop: Header=BB2_1853 Depth=2
	s_or_b32 exec_lo, exec_lo, s27
                                        ; implicit-def: $vgpr30
.LBB2_2018:                             ;   in Loop: Header=BB2_1853 Depth=2
	s_and_not1_saveexec_b32 s7, s26
; %bb.2019:                             ;   in Loop: Header=BB2_1853 Depth=2
	v_or_b32_e32 v98, 0x7b, v30
; %bb.2020:                             ;   in Loop: Header=BB2_1853 Depth=2
	s_or_b32 exec_lo, exec_lo, s7
                                        ; implicit-def: $vgpr87
                                        ; implicit-def: $vgpr96_vgpr97
                                        ; implicit-def: $vgpr30
.LBB2_2021:                             ;   in Loop: Header=BB2_1853 Depth=2
	s_and_not1_saveexec_b32 s10, s25
	s_cbranch_execz .LBB2_2027
; %bb.2022:                             ;   in Loop: Header=BB2_1853 Depth=2
	v_cmp_ne_u64_e64 s7, 0, v[96:97]
                                        ; implicit-def: $vgpr98
	s_and_saveexec_b32 s25, s7
	s_delay_alu instid0(SALU_CYCLE_1)
	s_xor_b32 s7, exec_lo, s25
; %bb.2023:                             ;   in Loop: Header=BB2_1853 Depth=2
	v_or_b32_e32 v98, 0x7f, v30
                                        ; implicit-def: $vgpr87
; %bb.2024:                             ;   in Loop: Header=BB2_1853 Depth=2
	s_and_not1_saveexec_b32 s25, s7
; %bb.2025:                             ;   in Loop: Header=BB2_1853 Depth=2
	v_cmp_lt_i32_e64 s7, -1, v87
	s_delay_alu instid0(VALU_DEP_1)
	v_cndmask_b32_e64 v98, 0xfc, v46, s7
; %bb.2026:                             ;   in Loop: Header=BB2_1853 Depth=2
	s_or_b32 exec_lo, exec_lo, s25
.LBB2_2027:                             ;   in Loop: Header=BB2_1853 Depth=2
	s_delay_alu instid0(SALU_CYCLE_1) | instskip(SKIP_3) | instid1(VALU_DEP_2)
	s_or_b32 exec_lo, exec_lo, s10
	v_lshrrev_b16 v96, 8, v38
	v_mov_b32_e32 v30, 0
	s_mov_b32 s10, exec_lo
	v_cmpx_ne_u16_e32 0, v96
	s_cbranch_execz .LBB2_2037
; %bb.2028:                             ;   in Loop: Header=BB2_1853 Depth=2
	v_bfrev_b32_e32 v30, 1
	s_mov_b32 s25, exec_lo
	v_cmpx_ne_u16_e32 0x80, v96
	s_cbranch_execz .LBB2_2036
; %bb.2029:                             ;   in Loop: Header=BB2_1853 Depth=2
	v_and_b32_e32 v97, 0xffff, v96
	s_delay_alu instid0(VALU_DEP_1) | instskip(SKIP_1) | instid1(VALU_DEP_2)
	v_and_b32_e32 v30, 0x7c, v97
	v_and_b32_e32 v87, 3, v97
	v_cmp_ne_u32_e64 s7, 0x7c, v30
                                        ; implicit-def: $vgpr30
	s_and_saveexec_b32 s26, s7
	s_delay_alu instid0(SALU_CYCLE_1)
	s_xor_b32 s26, exec_lo, s26
	s_cbranch_execz .LBB2_2033
; %bb.2030:                             ;   in Loop: Header=BB2_1853 Depth=2
	v_bfe_u32 v30, v97, 2, 5
	s_mov_b32 s27, exec_lo
	s_delay_alu instid0(VALU_DEP_1)
	v_cmpx_eq_u32_e32 0, v30
	s_cbranch_execz .LBB2_2032
; %bb.2031:                             ;   in Loop: Header=BB2_1853 Depth=2
	v_clz_i32_u32_e32 v30, v87
	s_delay_alu instid0(VALU_DEP_1) | instskip(SKIP_1) | instid1(VALU_DEP_2)
	v_min_u32_e32 v30, 32, v30
	v_mov_b32_e32 v97, v39
	v_subrev_nc_u32_e32 v87, 29, v30
	v_sub_nc_u32_e32 v30, 30, v30
	s_delay_alu instid0(VALU_DEP_2) | instskip(NEXT) | instid1(VALU_DEP_1)
	v_lshlrev_b64_e32 v[96:97], v87, v[96:97]
	v_and_b32_e32 v87, 3, v96
.LBB2_2032:                             ;   in Loop: Header=BB2_1853 Depth=2
	s_or_b32 exec_lo, exec_lo, s27
	v_lshlrev_b32_e32 v38, 16, v38
	s_delay_alu instid0(VALU_DEP_1) | instskip(NEXT) | instid1(VALU_DEP_1)
	v_and_b32_e32 v38, 0x80000000, v38
	v_lshl_add_u32 v30, v30, 23, v38
	s_delay_alu instid0(VALU_DEP_1) | instskip(NEXT) | instid1(VALU_DEP_1)
	v_lshl_or_b32 v30, v87, 21, v30
                                        ; implicit-def: $vgpr87
	v_add_nc_u32_e32 v30, 0x38000000, v30
.LBB2_2033:                             ;   in Loop: Header=BB2_1853 Depth=2
	s_and_not1_saveexec_b32 s26, s26
; %bb.2034:                             ;   in Loop: Header=BB2_1853 Depth=2
	v_cmp_lt_i16_e64 s7, -1, v38
	s_delay_alu instid0(VALU_DEP_1) | instskip(SKIP_1) | instid1(VALU_DEP_1)
	v_cndmask_b32_e64 v30, 0xff800000, v45, s7
	v_cmp_eq_u32_e64 s7, 0, v87
	v_cndmask_b32_e64 v30, 0x7f800001, v30, s7
; %bb.2035:                             ;   in Loop: Header=BB2_1853 Depth=2
	s_or_b32 exec_lo, exec_lo, s26
.LBB2_2036:                             ;   in Loop: Header=BB2_1853 Depth=2
	s_delay_alu instid0(SALU_CYCLE_1)
	s_or_b32 exec_lo, exec_lo, s25
.LBB2_2037:                             ;   in Loop: Header=BB2_1853 Depth=2
	s_delay_alu instid0(SALU_CYCLE_1) | instskip(SKIP_3) | instid1(VALU_DEP_1)
	s_or_b32 exec_lo, exec_lo, s10
	v_lshrrev_b16 v38, 8, v86
	s_mov_b32 s25, 0
	s_mov_b32 s10, exec_lo
	v_cmpx_lt_i16_e32 0x7f, v38
	s_xor_b32 s10, exec_lo, s10
	s_cbranch_execz .LBB2_2412
; %bb.2038:                             ;   in Loop: Header=BB2_1853 Depth=2
	s_mov_b32 s25, -1
	s_mov_b32 s26, exec_lo
	v_cmpx_eq_u16_e32 0x80, v38
; %bb.2039:                             ;   in Loop: Header=BB2_1853 Depth=2
	s_xor_b32 s25, exec_lo, -1
; %bb.2040:                             ;   in Loop: Header=BB2_1853 Depth=2
	s_or_b32 exec_lo, exec_lo, s26
	s_delay_alu instid0(SALU_CYCLE_1)
	s_and_b32 s25, s25, exec_lo
	s_or_saveexec_b32 s10, s10
	v_bfrev_b32_e32 v87, 1
	s_xor_b32 exec_lo, exec_lo, s10
	s_cbranch_execnz .LBB2_2413
.LBB2_2041:                             ;   in Loop: Header=BB2_1853 Depth=2
	s_or_b32 exec_lo, exec_lo, s10
	s_and_saveexec_b32 s10, s25
	s_cbranch_execz .LBB2_2043
.LBB2_2042:                             ;   in Loop: Header=BB2_1853 Depth=2
	v_and_b32_e32 v87, 0xffff, v38
	s_delay_alu instid0(VALU_DEP_1) | instskip(NEXT) | instid1(VALU_DEP_1)
	v_and_b32_e32 v99, 3, v87
	v_clz_i32_u32_e32 v96, v99
	s_delay_alu instid0(VALU_DEP_1) | instskip(NEXT) | instid1(VALU_DEP_1)
	v_min_u32_e32 v115, 32, v96
	v_subrev_nc_u32_e32 v96, 29, v115
	s_delay_alu instid0(VALU_DEP_1) | instskip(SKIP_3) | instid1(VALU_DEP_3)
	v_lshlrev_b64_e32 v[96:97], v96, v[38:39]
	v_bfe_u32 v97, v87, 2, 5
	v_dual_lshlrev_b32 v38, 24, v38 :: v_dual_sub_nc_u32 v115, 30, v115
	v_and_b32_e32 v87, 0x7c, v87
	v_cmp_eq_u32_e64 s7, 0, v97
	s_delay_alu instid0(VALU_DEP_3) | instskip(NEXT) | instid1(VALU_DEP_2)
	v_and_b32_e32 v38, 0x80000000, v38
	v_dual_cndmask_b32 v97, v97, v115, s7 :: v_dual_bitop2_b32 v96, 3, v96 bitop3:0x40
	s_delay_alu instid0(VALU_DEP_1) | instskip(SKIP_1) | instid1(VALU_DEP_3)
	v_cndmask_b32_e64 v96, v99, v96, s7
	v_cmp_lt_i16_e64 s7, -1, v86
	v_lshl_add_u32 v38, v97, 23, v38
	s_delay_alu instid0(VALU_DEP_2) | instskip(SKIP_1) | instid1(VALU_DEP_3)
	v_cndmask_b32_e64 v86, 0xff800000, v45, s7
	v_cmp_eq_u32_e64 s7, 0, v99
	v_lshl_or_b32 v38, v96, 21, v38
	s_delay_alu instid0(VALU_DEP_2) | instskip(NEXT) | instid1(VALU_DEP_2)
	v_cndmask_b32_e64 v86, 0x7f800001, v86, s7
	v_add_nc_u32_e32 v38, 0x38000000, v38
	v_cmp_eq_u32_e64 s7, 0x7c, v87
	s_delay_alu instid0(VALU_DEP_1)
	v_cndmask_b32_e64 v87, v38, v86, s7
.LBB2_2043:                             ;   in Loop: Header=BB2_1853 Depth=2
	s_or_b32 exec_lo, exec_lo, s10
	s_delay_alu instid0(VALU_DEP_1) | instskip(SKIP_1) | instid1(VALU_DEP_1)
	v_dual_mul_f32 v86, v30, v87 :: v_dual_mov_b32 v97, v39
                                        ; implicit-def: $vgpr99
	s_mov_b32 s10, exec_lo
	v_and_b32_e32 v96, 0x7f800000, v86
	v_and_b32_e32 v38, 0x7fffff, v86
	v_lshrrev_b32_e32 v30, 24, v86
	s_delay_alu instid0(VALU_DEP_3)
	v_cmpx_ne_u64_e32 0x7f800000, v[96:97]
	s_xor_b32 s25, exec_lo, s10
	s_cbranch_execz .LBB2_2057
; %bb.2044:                             ;   in Loop: Header=BB2_1853 Depth=2
	v_and_b32_e32 v96, 0x7fffffff, v86
	v_mov_b32_e32 v97, v39
	v_and_b32_e32 v30, 0x80, v30
                                        ; implicit-def: $vgpr99
	s_mov_b32 s10, exec_lo
	s_delay_alu instid0(VALU_DEP_2)
	v_cmpx_gt_u64_e32 0x47600001, v[96:97]
	s_xor_b32 s26, exec_lo, s10
	s_cbranch_execz .LBB2_2054
; %bb.2045:                             ;   in Loop: Header=BB2_1853 Depth=2
	v_mov_b32_e32 v99, 0
	s_mov_b32 s27, exec_lo
	v_cmpx_ne_u32_e32 0, v86
	s_cbranch_execz .LBB2_2053
; %bb.2046:                             ;   in Loop: Header=BB2_1853 Depth=2
	v_bfe_u32 v99, v86, 23, 8
	v_or_b32_e32 v96, 0x800000, v38
	s_delay_alu instid0(VALU_DEP_2) | instskip(SKIP_1) | instid1(VALU_DEP_1)
	v_sub_nc_u32_e32 v86, 0x71, v99
	v_cmp_gt_u32_e64 s7, 0x72, v99
	v_cndmask_b32_e64 v86, 0, v86, s7
	v_cmp_eq_u32_e64 s7, 0, v99
	s_delay_alu instid0(VALU_DEP_1) | instskip(NEXT) | instid1(VALU_DEP_1)
	v_cndmask_b32_e64 v115, v86, 0x70, s7
	v_dual_cndmask_b32 v38, v96, v38, s7 :: v_dual_add_nc_u32 v86, 21, v115
	v_add_nc_u32_e32 v97, 20, v115
	s_delay_alu instid0(VALU_DEP_2) | instskip(NEXT) | instid1(VALU_DEP_2)
	v_lshlrev_b64_e64 v[86:87], v86, -1
	v_lshlrev_b64_e64 v[96:97], v97, 1
	s_delay_alu instid0(VALU_DEP_2) | instskip(NEXT) | instid1(VALU_DEP_3)
	v_bfi_b32 v117, v87, 0, 0
	v_bfi_b32 v116, v86, 0, v38
	v_lshrrev_b64 v[86:87], v115, v[38:39]
	s_delay_alu instid0(VALU_DEP_2) | instskip(NEXT) | instid1(VALU_DEP_2)
	v_cmp_eq_u64_e64 s10, v[116:117], v[96:97]
	v_mov_b64_e32 v[96:97], v[86:87]
	s_and_saveexec_b32 s28, s10
; %bb.2047:                             ;   in Loop: Header=BB2_1853 Depth=2
	v_bfe_u32 v38, v86, 21, 1
	s_delay_alu instid0(VALU_DEP_1) | instskip(NEXT) | instid1(VALU_DEP_1)
	v_add_nc_u64_e32 v[96:97], v[86:87], v[38:39]
	v_add_nc_u64_e32 v[96:97], -1, v[96:97]
; %bb.2048:                             ;   in Loop: Header=BB2_1853 Depth=2
	s_or_b32 exec_lo, exec_lo, s28
	v_add_nc_u32_e32 v38, 0xffffff81, v99
	v_lshrrev_b32_e32 v87, 23, v86
	s_mov_b32 s10, exec_lo
	s_delay_alu instid0(VALU_DEP_2) | instskip(NEXT) | instid1(VALU_DEP_1)
	v_cndmask_b32_e64 v38, v38, 0xffffff82, s7
	v_add3_u32 v97, v115, v38, v87
	v_and_b32_e32 v38, 0x1fffff, v96
                                        ; implicit-def: $vgpr96
	s_delay_alu instid0(VALU_DEP_1) | instskip(NEXT) | instid1(VALU_DEP_1)
	v_dual_add_nc_u32 v99, 14, v97 :: v_dual_add_nc_u32 v38, v38, v86
                                        ; implicit-def: $vgpr86_vgpr87
	v_cmpx_ne_u32_e32 0, v99
	s_xor_b32 s10, exec_lo, s10
; %bb.2049:                             ;   in Loop: Header=BB2_1853 Depth=2
	s_delay_alu instid0(VALU_DEP_2) | instskip(SKIP_1) | instid1(VALU_DEP_1)
	v_cmp_lt_u64_e64 s7, 0xffffff, v[38:39]
	v_add_nc_u32_e32 v86, 15, v97
	v_cndmask_b32_e64 v96, v99, v86, s7
	v_cndmask_b32_e64 v86, 0, 1, s7
	s_delay_alu instid0(VALU_DEP_1)
	v_lshrrev_b64 v[86:87], v86, v[38:39]
; %bb.2050:                             ;   in Loop: Header=BB2_1853 Depth=2
	s_and_not1_saveexec_b32 s7, s10
; %bb.2051:                             ;   in Loop: Header=BB2_1853 Depth=2
	v_mov_b64_e32 v[86:87], v[38:39]
	v_bfe_u32 v96, v38, 23, 1
; %bb.2052:                             ;   in Loop: Header=BB2_1853 Depth=2
	s_or_b32 exec_lo, exec_lo, s7
	s_delay_alu instid0(VALU_DEP_2) | instskip(NEXT) | instid1(VALU_DEP_2)
	v_lshrrev_b64 v[86:87], 21, v[86:87]
	v_cmp_gt_i32_e64 s7, 32, v96
	v_min_i32_e32 v38, 31, v96
	v_cmp_eq_u32_e64 s10, 0, v96
	s_delay_alu instid0(VALU_DEP_2) | instskip(SKIP_1) | instid1(VALU_DEP_2)
	v_dual_cndmask_b32 v87, 0, v87, s7 :: v_dual_lshlrev_b32 v38, 2, v38
	v_cndmask_b32_e64 v86, 3, v86, s7
	v_and_b32_e32 v38, 0xfc, v38
	s_delay_alu instid0(VALU_DEP_2) | instskip(NEXT) | instid1(VALU_DEP_2)
	v_cmp_eq_u64_e64 s7, 0, v[86:87]
	v_and_or_b32 v38, v86, 3, v38
	s_and_b32 s7, s10, s7
	s_delay_alu instid0(VALU_DEP_1) | instid1(SALU_CYCLE_1)
	v_cndmask_b32_e64 v38, v38, 0, s7
	s_delay_alu instid0(VALU_DEP_1)
	v_or_b32_e32 v99, v38, v30
.LBB2_2053:                             ;   in Loop: Header=BB2_1853 Depth=2
	s_or_b32 exec_lo, exec_lo, s27
                                        ; implicit-def: $vgpr30
.LBB2_2054:                             ;   in Loop: Header=BB2_1853 Depth=2
	s_and_not1_saveexec_b32 s7, s26
; %bb.2055:                             ;   in Loop: Header=BB2_1853 Depth=2
	v_or_b32_e32 v99, 0x7b, v30
; %bb.2056:                             ;   in Loop: Header=BB2_1853 Depth=2
	s_or_b32 exec_lo, exec_lo, s7
                                        ; implicit-def: $vgpr86
                                        ; implicit-def: $vgpr30
.LBB2_2057:                             ;   in Loop: Header=BB2_1853 Depth=2
	s_and_not1_saveexec_b32 s10, s25
	s_cbranch_execz .LBB2_2063
; %bb.2058:                             ;   in Loop: Header=BB2_1853 Depth=2
	v_cmp_ne_u64_e64 s7, 0, v[38:39]
                                        ; implicit-def: $vgpr99
	s_and_saveexec_b32 s25, s7
	s_delay_alu instid0(SALU_CYCLE_1)
	s_xor_b32 s7, exec_lo, s25
; %bb.2059:                             ;   in Loop: Header=BB2_1853 Depth=2
	v_or_b32_e32 v99, 0x7f, v30
                                        ; implicit-def: $vgpr86
; %bb.2060:                             ;   in Loop: Header=BB2_1853 Depth=2
	s_and_not1_saveexec_b32 s25, s7
; %bb.2061:                             ;   in Loop: Header=BB2_1853 Depth=2
	v_cmp_lt_i32_e64 s7, -1, v86
	s_delay_alu instid0(VALU_DEP_1)
	v_cndmask_b32_e64 v99, 0xfc, v46, s7
; %bb.2062:                             ;   in Loop: Header=BB2_1853 Depth=2
	s_or_b32 exec_lo, exec_lo, s25
.LBB2_2063:                             ;   in Loop: Header=BB2_1853 Depth=2
	s_delay_alu instid0(SALU_CYCLE_1) | instskip(SKIP_2) | instid1(VALU_DEP_1)
	s_or_b32 exec_lo, exec_lo, s10
	v_dual_lshrrev_b32 v30, 16, v15 :: v_dual_mov_b32 v38, 0
	s_mov_b32 s10, exec_lo
	v_and_b32_e32 v86, 0xff, v30
	s_delay_alu instid0(VALU_DEP_1)
	v_cmpx_ne_u16_e32 0, v86
	s_cbranch_execz .LBB2_2073
; %bb.2064:                             ;   in Loop: Header=BB2_1853 Depth=2
	v_bfrev_b32_e32 v38, 1
	s_mov_b32 s25, exec_lo
	v_cmpx_ne_u16_e32 0x80, v86
	s_cbranch_execz .LBB2_2072
; %bb.2065:                             ;   in Loop: Header=BB2_1853 Depth=2
	v_and_b32_e32 v38, 0x7c0000, v15
	v_bfe_u32 v86, v15, 16, 2
	s_delay_alu instid0(VALU_DEP_2) | instskip(SKIP_1) | instid1(SALU_CYCLE_1)
	v_cmp_ne_u32_e64 s7, 0x7c0000, v38
                                        ; implicit-def: $vgpr38
	s_and_saveexec_b32 s26, s7
	s_xor_b32 s26, exec_lo, s26
	s_cbranch_execz .LBB2_2069
; %bb.2066:                             ;   in Loop: Header=BB2_1853 Depth=2
	v_bfe_u32 v38, v15, 18, 5
	s_mov_b32 s27, exec_lo
	s_delay_alu instid0(VALU_DEP_1)
	v_cmpx_eq_u32_e32 0, v38
; %bb.2067:                             ;   in Loop: Header=BB2_1853 Depth=2
	v_clz_i32_u32_e32 v38, v86
	s_delay_alu instid0(VALU_DEP_1) | instskip(NEXT) | instid1(VALU_DEP_1)
	v_min_u32_e32 v38, 32, v38
	v_subrev_nc_u32_e32 v86, 29, v38
	v_sub_nc_u32_e32 v38, 30, v38
	s_delay_alu instid0(VALU_DEP_2) | instskip(NEXT) | instid1(VALU_DEP_1)
	v_lshlrev_b64_e32 v[86:87], v86, v[30:31]
	v_and_b32_e32 v86, 3, v86
; %bb.2068:                             ;   in Loop: Header=BB2_1853 Depth=2
	s_or_b32 exec_lo, exec_lo, s27
	v_lshlrev_b32_e32 v30, 24, v30
	s_delay_alu instid0(VALU_DEP_1) | instskip(NEXT) | instid1(VALU_DEP_1)
	v_and_b32_e32 v30, 0x80000000, v30
	v_lshl_add_u32 v30, v38, 23, v30
	s_delay_alu instid0(VALU_DEP_1) | instskip(NEXT) | instid1(VALU_DEP_1)
	v_lshl_or_b32 v30, v86, 21, v30
                                        ; implicit-def: $vgpr86
	v_add_nc_u32_e32 v38, 0x38000000, v30
                                        ; implicit-def: $vgpr30
.LBB2_2069:                             ;   in Loop: Header=BB2_1853 Depth=2
	s_and_not1_saveexec_b32 s26, s26
; %bb.2070:                             ;   in Loop: Header=BB2_1853 Depth=2
	v_bfe_i32 v30, v30, 0, 8
	s_delay_alu instid0(VALU_DEP_1) | instskip(NEXT) | instid1(VALU_DEP_1)
	v_cmp_lt_i16_e64 s7, -1, v30
	v_cndmask_b32_e64 v30, 0xff800000, v45, s7
	v_cmp_eq_u32_e64 s7, 0, v86
	s_delay_alu instid0(VALU_DEP_1)
	v_cndmask_b32_e64 v38, 0x7f800001, v30, s7
; %bb.2071:                             ;   in Loop: Header=BB2_1853 Depth=2
	s_or_b32 exec_lo, exec_lo, s26
.LBB2_2072:                             ;   in Loop: Header=BB2_1853 Depth=2
	s_delay_alu instid0(SALU_CYCLE_1)
	s_or_b32 exec_lo, exec_lo, s25
.LBB2_2073:                             ;   in Loop: Header=BB2_1853 Depth=2
	s_delay_alu instid0(SALU_CYCLE_1) | instskip(SKIP_3) | instid1(VALU_DEP_1)
	s_or_b32 exec_lo, exec_lo, s10
	v_lshrrev_b32_e32 v30, 16, v11
	s_mov_b32 s25, 0
	s_mov_b32 s10, exec_lo
	v_and_b32_e32 v87, 0xff, v30
	s_delay_alu instid0(VALU_DEP_1)
	v_cmpx_lt_i16_e32 0x7f, v87
	s_xor_b32 s10, exec_lo, s10
	s_cbranch_execz .LBB2_2414
; %bb.2074:                             ;   in Loop: Header=BB2_1853 Depth=2
	s_mov_b32 s25, -1
	s_mov_b32 s26, exec_lo
	v_cmpx_eq_u16_e32 0x80, v87
; %bb.2075:                             ;   in Loop: Header=BB2_1853 Depth=2
	s_xor_b32 s25, exec_lo, -1
; %bb.2076:                             ;   in Loop: Header=BB2_1853 Depth=2
	s_or_b32 exec_lo, exec_lo, s26
	s_delay_alu instid0(SALU_CYCLE_1)
	s_and_b32 s25, s25, exec_lo
                                        ; implicit-def: $vgpr87
	s_or_saveexec_b32 s10, s10
	v_bfrev_b32_e32 v86, 1
	s_xor_b32 exec_lo, exec_lo, s10
	s_cbranch_execnz .LBB2_2415
.LBB2_2077:                             ;   in Loop: Header=BB2_1853 Depth=2
	s_or_b32 exec_lo, exec_lo, s10
	s_and_saveexec_b32 s10, s25
	s_cbranch_execz .LBB2_2079
.LBB2_2078:                             ;   in Loop: Header=BB2_1853 Depth=2
	v_and_b32_e32 v96, 3, v30
	v_bfe_u32 v115, v11, 18, 5
	s_delay_alu instid0(VALU_DEP_2) | instskip(NEXT) | instid1(VALU_DEP_2)
	v_clz_i32_u32_e32 v86, v96
	v_cmp_eq_u32_e64 s7, 0, v115
	s_delay_alu instid0(VALU_DEP_2) | instskip(NEXT) | instid1(VALU_DEP_1)
	v_min_u32_e32 v97, 32, v86
	v_subrev_nc_u32_e32 v86, 29, v97
	s_delay_alu instid0(VALU_DEP_1) | instskip(SKIP_2) | instid1(VALU_DEP_2)
	v_lshlrev_b64_e32 v[86:87], v86, v[30:31]
	v_dual_lshlrev_b32 v87, 24, v30 :: v_dual_sub_nc_u32 v97, 30, v97
	v_bfe_i32 v30, v30, 0, 8
	v_and_b32_e32 v87, 0x80000000, v87
	s_delay_alu instid0(VALU_DEP_3) | instskip(NEXT) | instid1(VALU_DEP_1)
	v_dual_cndmask_b32 v97, v115, v97, s7 :: v_dual_bitop2_b32 v86, 3, v86 bitop3:0x40
	v_cndmask_b32_e64 v86, v96, v86, s7
	s_delay_alu instid0(VALU_DEP_2) | instskip(SKIP_1) | instid1(VALU_DEP_2)
	v_lshl_add_u32 v87, v97, 23, v87
	v_cmp_lt_i16_e64 s7, -1, v30
	v_lshl_or_b32 v86, v86, 21, v87
	s_delay_alu instid0(VALU_DEP_2) | instskip(SKIP_2) | instid1(VALU_DEP_4)
	v_cndmask_b32_e64 v30, 0xff800000, v45, s7
	v_and_b32_e32 v87, 0x7c0000, v11
	v_cmp_eq_u32_e64 s7, 0, v96
	v_add_nc_u32_e32 v86, 0x38000000, v86
	s_delay_alu instid0(VALU_DEP_2) | instskip(NEXT) | instid1(VALU_DEP_4)
	v_cndmask_b32_e64 v30, 0x7f800001, v30, s7
	v_cmp_eq_u32_e64 s7, 0x7c0000, v87
	s_delay_alu instid0(VALU_DEP_1)
	v_cndmask_b32_e64 v86, v86, v30, s7
.LBB2_2079:                             ;   in Loop: Header=BB2_1853 Depth=2
	s_or_b32 exec_lo, exec_lo, s10
	s_delay_alu instid0(VALU_DEP_1) | instskip(NEXT) | instid1(VALU_DEP_1)
	v_dual_mul_f32 v86, v38, v86 :: v_dual_mov_b32 v97, v39
	v_and_b32_e32 v96, 0x7f800000, v86
	v_and_b32_e32 v38, 0x7fffff, v86
	v_lshrrev_b32_e32 v30, 24, v86
	s_delay_alu instid0(VALU_DEP_3) | instskip(SKIP_1) | instid1(SALU_CYCLE_1)
	v_cmp_ne_u64_e64 s7, 0x7f800000, v[96:97]
                                        ; implicit-def: $vgpr96
	s_and_saveexec_b32 s10, s7
	s_xor_b32 s25, exec_lo, s10
	s_cbranch_execz .LBB2_2093
; %bb.2080:                             ;   in Loop: Header=BB2_1853 Depth=2
	v_and_b32_e32 v96, 0x7fffffff, v86
	v_mov_b32_e32 v97, v39
	v_and_b32_e32 v30, 0x80, v30
	s_delay_alu instid0(VALU_DEP_2) | instskip(SKIP_1) | instid1(SALU_CYCLE_1)
	v_cmp_gt_u64_e64 s7, 0x47600001, v[96:97]
                                        ; implicit-def: $vgpr96
	s_and_saveexec_b32 s10, s7
	s_xor_b32 s26, exec_lo, s10
	s_cbranch_execz .LBB2_2090
; %bb.2081:                             ;   in Loop: Header=BB2_1853 Depth=2
	v_mov_b32_e32 v96, 0
	s_mov_b32 s27, exec_lo
	v_cmpx_ne_u32_e32 0, v86
	s_cbranch_execz .LBB2_2089
; %bb.2082:                             ;   in Loop: Header=BB2_1853 Depth=2
	v_bfe_u32 v115, v86, 23, 8
	v_or_b32_e32 v96, 0x800000, v38
	s_delay_alu instid0(VALU_DEP_2) | instskip(SKIP_1) | instid1(VALU_DEP_1)
	v_sub_nc_u32_e32 v86, 0x71, v115
	v_cmp_gt_u32_e64 s7, 0x72, v115
	v_cndmask_b32_e64 v86, 0, v86, s7
	v_cmp_eq_u32_e64 s7, 0, v115
	s_delay_alu instid0(VALU_DEP_1) | instskip(NEXT) | instid1(VALU_DEP_1)
	v_cndmask_b32_e64 v116, v86, 0x70, s7
	v_dual_cndmask_b32 v38, v96, v38, s7 :: v_dual_add_nc_u32 v86, 21, v116
	v_add_nc_u32_e32 v97, 20, v116
	s_delay_alu instid0(VALU_DEP_2) | instskip(NEXT) | instid1(VALU_DEP_2)
	v_lshlrev_b64_e64 v[86:87], v86, -1
	v_lshlrev_b64_e64 v[96:97], v97, 1
	s_delay_alu instid0(VALU_DEP_2) | instskip(NEXT) | instid1(VALU_DEP_3)
	v_bfi_b32 v119, v87, 0, 0
	v_bfi_b32 v118, v86, 0, v38
	v_lshrrev_b64 v[86:87], v116, v[38:39]
	s_delay_alu instid0(VALU_DEP_2) | instskip(NEXT) | instid1(VALU_DEP_2)
	v_cmp_eq_u64_e64 s10, v[118:119], v[96:97]
	v_mov_b64_e32 v[96:97], v[86:87]
	s_and_saveexec_b32 s28, s10
; %bb.2083:                             ;   in Loop: Header=BB2_1853 Depth=2
	v_bfe_u32 v38, v86, 21, 1
	s_delay_alu instid0(VALU_DEP_1) | instskip(NEXT) | instid1(VALU_DEP_1)
	v_add_nc_u64_e32 v[96:97], v[86:87], v[38:39]
	v_add_nc_u64_e32 v[96:97], -1, v[96:97]
; %bb.2084:                             ;   in Loop: Header=BB2_1853 Depth=2
	s_or_b32 exec_lo, exec_lo, s28
	v_add_nc_u32_e32 v38, 0xffffff81, v115
	v_lshrrev_b32_e32 v87, 23, v86
	s_mov_b32 s10, exec_lo
	s_delay_alu instid0(VALU_DEP_2) | instskip(NEXT) | instid1(VALU_DEP_1)
	v_cndmask_b32_e64 v38, v38, 0xffffff82, s7
	v_add3_u32 v97, v116, v38, v87
	v_and_b32_e32 v38, 0x1fffff, v96
                                        ; implicit-def: $vgpr96
	s_delay_alu instid0(VALU_DEP_1) | instskip(NEXT) | instid1(VALU_DEP_1)
	v_dual_add_nc_u32 v115, 14, v97 :: v_dual_add_nc_u32 v38, v38, v86
                                        ; implicit-def: $vgpr86_vgpr87
	v_cmpx_ne_u32_e32 0, v115
	s_xor_b32 s10, exec_lo, s10
; %bb.2085:                             ;   in Loop: Header=BB2_1853 Depth=2
	s_delay_alu instid0(VALU_DEP_2) | instskip(SKIP_1) | instid1(VALU_DEP_1)
	v_cmp_lt_u64_e64 s7, 0xffffff, v[38:39]
	v_add_nc_u32_e32 v86, 15, v97
	v_cndmask_b32_e64 v96, v115, v86, s7
	v_cndmask_b32_e64 v86, 0, 1, s7
	s_delay_alu instid0(VALU_DEP_1)
	v_lshrrev_b64 v[86:87], v86, v[38:39]
; %bb.2086:                             ;   in Loop: Header=BB2_1853 Depth=2
	s_and_not1_saveexec_b32 s7, s10
; %bb.2087:                             ;   in Loop: Header=BB2_1853 Depth=2
	v_mov_b64_e32 v[86:87], v[38:39]
	v_bfe_u32 v96, v38, 23, 1
; %bb.2088:                             ;   in Loop: Header=BB2_1853 Depth=2
	s_or_b32 exec_lo, exec_lo, s7
	s_delay_alu instid0(VALU_DEP_2) | instskip(NEXT) | instid1(VALU_DEP_2)
	v_lshrrev_b64 v[86:87], 21, v[86:87]
	v_cmp_gt_i32_e64 s7, 32, v96
	v_min_i32_e32 v38, 31, v96
	v_cmp_eq_u32_e64 s10, 0, v96
	s_delay_alu instid0(VALU_DEP_2) | instskip(SKIP_1) | instid1(VALU_DEP_2)
	v_dual_cndmask_b32 v87, 0, v87, s7 :: v_dual_lshlrev_b32 v38, 2, v38
	v_cndmask_b32_e64 v86, 3, v86, s7
	v_and_b32_e32 v38, 0xfc, v38
	s_delay_alu instid0(VALU_DEP_2) | instskip(NEXT) | instid1(VALU_DEP_2)
	v_cmp_eq_u64_e64 s7, 0, v[86:87]
	v_and_or_b32 v38, v86, 3, v38
	s_and_b32 s7, s10, s7
	s_delay_alu instid0(VALU_DEP_1) | instid1(SALU_CYCLE_1)
	v_cndmask_b32_e64 v38, v38, 0, s7
	s_delay_alu instid0(VALU_DEP_1)
	v_or_b32_e32 v96, v38, v30
.LBB2_2089:                             ;   in Loop: Header=BB2_1853 Depth=2
	s_or_b32 exec_lo, exec_lo, s27
                                        ; implicit-def: $vgpr30
.LBB2_2090:                             ;   in Loop: Header=BB2_1853 Depth=2
	s_and_not1_saveexec_b32 s7, s26
; %bb.2091:                             ;   in Loop: Header=BB2_1853 Depth=2
	v_or_b32_e32 v96, 0x7b, v30
; %bb.2092:                             ;   in Loop: Header=BB2_1853 Depth=2
	s_or_b32 exec_lo, exec_lo, s7
                                        ; implicit-def: $vgpr86
                                        ; implicit-def: $vgpr30
.LBB2_2093:                             ;   in Loop: Header=BB2_1853 Depth=2
	s_and_not1_saveexec_b32 s10, s25
	s_cbranch_execz .LBB2_2099
; %bb.2094:                             ;   in Loop: Header=BB2_1853 Depth=2
	v_cmp_ne_u64_e64 s7, 0, v[38:39]
                                        ; implicit-def: $vgpr96
	s_and_saveexec_b32 s25, s7
	s_delay_alu instid0(SALU_CYCLE_1)
	s_xor_b32 s7, exec_lo, s25
; %bb.2095:                             ;   in Loop: Header=BB2_1853 Depth=2
	v_or_b32_e32 v96, 0x7f, v30
                                        ; implicit-def: $vgpr86
; %bb.2096:                             ;   in Loop: Header=BB2_1853 Depth=2
	s_and_not1_saveexec_b32 s25, s7
; %bb.2097:                             ;   in Loop: Header=BB2_1853 Depth=2
	v_cmp_lt_i32_e64 s7, -1, v86
	s_delay_alu instid0(VALU_DEP_1)
	v_cndmask_b32_e64 v96, 0xfc, v46, s7
; %bb.2098:                             ;   in Loop: Header=BB2_1853 Depth=2
	s_or_b32 exec_lo, exec_lo, s25
.LBB2_2099:                             ;   in Loop: Header=BB2_1853 Depth=2
	s_delay_alu instid0(SALU_CYCLE_1)
	s_or_b32 exec_lo, exec_lo, s10
	v_mov_b32_e32 v38, 0
	s_mov_b32 s10, exec_lo
	v_cmpx_lt_u64_e64 s[12:13], v[14:15]
	s_cbranch_execz .LBB2_2109
; %bb.2100:                             ;   in Loop: Header=BB2_1853 Depth=2
	v_lshrrev_b32_e32 v30, 24, v15
	v_bfrev_b32_e32 v38, 1
	s_mov_b32 s25, exec_lo
	s_delay_alu instid0(VALU_DEP_2)
	v_cmpx_ne_u32_e32 0x80, v30
	s_cbranch_execz .LBB2_2108
; %bb.2101:                             ;   in Loop: Header=BB2_1853 Depth=2
	v_and_b32_e32 v38, 0x7c000000, v15
	v_bfe_u32 v86, v15, 24, 2
	s_delay_alu instid0(VALU_DEP_2) | instskip(SKIP_1) | instid1(SALU_CYCLE_1)
	v_cmp_ne_u32_e64 s7, 0x7c000000, v38
                                        ; implicit-def: $vgpr38
	s_and_saveexec_b32 s26, s7
	s_xor_b32 s26, exec_lo, s26
	s_cbranch_execz .LBB2_2105
; %bb.2102:                             ;   in Loop: Header=BB2_1853 Depth=2
	v_bfe_u32 v38, v15, 26, 5
	s_mov_b32 s27, exec_lo
	s_delay_alu instid0(VALU_DEP_1)
	v_cmpx_eq_u32_e32 0, v38
; %bb.2103:                             ;   in Loop: Header=BB2_1853 Depth=2
	v_clz_i32_u32_e32 v38, v86
	s_delay_alu instid0(VALU_DEP_1) | instskip(NEXT) | instid1(VALU_DEP_1)
	v_min_u32_e32 v38, 32, v38
	v_subrev_nc_u32_e32 v86, 29, v38
	v_sub_nc_u32_e32 v38, 30, v38
	s_delay_alu instid0(VALU_DEP_2) | instskip(NEXT) | instid1(VALU_DEP_1)
	v_lshlrev_b64_e32 v[86:87], v86, v[30:31]
	v_and_b32_e32 v86, 3, v86
; %bb.2104:                             ;   in Loop: Header=BB2_1853 Depth=2
	s_or_b32 exec_lo, exec_lo, s27
	v_and_b32_e32 v30, 0x80000000, v15
	s_delay_alu instid0(VALU_DEP_1) | instskip(NEXT) | instid1(VALU_DEP_1)
	v_lshl_add_u32 v30, v38, 23, v30
	v_lshl_or_b32 v30, v86, 21, v30
                                        ; implicit-def: $vgpr86
	s_delay_alu instid0(VALU_DEP_1)
	v_add_nc_u32_e32 v38, 0x38000000, v30
.LBB2_2105:                             ;   in Loop: Header=BB2_1853 Depth=2
	s_and_not1_saveexec_b32 s26, s26
; %bb.2106:                             ;   in Loop: Header=BB2_1853 Depth=2
	v_cmp_lt_i64_e64 s7, -1, v[14:15]
	s_delay_alu instid0(VALU_DEP_1) | instskip(SKIP_1) | instid1(VALU_DEP_1)
	v_cndmask_b32_e64 v14, 0xff800000, v45, s7
	v_cmp_eq_u32_e64 s7, 0, v86
	v_cndmask_b32_e64 v38, 0x7f800001, v14, s7
; %bb.2107:                             ;   in Loop: Header=BB2_1853 Depth=2
	s_or_b32 exec_lo, exec_lo, s26
.LBB2_2108:                             ;   in Loop: Header=BB2_1853 Depth=2
	s_delay_alu instid0(SALU_CYCLE_1)
	s_or_b32 exec_lo, exec_lo, s25
.LBB2_2109:                             ;   in Loop: Header=BB2_1853 Depth=2
	s_delay_alu instid0(SALU_CYCLE_1) | instskip(SKIP_3) | instid1(VALU_DEP_2)
	s_or_b32 exec_lo, exec_lo, s10
	v_bfe_u32 v15, v11, 24, 2
	v_bfe_u32 v97, v11, 26, 5
	s_mov_b32 s10, exec_lo
	v_clz_i32_u32_e32 v14, v15
	s_delay_alu instid0(VALU_DEP_2) | instskip(NEXT) | instid1(VALU_DEP_2)
	v_cmp_eq_u32_e64 s7, 0, v97
	v_min_u32_e32 v30, 32, v14
	v_lshrrev_b32_e32 v14, 24, v11
	s_delay_alu instid0(VALU_DEP_2) | instskip(SKIP_1) | instid1(VALU_DEP_2)
	v_subrev_nc_u32_e32 v86, 29, v30
	v_sub_nc_u32_e32 v30, 30, v30
	v_lshlrev_b64_e32 v[86:87], v86, v[14:15]
	v_and_b32_e32 v87, 0x80000000, v11
	s_delay_alu instid0(VALU_DEP_3) | instskip(NEXT) | instid1(VALU_DEP_1)
	v_cndmask_b32_e64 v30, v97, v30, s7
	v_lshl_add_u32 v30, v30, 23, v87
	s_delay_alu instid0(VALU_DEP_4) | instskip(NEXT) | instid1(VALU_DEP_1)
	v_and_b32_e32 v86, 3, v86
	v_cndmask_b32_e64 v86, v15, v86, s7
	v_cmp_lt_i64_e64 s7, -1, v[10:11]
	s_delay_alu instid0(VALU_DEP_2) | instskip(SKIP_1) | instid1(VALU_DEP_3)
	v_lshl_or_b32 v30, v86, 21, v30
	v_and_b32_e32 v86, 0x7c000000, v11
	v_cndmask_b32_e64 v87, 0xff800000, v45, s7
	v_cmp_eq_u32_e64 s7, 0, v15
	s_delay_alu instid0(VALU_DEP_4) | instskip(NEXT) | instid1(VALU_DEP_2)
	v_add_nc_u32_e32 v30, 0x38000000, v30
	v_cndmask_b32_e64 v15, 0x7f800001, v87, s7
	v_cmp_eq_u32_e64 s7, 0x7c000000, v86
	s_delay_alu instid0(VALU_DEP_1) | instskip(SKIP_1) | instid1(VALU_DEP_1)
	v_cndmask_b32_e64 v15, v30, v15, s7
	v_cmp_ne_u32_e64 s7, 0x80, v14
                                        ; implicit-def: $vgpr30
	v_cndmask_b32_e64 v14, 0x80000000, v15, s7
	v_cmp_lt_u64_e64 s7, s[12:13], v[10:11]
	s_delay_alu instid0(VALU_DEP_1) | instskip(NEXT) | instid1(VALU_DEP_1)
	v_dual_mov_b32 v15, v39 :: v_dual_cndmask_b32 v10, 0, v14, s7
	v_mul_f32_e32 v10, v10, v38
	s_delay_alu instid0(VALU_DEP_1) | instskip(SKIP_2) | instid1(VALU_DEP_3)
	v_and_b32_e32 v14, 0x7f800000, v10
	v_and_b32_e32 v38, 0x7fffff, v10
	v_lshrrev_b32_e32 v11, 24, v10
	v_cmpx_ne_u64_e32 0x7f800000, v[14:15]
	s_xor_b32 s25, exec_lo, s10
	s_cbranch_execz .LBB2_2123
; %bb.2110:                             ;   in Loop: Header=BB2_1853 Depth=2
	v_and_b32_e32 v14, 0x7fffffff, v10
	v_mov_b32_e32 v15, v39
	v_and_b32_e32 v86, 0x80, v11
                                        ; implicit-def: $vgpr30
	s_mov_b32 s10, exec_lo
	s_delay_alu instid0(VALU_DEP_2)
	v_cmpx_gt_u64_e32 0x47600001, v[14:15]
	s_xor_b32 s26, exec_lo, s10
	s_cbranch_execz .LBB2_2120
; %bb.2111:                             ;   in Loop: Header=BB2_1853 Depth=2
	v_mov_b32_e32 v30, 0
	s_mov_b32 s27, exec_lo
	v_cmpx_ne_u32_e32 0, v10
	s_cbranch_execz .LBB2_2119
; %bb.2112:                             ;   in Loop: Header=BB2_1853 Depth=2
	v_bfe_u32 v30, v10, 23, 8
	v_or_b32_e32 v14, 0x800000, v38
	s_delay_alu instid0(VALU_DEP_2) | instskip(SKIP_1) | instid1(VALU_DEP_1)
	v_sub_nc_u32_e32 v10, 0x71, v30
	v_cmp_gt_u32_e64 s7, 0x72, v30
	v_cndmask_b32_e64 v10, 0, v10, s7
	v_cmp_eq_u32_e64 s7, 0, v30
	s_delay_alu instid0(VALU_DEP_1) | instskip(NEXT) | instid1(VALU_DEP_1)
	v_cndmask_b32_e64 v87, v10, 0x70, s7
	v_dual_cndmask_b32 v38, v14, v38, s7 :: v_dual_add_nc_u32 v10, 21, v87
	v_add_nc_u32_e32 v15, 20, v87
	s_delay_alu instid0(VALU_DEP_2) | instskip(NEXT) | instid1(VALU_DEP_2)
	v_lshlrev_b64_e64 v[10:11], v10, -1
	v_lshlrev_b64_e64 v[14:15], v15, 1
	s_delay_alu instid0(VALU_DEP_2) | instskip(NEXT) | instid1(VALU_DEP_3)
	v_bfi_b32 v117, v11, 0, 0
	v_bfi_b32 v116, v10, 0, v38
	v_lshrrev_b64 v[10:11], v87, v[38:39]
	s_delay_alu instid0(VALU_DEP_2) | instskip(NEXT) | instid1(VALU_DEP_2)
	v_cmp_eq_u64_e64 s10, v[116:117], v[14:15]
	v_mov_b64_e32 v[14:15], v[10:11]
	s_and_saveexec_b32 s28, s10
; %bb.2113:                             ;   in Loop: Header=BB2_1853 Depth=2
	v_bfe_u32 v38, v10, 21, 1
	s_delay_alu instid0(VALU_DEP_1) | instskip(NEXT) | instid1(VALU_DEP_1)
	v_add_nc_u64_e32 v[14:15], v[10:11], v[38:39]
	v_add_nc_u64_e32 v[14:15], -1, v[14:15]
; %bb.2114:                             ;   in Loop: Header=BB2_1853 Depth=2
	s_or_b32 exec_lo, exec_lo, s28
	v_add_nc_u32_e32 v11, 0xffffff81, v30
	v_lshrrev_b32_e32 v15, 23, v10
	s_mov_b32 s10, exec_lo
	s_delay_alu instid0(VALU_DEP_2) | instskip(NEXT) | instid1(VALU_DEP_1)
	v_cndmask_b32_e64 v11, v11, 0xffffff82, s7
	v_add3_u32 v15, v87, v11, v15
	v_and_b32_e32 v11, 0x1fffff, v14
                                        ; implicit-def: $vgpr14
	s_delay_alu instid0(VALU_DEP_1) | instskip(NEXT) | instid1(VALU_DEP_1)
	v_dual_add_nc_u32 v30, 14, v15 :: v_dual_add_nc_u32 v38, v11, v10
                                        ; implicit-def: $vgpr10_vgpr11
	v_cmpx_ne_u32_e32 0, v30
	s_xor_b32 s10, exec_lo, s10
; %bb.2115:                             ;   in Loop: Header=BB2_1853 Depth=2
	s_delay_alu instid0(VALU_DEP_2) | instskip(SKIP_1) | instid1(VALU_DEP_1)
	v_cmp_lt_u64_e64 s7, 0xffffff, v[38:39]
	v_add_nc_u32_e32 v10, 15, v15
	v_cndmask_b32_e64 v14, v30, v10, s7
	v_cndmask_b32_e64 v10, 0, 1, s7
	s_delay_alu instid0(VALU_DEP_1)
	v_lshrrev_b64 v[10:11], v10, v[38:39]
; %bb.2116:                             ;   in Loop: Header=BB2_1853 Depth=2
	s_and_not1_saveexec_b32 s7, s10
; %bb.2117:                             ;   in Loop: Header=BB2_1853 Depth=2
	v_mov_b64_e32 v[10:11], v[38:39]
	v_bfe_u32 v14, v38, 23, 1
; %bb.2118:                             ;   in Loop: Header=BB2_1853 Depth=2
	s_or_b32 exec_lo, exec_lo, s7
	s_delay_alu instid0(VALU_DEP_2) | instskip(NEXT) | instid1(VALU_DEP_2)
	v_lshrrev_b64 v[10:11], 21, v[10:11]
	v_cmp_gt_i32_e64 s7, 32, v14
	v_min_i32_e32 v15, 31, v14
	v_cmp_eq_u32_e64 s10, 0, v14
	s_delay_alu instid0(VALU_DEP_3) | instskip(NEXT) | instid1(VALU_DEP_3)
	v_cndmask_b32_e64 v11, 0, v11, s7
	v_dual_lshlrev_b32 v15, 2, v15 :: v_dual_cndmask_b32 v10, 3, v10, s7
	s_delay_alu instid0(VALU_DEP_1) | instskip(NEXT) | instid1(VALU_DEP_2)
	v_and_b32_e32 v15, 0xfc, v15
	v_cmp_eq_u64_e64 s7, 0, v[10:11]
	s_delay_alu instid0(VALU_DEP_2)
	v_and_or_b32 v10, v10, 3, v15
	s_and_b32 s7, s10, s7
	s_delay_alu instid0(VALU_DEP_1) | instid1(SALU_CYCLE_1)
	v_cndmask_b32_e64 v10, v10, 0, s7
	s_delay_alu instid0(VALU_DEP_1)
	v_or_b32_e32 v30, v10, v86
.LBB2_2119:                             ;   in Loop: Header=BB2_1853 Depth=2
	s_or_b32 exec_lo, exec_lo, s27
                                        ; implicit-def: $vgpr86
.LBB2_2120:                             ;   in Loop: Header=BB2_1853 Depth=2
	s_and_not1_saveexec_b32 s7, s26
; %bb.2121:                             ;   in Loop: Header=BB2_1853 Depth=2
	v_or_b32_e32 v30, 0x7b, v86
; %bb.2122:                             ;   in Loop: Header=BB2_1853 Depth=2
	s_or_b32 exec_lo, exec_lo, s7
                                        ; implicit-def: $vgpr10
                                        ; implicit-def: $vgpr11
.LBB2_2123:                             ;   in Loop: Header=BB2_1853 Depth=2
	s_and_not1_saveexec_b32 s10, s25
	s_cbranch_execz .LBB2_2129
; %bb.2124:                             ;   in Loop: Header=BB2_1853 Depth=2
	v_cmp_ne_u64_e64 s7, 0, v[38:39]
                                        ; implicit-def: $vgpr30
	s_and_saveexec_b32 s25, s7
	s_delay_alu instid0(SALU_CYCLE_1)
	s_xor_b32 s7, exec_lo, s25
; %bb.2125:                             ;   in Loop: Header=BB2_1853 Depth=2
	v_or_b32_e32 v30, 0x7f, v11
                                        ; implicit-def: $vgpr10
; %bb.2126:                             ;   in Loop: Header=BB2_1853 Depth=2
	s_and_not1_saveexec_b32 s25, s7
; %bb.2127:                             ;   in Loop: Header=BB2_1853 Depth=2
	v_cmp_lt_i32_e64 s7, -1, v10
	s_delay_alu instid0(VALU_DEP_1)
	v_cndmask_b32_e64 v30, 0xfc, v46, s7
; %bb.2128:                             ;   in Loop: Header=BB2_1853 Depth=2
	s_or_b32 exec_lo, exec_lo, s25
.LBB2_2129:                             ;   in Loop: Header=BB2_1853 Depth=2
	s_delay_alu instid0(SALU_CYCLE_1) | instskip(SKIP_1) | instid1(VALU_DEP_1)
	s_or_b32 exec_lo, exec_lo, s10
	v_and_b32_e32 v10, 0xff, v16
	v_cmp_ne_u16_e64 s7, 0, v10
	v_mov_b32_e32 v10, 0
	s_and_saveexec_b32 s10, s7
	s_cbranch_execz .LBB2_2139
; %bb.2130:                             ;   in Loop: Header=BB2_1853 Depth=2
	v_bfe_i32 v14, v16, 0, 8
	v_bfrev_b32_e32 v10, 1
	s_mov_b32 s25, exec_lo
	s_delay_alu instid0(VALU_DEP_2)
	v_cmpx_ne_u16_e32 0xff80, v14
	s_cbranch_execz .LBB2_2138
; %bb.2131:                             ;   in Loop: Header=BB2_1853 Depth=2
	v_and_b32_e32 v10, 0x7c, v16
	v_and_b32_e32 v11, 3, v16
	s_delay_alu instid0(VALU_DEP_2) | instskip(SKIP_1) | instid1(SALU_CYCLE_1)
	v_cmp_ne_u32_e64 s7, 0x7c, v10
                                        ; implicit-def: $vgpr10
	s_and_saveexec_b32 s26, s7
	s_xor_b32 s26, exec_lo, s26
	s_cbranch_execz .LBB2_2135
; %bb.2132:                             ;   in Loop: Header=BB2_1853 Depth=2
	v_bfe_u32 v10, v16, 2, 5
	s_mov_b32 s27, exec_lo
	s_delay_alu instid0(VALU_DEP_1)
	v_cmpx_eq_u32_e32 0, v10
; %bb.2133:                             ;   in Loop: Header=BB2_1853 Depth=2
	v_clz_i32_u32_e32 v10, v11
	s_delay_alu instid0(VALU_DEP_1) | instskip(NEXT) | instid1(VALU_DEP_1)
	v_min_u32_e32 v10, 32, v10
	v_subrev_nc_u32_e32 v11, 29, v10
	v_sub_nc_u32_e32 v10, 30, v10
	s_delay_alu instid0(VALU_DEP_2) | instskip(NEXT) | instid1(VALU_DEP_1)
	v_lshlrev_b64_e32 v[14:15], v11, v[16:17]
	v_and_b32_e32 v11, 3, v14
; %bb.2134:                             ;   in Loop: Header=BB2_1853 Depth=2
	s_or_b32 exec_lo, exec_lo, s27
	v_lshlrev_b32_e32 v14, 24, v16
	s_delay_alu instid0(VALU_DEP_1) | instskip(NEXT) | instid1(VALU_DEP_1)
	v_and_b32_e32 v14, 0x80000000, v14
	v_lshl_add_u32 v10, v10, 23, v14
                                        ; implicit-def: $vgpr14
	s_delay_alu instid0(VALU_DEP_1) | instskip(NEXT) | instid1(VALU_DEP_1)
	v_lshl_or_b32 v10, v11, 21, v10
                                        ; implicit-def: $vgpr11
	v_add_nc_u32_e32 v10, 0x38000000, v10
.LBB2_2135:                             ;   in Loop: Header=BB2_1853 Depth=2
	s_and_not1_saveexec_b32 s26, s26
; %bb.2136:                             ;   in Loop: Header=BB2_1853 Depth=2
	v_cmp_lt_i16_e64 s7, -1, v14
	s_delay_alu instid0(VALU_DEP_1) | instskip(SKIP_1) | instid1(VALU_DEP_1)
	v_cndmask_b32_e64 v10, 0xff800000, v45, s7
	v_cmp_eq_u32_e64 s7, 0, v11
	v_cndmask_b32_e64 v10, 0x7f800001, v10, s7
; %bb.2137:                             ;   in Loop: Header=BB2_1853 Depth=2
	s_or_b32 exec_lo, exec_lo, s26
.LBB2_2138:                             ;   in Loop: Header=BB2_1853 Depth=2
	s_delay_alu instid0(SALU_CYCLE_1)
	s_or_b32 exec_lo, exec_lo, s25
.LBB2_2139:                             ;   in Loop: Header=BB2_1853 Depth=2
	s_delay_alu instid0(SALU_CYCLE_1) | instskip(SKIP_3) | instid1(VALU_DEP_1)
	s_or_b32 exec_lo, exec_lo, s10
	v_and_b32_e32 v14, 0xff, v12
	s_mov_b32 s25, 0
	s_mov_b32 s10, exec_lo
	v_cmpx_lt_i16_e32 0x7f, v14
	s_xor_b32 s10, exec_lo, s10
	s_cbranch_execz .LBB2_2416
; %bb.2140:                             ;   in Loop: Header=BB2_1853 Depth=2
	s_mov_b32 s25, -1
	s_mov_b32 s26, exec_lo
	v_cmpx_eq_u16_e32 0x80, v14
; %bb.2141:                             ;   in Loop: Header=BB2_1853 Depth=2
	s_xor_b32 s25, exec_lo, -1
; %bb.2142:                             ;   in Loop: Header=BB2_1853 Depth=2
	s_or_b32 exec_lo, exec_lo, s26
	s_delay_alu instid0(SALU_CYCLE_1)
	s_and_b32 s25, s25, exec_lo
                                        ; implicit-def: $vgpr14
	s_or_saveexec_b32 s10, s10
	v_bfrev_b32_e32 v11, 1
	s_xor_b32 exec_lo, exec_lo, s10
	s_cbranch_execnz .LBB2_2417
.LBB2_2143:                             ;   in Loop: Header=BB2_1853 Depth=2
	s_or_b32 exec_lo, exec_lo, s10
	s_and_saveexec_b32 s10, s25
	s_cbranch_execz .LBB2_2145
.LBB2_2144:                             ;   in Loop: Header=BB2_1853 Depth=2
	v_and_b32_e32 v11, 3, v12
	v_bfe_u32 v86, v12, 2, 5
	s_delay_alu instid0(VALU_DEP_2) | instskip(NEXT) | instid1(VALU_DEP_2)
	v_clz_i32_u32_e32 v14, v11
	v_cmp_eq_u32_e64 s7, 0, v86
	s_delay_alu instid0(VALU_DEP_2) | instskip(NEXT) | instid1(VALU_DEP_1)
	v_min_u32_e32 v38, 32, v14
	v_subrev_nc_u32_e32 v14, 29, v38
	v_sub_nc_u32_e32 v38, 30, v38
	s_delay_alu instid0(VALU_DEP_2) | instskip(NEXT) | instid1(VALU_DEP_2)
	v_lshlrev_b64_e32 v[14:15], v14, v[12:13]
	v_dual_lshlrev_b32 v15, 24, v12 :: v_dual_cndmask_b32 v38, v86, v38, s7
	v_bfe_i32 v86, v12, 0, 8
	s_delay_alu instid0(VALU_DEP_2) | instskip(NEXT) | instid1(VALU_DEP_4)
	v_and_b32_e32 v15, 0x80000000, v15
	v_and_b32_e32 v14, 3, v14
	s_delay_alu instid0(VALU_DEP_2) | instskip(NEXT) | instid1(VALU_DEP_2)
	v_lshl_add_u32 v15, v38, 23, v15
	v_cndmask_b32_e64 v14, v11, v14, s7
	v_cmp_lt_i16_e64 s7, -1, v86
	s_delay_alu instid0(VALU_DEP_2) | instskip(NEXT) | instid1(VALU_DEP_2)
	v_lshl_or_b32 v14, v14, 21, v15
	v_cndmask_b32_e64 v38, 0xff800000, v45, s7
	v_and_b32_e32 v15, 0x7c, v12
	v_cmp_eq_u32_e64 s7, 0, v11
	s_delay_alu instid0(VALU_DEP_4) | instskip(NEXT) | instid1(VALU_DEP_2)
	v_add_nc_u32_e32 v14, 0x38000000, v14
	v_cndmask_b32_e64 v11, 0x7f800001, v38, s7
	s_delay_alu instid0(VALU_DEP_4) | instskip(NEXT) | instid1(VALU_DEP_1)
	v_cmp_eq_u32_e64 s7, 0x7c, v15
	v_cndmask_b32_e64 v11, v14, v11, s7
.LBB2_2145:                             ;   in Loop: Header=BB2_1853 Depth=2
	s_or_b32 exec_lo, exec_lo, s10
	s_delay_alu instid0(VALU_DEP_1) | instskip(SKIP_1) | instid1(VALU_DEP_1)
	v_dual_mul_f32 v10, v10, v11 :: v_dual_mov_b32 v15, v39
                                        ; implicit-def: $vgpr97
	s_mov_b32 s10, exec_lo
	v_and_b32_e32 v14, 0x7f800000, v10
	v_and_b32_e32 v38, 0x7fffff, v10
	v_lshrrev_b32_e32 v11, 24, v10
	s_delay_alu instid0(VALU_DEP_3)
	v_cmpx_ne_u64_e32 0x7f800000, v[14:15]
	s_xor_b32 s25, exec_lo, s10
	s_cbranch_execz .LBB2_2159
; %bb.2146:                             ;   in Loop: Header=BB2_1853 Depth=2
	v_and_b32_e32 v14, 0x7fffffff, v10
	v_mov_b32_e32 v15, v39
	v_and_b32_e32 v86, 0x80, v11
                                        ; implicit-def: $vgpr97
	s_mov_b32 s10, exec_lo
	s_delay_alu instid0(VALU_DEP_2)
	v_cmpx_gt_u64_e32 0x47600001, v[14:15]
	s_xor_b32 s26, exec_lo, s10
	s_cbranch_execz .LBB2_2156
; %bb.2147:                             ;   in Loop: Header=BB2_1853 Depth=2
	v_mov_b32_e32 v97, 0
	s_mov_b32 s27, exec_lo
	v_cmpx_ne_u32_e32 0, v10
	s_cbranch_execz .LBB2_2155
; %bb.2148:                             ;   in Loop: Header=BB2_1853 Depth=2
	v_bfe_u32 v87, v10, 23, 8
	v_or_b32_e32 v14, 0x800000, v38
	s_delay_alu instid0(VALU_DEP_2) | instskip(SKIP_1) | instid1(VALU_DEP_1)
	v_sub_nc_u32_e32 v10, 0x71, v87
	v_cmp_gt_u32_e64 s7, 0x72, v87
	v_cndmask_b32_e64 v10, 0, v10, s7
	v_cmp_eq_u32_e64 s7, 0, v87
	s_delay_alu instid0(VALU_DEP_1) | instskip(NEXT) | instid1(VALU_DEP_1)
	v_cndmask_b32_e64 v97, v10, 0x70, s7
	v_dual_cndmask_b32 v38, v14, v38, s7 :: v_dual_add_nc_u32 v10, 21, v97
	v_add_nc_u32_e32 v15, 20, v97
	s_delay_alu instid0(VALU_DEP_2) | instskip(NEXT) | instid1(VALU_DEP_2)
	v_lshlrev_b64_e64 v[10:11], v10, -1
	v_lshlrev_b64_e64 v[14:15], v15, 1
	s_delay_alu instid0(VALU_DEP_2) | instskip(NEXT) | instid1(VALU_DEP_3)
	v_bfi_b32 v117, v11, 0, 0
	v_bfi_b32 v116, v10, 0, v38
	v_lshrrev_b64 v[10:11], v97, v[38:39]
	s_delay_alu instid0(VALU_DEP_2) | instskip(NEXT) | instid1(VALU_DEP_2)
	v_cmp_eq_u64_e64 s10, v[116:117], v[14:15]
	v_mov_b64_e32 v[14:15], v[10:11]
	s_and_saveexec_b32 s28, s10
; %bb.2149:                             ;   in Loop: Header=BB2_1853 Depth=2
	v_bfe_u32 v38, v10, 21, 1
	s_delay_alu instid0(VALU_DEP_1) | instskip(NEXT) | instid1(VALU_DEP_1)
	v_add_nc_u64_e32 v[14:15], v[10:11], v[38:39]
	v_add_nc_u64_e32 v[14:15], -1, v[14:15]
; %bb.2150:                             ;   in Loop: Header=BB2_1853 Depth=2
	s_or_b32 exec_lo, exec_lo, s28
	v_add_nc_u32_e32 v11, 0xffffff81, v87
	v_lshrrev_b32_e32 v15, 23, v10
	s_mov_b32 s10, exec_lo
	s_delay_alu instid0(VALU_DEP_2) | instskip(NEXT) | instid1(VALU_DEP_1)
	v_cndmask_b32_e64 v11, v11, 0xffffff82, s7
	v_add3_u32 v15, v97, v11, v15
	v_and_b32_e32 v11, 0x1fffff, v14
                                        ; implicit-def: $vgpr14
	s_delay_alu instid0(VALU_DEP_1) | instskip(NEXT) | instid1(VALU_DEP_1)
	v_dual_add_nc_u32 v87, 14, v15 :: v_dual_add_nc_u32 v38, v11, v10
                                        ; implicit-def: $vgpr10_vgpr11
	v_cmpx_ne_u32_e32 0, v87
	s_xor_b32 s10, exec_lo, s10
; %bb.2151:                             ;   in Loop: Header=BB2_1853 Depth=2
	s_delay_alu instid0(VALU_DEP_2) | instskip(SKIP_1) | instid1(VALU_DEP_1)
	v_cmp_lt_u64_e64 s7, 0xffffff, v[38:39]
	v_add_nc_u32_e32 v10, 15, v15
	v_cndmask_b32_e64 v14, v87, v10, s7
	v_cndmask_b32_e64 v10, 0, 1, s7
	s_delay_alu instid0(VALU_DEP_1)
	v_lshrrev_b64 v[10:11], v10, v[38:39]
; %bb.2152:                             ;   in Loop: Header=BB2_1853 Depth=2
	s_and_not1_saveexec_b32 s7, s10
; %bb.2153:                             ;   in Loop: Header=BB2_1853 Depth=2
	v_mov_b64_e32 v[10:11], v[38:39]
	v_bfe_u32 v14, v38, 23, 1
; %bb.2154:                             ;   in Loop: Header=BB2_1853 Depth=2
	s_or_b32 exec_lo, exec_lo, s7
	s_delay_alu instid0(VALU_DEP_2) | instskip(NEXT) | instid1(VALU_DEP_2)
	v_lshrrev_b64 v[10:11], 21, v[10:11]
	v_cmp_gt_i32_e64 s7, 32, v14
	v_min_i32_e32 v15, 31, v14
	v_cmp_eq_u32_e64 s10, 0, v14
	s_delay_alu instid0(VALU_DEP_3) | instskip(NEXT) | instid1(VALU_DEP_3)
	v_cndmask_b32_e64 v11, 0, v11, s7
	v_dual_lshlrev_b32 v15, 2, v15 :: v_dual_cndmask_b32 v10, 3, v10, s7
	s_delay_alu instid0(VALU_DEP_1) | instskip(NEXT) | instid1(VALU_DEP_2)
	v_and_b32_e32 v15, 0xfc, v15
	v_cmp_eq_u64_e64 s7, 0, v[10:11]
	s_delay_alu instid0(VALU_DEP_2)
	v_and_or_b32 v10, v10, 3, v15
	s_and_b32 s7, s10, s7
	s_delay_alu instid0(VALU_DEP_1) | instid1(SALU_CYCLE_1)
	v_cndmask_b32_e64 v10, v10, 0, s7
	s_delay_alu instid0(VALU_DEP_1)
	v_or_b32_e32 v97, v10, v86
.LBB2_2155:                             ;   in Loop: Header=BB2_1853 Depth=2
	s_or_b32 exec_lo, exec_lo, s27
                                        ; implicit-def: $vgpr86
.LBB2_2156:                             ;   in Loop: Header=BB2_1853 Depth=2
	s_and_not1_saveexec_b32 s7, s26
; %bb.2157:                             ;   in Loop: Header=BB2_1853 Depth=2
	v_or_b32_e32 v97, 0x7b, v86
; %bb.2158:                             ;   in Loop: Header=BB2_1853 Depth=2
	s_or_b32 exec_lo, exec_lo, s7
                                        ; implicit-def: $vgpr10
                                        ; implicit-def: $vgpr11
.LBB2_2159:                             ;   in Loop: Header=BB2_1853 Depth=2
	s_and_not1_saveexec_b32 s10, s25
	s_cbranch_execz .LBB2_2165
; %bb.2160:                             ;   in Loop: Header=BB2_1853 Depth=2
	v_cmp_ne_u64_e64 s7, 0, v[38:39]
                                        ; implicit-def: $vgpr97
	s_and_saveexec_b32 s25, s7
	s_delay_alu instid0(SALU_CYCLE_1)
	s_xor_b32 s7, exec_lo, s25
; %bb.2161:                             ;   in Loop: Header=BB2_1853 Depth=2
	v_or_b32_e32 v97, 0x7f, v11
                                        ; implicit-def: $vgpr10
; %bb.2162:                             ;   in Loop: Header=BB2_1853 Depth=2
	s_and_not1_saveexec_b32 s25, s7
; %bb.2163:                             ;   in Loop: Header=BB2_1853 Depth=2
	v_cmp_lt_i32_e64 s7, -1, v10
	s_delay_alu instid0(VALU_DEP_1)
	v_cndmask_b32_e64 v97, 0xfc, v46, s7
; %bb.2164:                             ;   in Loop: Header=BB2_1853 Depth=2
	s_or_b32 exec_lo, exec_lo, s25
.LBB2_2165:                             ;   in Loop: Header=BB2_1853 Depth=2
	s_delay_alu instid0(SALU_CYCLE_1) | instskip(SKIP_3) | instid1(VALU_DEP_2)
	s_or_b32 exec_lo, exec_lo, s10
	v_lshrrev_b16 v38, 8, v16
	v_mov_b32_e32 v10, 0
	s_mov_b32 s10, exec_lo
	v_cmpx_ne_u16_e32 0, v38
	s_cbranch_execz .LBB2_2175
; %bb.2166:                             ;   in Loop: Header=BB2_1853 Depth=2
	v_bfrev_b32_e32 v10, 1
	s_mov_b32 s25, exec_lo
	v_cmpx_ne_u16_e32 0x80, v38
	s_cbranch_execz .LBB2_2174
; %bb.2167:                             ;   in Loop: Header=BB2_1853 Depth=2
	v_and_b32_e32 v14, 0xffff, v38
	s_delay_alu instid0(VALU_DEP_1) | instskip(SKIP_1) | instid1(VALU_DEP_2)
	v_and_b32_e32 v10, 0x7c, v14
	v_and_b32_e32 v11, 3, v14
	v_cmp_ne_u32_e64 s7, 0x7c, v10
                                        ; implicit-def: $vgpr10
	s_and_saveexec_b32 s26, s7
	s_delay_alu instid0(SALU_CYCLE_1)
	s_xor_b32 s26, exec_lo, s26
	s_cbranch_execz .LBB2_2171
; %bb.2168:                             ;   in Loop: Header=BB2_1853 Depth=2
	v_bfe_u32 v10, v14, 2, 5
	s_mov_b32 s27, exec_lo
	s_delay_alu instid0(VALU_DEP_1)
	v_cmpx_eq_u32_e32 0, v10
; %bb.2169:                             ;   in Loop: Header=BB2_1853 Depth=2
	v_clz_i32_u32_e32 v10, v11
	s_delay_alu instid0(VALU_DEP_1) | instskip(NEXT) | instid1(VALU_DEP_1)
	v_min_u32_e32 v10, 32, v10
	v_subrev_nc_u32_e32 v11, 29, v10
	v_sub_nc_u32_e32 v10, 30, v10
	s_delay_alu instid0(VALU_DEP_2) | instskip(NEXT) | instid1(VALU_DEP_1)
	v_lshlrev_b64_e32 v[14:15], v11, v[38:39]
	v_and_b32_e32 v11, 3, v14
; %bb.2170:                             ;   in Loop: Header=BB2_1853 Depth=2
	s_or_b32 exec_lo, exec_lo, s27
	v_lshlrev_b32_e32 v14, 16, v16
	s_delay_alu instid0(VALU_DEP_1) | instskip(NEXT) | instid1(VALU_DEP_1)
	v_and_b32_e32 v14, 0x80000000, v14
	v_lshl_add_u32 v10, v10, 23, v14
	s_delay_alu instid0(VALU_DEP_1) | instskip(NEXT) | instid1(VALU_DEP_1)
	v_lshl_or_b32 v10, v11, 21, v10
                                        ; implicit-def: $vgpr11
	v_add_nc_u32_e32 v10, 0x38000000, v10
.LBB2_2171:                             ;   in Loop: Header=BB2_1853 Depth=2
	s_and_not1_saveexec_b32 s26, s26
; %bb.2172:                             ;   in Loop: Header=BB2_1853 Depth=2
	v_cmp_lt_i16_e64 s7, -1, v16
	s_delay_alu instid0(VALU_DEP_1) | instskip(SKIP_1) | instid1(VALU_DEP_1)
	v_cndmask_b32_e64 v10, 0xff800000, v45, s7
	v_cmp_eq_u32_e64 s7, 0, v11
	v_cndmask_b32_e64 v10, 0x7f800001, v10, s7
; %bb.2173:                             ;   in Loop: Header=BB2_1853 Depth=2
	s_or_b32 exec_lo, exec_lo, s26
.LBB2_2174:                             ;   in Loop: Header=BB2_1853 Depth=2
	s_delay_alu instid0(SALU_CYCLE_1)
	s_or_b32 exec_lo, exec_lo, s25
.LBB2_2175:                             ;   in Loop: Header=BB2_1853 Depth=2
	s_delay_alu instid0(SALU_CYCLE_1) | instskip(SKIP_3) | instid1(VALU_DEP_1)
	s_or_b32 exec_lo, exec_lo, s10
	v_lshrrev_b16 v38, 8, v12
	s_mov_b32 s25, 0
	s_mov_b32 s10, exec_lo
	v_cmpx_lt_i16_e32 0x7f, v38
	s_xor_b32 s10, exec_lo, s10
	s_cbranch_execz .LBB2_2418
; %bb.2176:                             ;   in Loop: Header=BB2_1853 Depth=2
	s_mov_b32 s25, -1
	s_mov_b32 s26, exec_lo
	v_cmpx_eq_u16_e32 0x80, v38
; %bb.2177:                             ;   in Loop: Header=BB2_1853 Depth=2
	s_xor_b32 s25, exec_lo, -1
; %bb.2178:                             ;   in Loop: Header=BB2_1853 Depth=2
	s_or_b32 exec_lo, exec_lo, s26
	s_delay_alu instid0(SALU_CYCLE_1)
	s_and_b32 s25, s25, exec_lo
	s_or_saveexec_b32 s10, s10
	v_bfrev_b32_e32 v11, 1
	s_xor_b32 exec_lo, exec_lo, s10
	s_cbranch_execnz .LBB2_2419
.LBB2_2179:                             ;   in Loop: Header=BB2_1853 Depth=2
	s_or_b32 exec_lo, exec_lo, s10
	s_and_saveexec_b32 s10, s25
	s_cbranch_execz .LBB2_2181
.LBB2_2180:                             ;   in Loop: Header=BB2_1853 Depth=2
	v_and_b32_e32 v11, 0xffff, v38
	s_delay_alu instid0(VALU_DEP_1) | instskip(NEXT) | instid1(VALU_DEP_1)
	v_and_b32_e32 v86, 3, v11
	v_clz_i32_u32_e32 v14, v86
	s_delay_alu instid0(VALU_DEP_1) | instskip(NEXT) | instid1(VALU_DEP_1)
	v_min_u32_e32 v87, 32, v14
	v_subrev_nc_u32_e32 v14, 29, v87
	s_delay_alu instid0(VALU_DEP_1) | instskip(SKIP_4) | instid1(VALU_DEP_4)
	v_lshlrev_b64_e32 v[14:15], v14, v[38:39]
	v_lshlrev_b32_e32 v15, 24, v38
	v_bfe_u32 v38, v11, 2, 5
	v_sub_nc_u32_e32 v87, 30, v87
	v_and_b32_e32 v11, 0x7c, v11
	v_and_b32_e32 v15, 0x80000000, v15
	s_delay_alu instid0(VALU_DEP_4) | instskip(NEXT) | instid1(VALU_DEP_1)
	v_cmp_eq_u32_e64 s7, 0, v38
	v_dual_cndmask_b32 v38, v38, v87, s7 :: v_dual_bitop2_b32 v14, 3, v14 bitop3:0x40
	s_delay_alu instid0(VALU_DEP_1) | instskip(SKIP_1) | instid1(VALU_DEP_3)
	v_cndmask_b32_e64 v14, v86, v14, s7
	v_cmp_lt_i16_e64 s7, -1, v12
	v_lshl_add_u32 v15, v38, 23, v15
	s_delay_alu instid0(VALU_DEP_2) | instskip(SKIP_1) | instid1(VALU_DEP_3)
	v_cndmask_b32_e64 v38, 0xff800000, v45, s7
	v_cmp_eq_u32_e64 s7, 0, v86
	v_lshl_or_b32 v14, v14, 21, v15
	s_delay_alu instid0(VALU_DEP_2) | instskip(SKIP_1) | instid1(VALU_DEP_3)
	v_cndmask_b32_e64 v15, 0x7f800001, v38, s7
	v_cmp_eq_u32_e64 s7, 0x7c, v11
	v_add_nc_u32_e32 v14, 0x38000000, v14
	s_delay_alu instid0(VALU_DEP_1)
	v_cndmask_b32_e64 v11, v14, v15, s7
.LBB2_2181:                             ;   in Loop: Header=BB2_1853 Depth=2
	s_or_b32 exec_lo, exec_lo, s10
	s_delay_alu instid0(VALU_DEP_1) | instskip(SKIP_1) | instid1(VALU_DEP_1)
	v_dual_mul_f32 v10, v10, v11 :: v_dual_mov_b32 v15, v39
                                        ; implicit-def: $vgpr115
	s_mov_b32 s10, exec_lo
	v_and_b32_e32 v14, 0x7f800000, v10
	v_and_b32_e32 v38, 0x7fffff, v10
	v_lshrrev_b32_e32 v11, 24, v10
	s_delay_alu instid0(VALU_DEP_3)
	v_cmpx_ne_u64_e32 0x7f800000, v[14:15]
	s_xor_b32 s25, exec_lo, s10
	s_cbranch_execz .LBB2_2195
; %bb.2182:                             ;   in Loop: Header=BB2_1853 Depth=2
	v_and_b32_e32 v14, 0x7fffffff, v10
	v_mov_b32_e32 v15, v39
	v_and_b32_e32 v86, 0x80, v11
                                        ; implicit-def: $vgpr115
	s_mov_b32 s10, exec_lo
	s_delay_alu instid0(VALU_DEP_2)
	v_cmpx_gt_u64_e32 0x47600001, v[14:15]
	s_xor_b32 s26, exec_lo, s10
	s_cbranch_execz .LBB2_2192
; %bb.2183:                             ;   in Loop: Header=BB2_1853 Depth=2
	v_mov_b32_e32 v115, 0
	s_mov_b32 s27, exec_lo
	v_cmpx_ne_u32_e32 0, v10
	s_cbranch_execz .LBB2_2191
; %bb.2184:                             ;   in Loop: Header=BB2_1853 Depth=2
	v_bfe_u32 v87, v10, 23, 8
	v_or_b32_e32 v14, 0x800000, v38
	s_delay_alu instid0(VALU_DEP_2) | instskip(SKIP_1) | instid1(VALU_DEP_1)
	v_sub_nc_u32_e32 v10, 0x71, v87
	v_cmp_gt_u32_e64 s7, 0x72, v87
	v_cndmask_b32_e64 v10, 0, v10, s7
	v_cmp_eq_u32_e64 s7, 0, v87
	s_delay_alu instid0(VALU_DEP_1) | instskip(NEXT) | instid1(VALU_DEP_1)
	v_cndmask_b32_e64 v115, v10, 0x70, s7
	v_dual_cndmask_b32 v38, v14, v38, s7 :: v_dual_add_nc_u32 v10, 21, v115
	v_add_nc_u32_e32 v15, 20, v115
	s_delay_alu instid0(VALU_DEP_2) | instskip(NEXT) | instid1(VALU_DEP_2)
	v_lshlrev_b64_e64 v[10:11], v10, -1
	v_lshlrev_b64_e64 v[14:15], v15, 1
	s_delay_alu instid0(VALU_DEP_2) | instskip(NEXT) | instid1(VALU_DEP_3)
	v_bfi_b32 v117, v11, 0, 0
	v_bfi_b32 v116, v10, 0, v38
	v_lshrrev_b64 v[10:11], v115, v[38:39]
	s_delay_alu instid0(VALU_DEP_2) | instskip(NEXT) | instid1(VALU_DEP_2)
	v_cmp_eq_u64_e64 s10, v[116:117], v[14:15]
	v_mov_b64_e32 v[14:15], v[10:11]
	s_and_saveexec_b32 s28, s10
; %bb.2185:                             ;   in Loop: Header=BB2_1853 Depth=2
	v_bfe_u32 v38, v10, 21, 1
	s_delay_alu instid0(VALU_DEP_1) | instskip(NEXT) | instid1(VALU_DEP_1)
	v_add_nc_u64_e32 v[14:15], v[10:11], v[38:39]
	v_add_nc_u64_e32 v[14:15], -1, v[14:15]
; %bb.2186:                             ;   in Loop: Header=BB2_1853 Depth=2
	s_or_b32 exec_lo, exec_lo, s28
	v_add_nc_u32_e32 v11, 0xffffff81, v87
	v_lshrrev_b32_e32 v15, 23, v10
	s_mov_b32 s10, exec_lo
	s_delay_alu instid0(VALU_DEP_2) | instskip(NEXT) | instid1(VALU_DEP_1)
	v_cndmask_b32_e64 v11, v11, 0xffffff82, s7
	v_add3_u32 v15, v115, v11, v15
	v_and_b32_e32 v11, 0x1fffff, v14
                                        ; implicit-def: $vgpr14
	s_delay_alu instid0(VALU_DEP_1) | instskip(NEXT) | instid1(VALU_DEP_1)
	v_dual_add_nc_u32 v87, 14, v15 :: v_dual_add_nc_u32 v38, v11, v10
                                        ; implicit-def: $vgpr10_vgpr11
	v_cmpx_ne_u32_e32 0, v87
	s_xor_b32 s10, exec_lo, s10
; %bb.2187:                             ;   in Loop: Header=BB2_1853 Depth=2
	s_delay_alu instid0(VALU_DEP_2) | instskip(SKIP_1) | instid1(VALU_DEP_1)
	v_cmp_lt_u64_e64 s7, 0xffffff, v[38:39]
	v_add_nc_u32_e32 v10, 15, v15
	v_cndmask_b32_e64 v14, v87, v10, s7
	v_cndmask_b32_e64 v10, 0, 1, s7
	s_delay_alu instid0(VALU_DEP_1)
	v_lshrrev_b64 v[10:11], v10, v[38:39]
; %bb.2188:                             ;   in Loop: Header=BB2_1853 Depth=2
	s_and_not1_saveexec_b32 s7, s10
; %bb.2189:                             ;   in Loop: Header=BB2_1853 Depth=2
	v_mov_b64_e32 v[10:11], v[38:39]
	v_bfe_u32 v14, v38, 23, 1
; %bb.2190:                             ;   in Loop: Header=BB2_1853 Depth=2
	s_or_b32 exec_lo, exec_lo, s7
	s_delay_alu instid0(VALU_DEP_2) | instskip(NEXT) | instid1(VALU_DEP_2)
	v_lshrrev_b64 v[10:11], 21, v[10:11]
	v_cmp_gt_i32_e64 s7, 32, v14
	v_min_i32_e32 v15, 31, v14
	v_cmp_eq_u32_e64 s10, 0, v14
	s_delay_alu instid0(VALU_DEP_3) | instskip(NEXT) | instid1(VALU_DEP_3)
	v_cndmask_b32_e64 v11, 0, v11, s7
	v_dual_lshlrev_b32 v15, 2, v15 :: v_dual_cndmask_b32 v10, 3, v10, s7
	s_delay_alu instid0(VALU_DEP_1) | instskip(NEXT) | instid1(VALU_DEP_2)
	v_and_b32_e32 v15, 0xfc, v15
	v_cmp_eq_u64_e64 s7, 0, v[10:11]
	s_delay_alu instid0(VALU_DEP_2)
	v_and_or_b32 v10, v10, 3, v15
	s_and_b32 s7, s10, s7
	s_delay_alu instid0(VALU_DEP_1) | instid1(SALU_CYCLE_1)
	v_cndmask_b32_e64 v10, v10, 0, s7
	s_delay_alu instid0(VALU_DEP_1)
	v_or_b32_e32 v115, v10, v86
.LBB2_2191:                             ;   in Loop: Header=BB2_1853 Depth=2
	s_or_b32 exec_lo, exec_lo, s27
                                        ; implicit-def: $vgpr86
.LBB2_2192:                             ;   in Loop: Header=BB2_1853 Depth=2
	s_and_not1_saveexec_b32 s7, s26
; %bb.2193:                             ;   in Loop: Header=BB2_1853 Depth=2
	v_or_b32_e32 v115, 0x7b, v86
; %bb.2194:                             ;   in Loop: Header=BB2_1853 Depth=2
	s_or_b32 exec_lo, exec_lo, s7
                                        ; implicit-def: $vgpr10
                                        ; implicit-def: $vgpr11
.LBB2_2195:                             ;   in Loop: Header=BB2_1853 Depth=2
	s_and_not1_saveexec_b32 s10, s25
	s_cbranch_execz .LBB2_2201
; %bb.2196:                             ;   in Loop: Header=BB2_1853 Depth=2
	v_cmp_ne_u64_e64 s7, 0, v[38:39]
                                        ; implicit-def: $vgpr115
	s_and_saveexec_b32 s25, s7
	s_delay_alu instid0(SALU_CYCLE_1)
	s_xor_b32 s7, exec_lo, s25
; %bb.2197:                             ;   in Loop: Header=BB2_1853 Depth=2
	v_or_b32_e32 v115, 0x7f, v11
                                        ; implicit-def: $vgpr10
; %bb.2198:                             ;   in Loop: Header=BB2_1853 Depth=2
	s_and_not1_saveexec_b32 s25, s7
; %bb.2199:                             ;   in Loop: Header=BB2_1853 Depth=2
	v_cmp_lt_i32_e64 s7, -1, v10
	s_delay_alu instid0(VALU_DEP_1)
	v_cndmask_b32_e64 v115, 0xfc, v46, s7
; %bb.2200:                             ;   in Loop: Header=BB2_1853 Depth=2
	s_or_b32 exec_lo, exec_lo, s25
.LBB2_2201:                             ;   in Loop: Header=BB2_1853 Depth=2
	s_delay_alu instid0(SALU_CYCLE_1) | instskip(SKIP_2) | instid1(VALU_DEP_1)
	s_or_b32 exec_lo, exec_lo, s10
	v_dual_mov_b32 v11, 0 :: v_dual_lshrrev_b32 v10, 16, v16
	s_mov_b32 s10, exec_lo
	v_and_b32_e32 v14, 0xff, v10
	s_delay_alu instid0(VALU_DEP_1)
	v_cmpx_ne_u16_e32 0, v14
	s_cbranch_execz .LBB2_2211
; %bb.2202:                             ;   in Loop: Header=BB2_1853 Depth=2
	v_bfrev_b32_e32 v11, 1
	s_mov_b32 s25, exec_lo
	v_cmpx_ne_u16_e32 0x80, v14
	s_cbranch_execz .LBB2_2210
; %bb.2203:                             ;   in Loop: Header=BB2_1853 Depth=2
	v_and_b32_e32 v11, 0x7c0000, v16
	v_bfe_u32 v14, v16, 16, 2
	s_delay_alu instid0(VALU_DEP_2) | instskip(SKIP_1) | instid1(SALU_CYCLE_1)
	v_cmp_ne_u32_e64 s7, 0x7c0000, v11
                                        ; implicit-def: $vgpr11
	s_and_saveexec_b32 s26, s7
	s_xor_b32 s26, exec_lo, s26
	s_cbranch_execz .LBB2_2207
; %bb.2204:                             ;   in Loop: Header=BB2_1853 Depth=2
	v_bfe_u32 v11, v16, 18, 5
	s_mov_b32 s27, exec_lo
	s_delay_alu instid0(VALU_DEP_1)
	v_cmpx_eq_u32_e32 0, v11
; %bb.2205:                             ;   in Loop: Header=BB2_1853 Depth=2
	v_clz_i32_u32_e32 v11, v14
	s_delay_alu instid0(VALU_DEP_1) | instskip(NEXT) | instid1(VALU_DEP_1)
	v_min_u32_e32 v11, 32, v11
	v_subrev_nc_u32_e32 v14, 29, v11
	s_delay_alu instid0(VALU_DEP_1) | instskip(NEXT) | instid1(VALU_DEP_1)
	v_lshlrev_b64_e32 v[14:15], v14, v[10:11]
	v_dual_sub_nc_u32 v11, 30, v11 :: v_dual_bitop2_b32 v14, 3, v14 bitop3:0x40
; %bb.2206:                             ;   in Loop: Header=BB2_1853 Depth=2
	s_or_b32 exec_lo, exec_lo, s27
	v_lshlrev_b32_e32 v10, 24, v10
	s_delay_alu instid0(VALU_DEP_1) | instskip(NEXT) | instid1(VALU_DEP_1)
	v_and_b32_e32 v10, 0x80000000, v10
	v_lshl_add_u32 v10, v11, 23, v10
	s_delay_alu instid0(VALU_DEP_1) | instskip(NEXT) | instid1(VALU_DEP_1)
	v_lshl_or_b32 v10, v14, 21, v10
                                        ; implicit-def: $vgpr14
	v_add_nc_u32_e32 v11, 0x38000000, v10
                                        ; implicit-def: $vgpr10
.LBB2_2207:                             ;   in Loop: Header=BB2_1853 Depth=2
	s_and_not1_saveexec_b32 s26, s26
; %bb.2208:                             ;   in Loop: Header=BB2_1853 Depth=2
	v_bfe_i32 v10, v10, 0, 8
	s_delay_alu instid0(VALU_DEP_1) | instskip(NEXT) | instid1(VALU_DEP_1)
	v_cmp_lt_i16_e64 s7, -1, v10
	v_cndmask_b32_e64 v10, 0xff800000, v45, s7
	v_cmp_eq_u32_e64 s7, 0, v14
	s_delay_alu instid0(VALU_DEP_1)
	v_cndmask_b32_e64 v11, 0x7f800001, v10, s7
; %bb.2209:                             ;   in Loop: Header=BB2_1853 Depth=2
	s_or_b32 exec_lo, exec_lo, s26
.LBB2_2210:                             ;   in Loop: Header=BB2_1853 Depth=2
	s_delay_alu instid0(SALU_CYCLE_1)
	s_or_b32 exec_lo, exec_lo, s25
.LBB2_2211:                             ;   in Loop: Header=BB2_1853 Depth=2
	s_delay_alu instid0(SALU_CYCLE_1) | instskip(SKIP_3) | instid1(VALU_DEP_1)
	s_or_b32 exec_lo, exec_lo, s10
	v_lshrrev_b32_e32 v10, 16, v12
	s_mov_b32 s25, 0
	s_mov_b32 s10, exec_lo
	v_and_b32_e32 v15, 0xff, v10
	s_delay_alu instid0(VALU_DEP_1)
	v_cmpx_lt_i16_e32 0x7f, v15
	s_xor_b32 s10, exec_lo, s10
	s_cbranch_execz .LBB2_2420
; %bb.2212:                             ;   in Loop: Header=BB2_1853 Depth=2
	s_mov_b32 s25, -1
	s_mov_b32 s26, exec_lo
	v_cmpx_eq_u16_e32 0x80, v15
; %bb.2213:                             ;   in Loop: Header=BB2_1853 Depth=2
	s_xor_b32 s25, exec_lo, -1
; %bb.2214:                             ;   in Loop: Header=BB2_1853 Depth=2
	s_or_b32 exec_lo, exec_lo, s26
	s_delay_alu instid0(SALU_CYCLE_1)
	s_and_b32 s25, s25, exec_lo
                                        ; implicit-def: $vgpr15
	s_or_saveexec_b32 s10, s10
	v_bfrev_b32_e32 v14, 1
	s_xor_b32 exec_lo, exec_lo, s10
	s_cbranch_execnz .LBB2_2421
.LBB2_2215:                             ;   in Loop: Header=BB2_1853 Depth=2
	s_or_b32 exec_lo, exec_lo, s10
	s_and_saveexec_b32 s10, s25
	s_cbranch_execz .LBB2_2217
.LBB2_2216:                             ;   in Loop: Header=BB2_1853 Depth=2
	v_and_b32_e32 v38, 3, v10
	v_bfe_u32 v87, v12, 18, 5
	s_delay_alu instid0(VALU_DEP_2) | instskip(NEXT) | instid1(VALU_DEP_2)
	v_clz_i32_u32_e32 v14, v38
	v_cmp_eq_u32_e64 s7, 0, v87
	s_delay_alu instid0(VALU_DEP_2) | instskip(NEXT) | instid1(VALU_DEP_1)
	v_min_u32_e32 v86, 32, v14
	v_subrev_nc_u32_e32 v14, 29, v86
	v_sub_nc_u32_e32 v86, 30, v86
	s_delay_alu instid0(VALU_DEP_2) | instskip(SKIP_1) | instid1(VALU_DEP_3)
	v_lshlrev_b64_e32 v[14:15], v14, v[10:11]
	v_lshlrev_b32_e32 v15, 24, v10
	v_cndmask_b32_e64 v86, v87, v86, s7
	v_bfe_i32 v10, v10, 0, 8
	s_delay_alu instid0(VALU_DEP_3) | instskip(SKIP_1) | instid1(VALU_DEP_2)
	v_and_b32_e32 v15, 0x80000000, v15
	v_and_b32_e32 v14, 3, v14
	v_lshl_add_u32 v15, v86, 23, v15
	s_delay_alu instid0(VALU_DEP_2) | instskip(SKIP_1) | instid1(VALU_DEP_2)
	v_cndmask_b32_e64 v14, v38, v14, s7
	v_cmp_lt_i16_e64 s7, -1, v10
	v_lshl_or_b32 v14, v14, 21, v15
	s_delay_alu instid0(VALU_DEP_2) | instskip(SKIP_2) | instid1(VALU_DEP_4)
	v_cndmask_b32_e64 v10, 0xff800000, v45, s7
	v_and_b32_e32 v15, 0x7c0000, v12
	v_cmp_eq_u32_e64 s7, 0, v38
	v_add_nc_u32_e32 v14, 0x38000000, v14
	s_delay_alu instid0(VALU_DEP_2) | instskip(NEXT) | instid1(VALU_DEP_4)
	v_cndmask_b32_e64 v10, 0x7f800001, v10, s7
	v_cmp_eq_u32_e64 s7, 0x7c0000, v15
	s_delay_alu instid0(VALU_DEP_1)
	v_cndmask_b32_e64 v14, v14, v10, s7
.LBB2_2217:                             ;   in Loop: Header=BB2_1853 Depth=2
	s_or_b32 exec_lo, exec_lo, s10
	s_delay_alu instid0(VALU_DEP_1) | instskip(SKIP_2) | instid1(VALU_DEP_2)
	v_mul_f32_e32 v10, v11, v14
	v_mov_b32_e32 v15, v39
                                        ; implicit-def: $vgpr116
	s_mov_b32 s10, exec_lo
	v_and_b32_e32 v14, 0x7f800000, v10
	v_and_b32_e32 v38, 0x7fffff, v10
	v_lshrrev_b32_e32 v11, 24, v10
	s_delay_alu instid0(VALU_DEP_3)
	v_cmpx_ne_u64_e32 0x7f800000, v[14:15]
	s_xor_b32 s25, exec_lo, s10
	s_cbranch_execz .LBB2_2231
; %bb.2218:                             ;   in Loop: Header=BB2_1853 Depth=2
	v_and_b32_e32 v14, 0x7fffffff, v10
	v_mov_b32_e32 v15, v39
	v_and_b32_e32 v86, 0x80, v11
                                        ; implicit-def: $vgpr116
	s_mov_b32 s10, exec_lo
	s_delay_alu instid0(VALU_DEP_2)
	v_cmpx_gt_u64_e32 0x47600001, v[14:15]
	s_xor_b32 s26, exec_lo, s10
	s_cbranch_execz .LBB2_2228
; %bb.2219:                             ;   in Loop: Header=BB2_1853 Depth=2
	v_mov_b32_e32 v116, 0
	s_mov_b32 s27, exec_lo
	v_cmpx_ne_u32_e32 0, v10
	s_cbranch_execz .LBB2_2227
; %bb.2220:                             ;   in Loop: Header=BB2_1853 Depth=2
	v_bfe_u32 v87, v10, 23, 8
	v_or_b32_e32 v14, 0x800000, v38
	s_delay_alu instid0(VALU_DEP_2) | instskip(SKIP_1) | instid1(VALU_DEP_1)
	v_sub_nc_u32_e32 v10, 0x71, v87
	v_cmp_gt_u32_e64 s7, 0x72, v87
	v_cndmask_b32_e64 v10, 0, v10, s7
	v_cmp_eq_u32_e64 s7, 0, v87
	s_delay_alu instid0(VALU_DEP_1) | instskip(NEXT) | instid1(VALU_DEP_1)
	v_cndmask_b32_e64 v116, v10, 0x70, s7
	v_dual_cndmask_b32 v38, v14, v38, s7 :: v_dual_add_nc_u32 v10, 21, v116
	v_add_nc_u32_e32 v15, 20, v116
	s_delay_alu instid0(VALU_DEP_2) | instskip(NEXT) | instid1(VALU_DEP_2)
	v_lshlrev_b64_e64 v[10:11], v10, -1
	v_lshlrev_b64_e64 v[14:15], v15, 1
	s_delay_alu instid0(VALU_DEP_2) | instskip(NEXT) | instid1(VALU_DEP_3)
	v_bfi_b32 v119, v11, 0, 0
	v_bfi_b32 v118, v10, 0, v38
	v_lshrrev_b64 v[10:11], v116, v[38:39]
	s_delay_alu instid0(VALU_DEP_2) | instskip(NEXT) | instid1(VALU_DEP_2)
	v_cmp_eq_u64_e64 s10, v[118:119], v[14:15]
	v_mov_b64_e32 v[14:15], v[10:11]
	s_and_saveexec_b32 s28, s10
; %bb.2221:                             ;   in Loop: Header=BB2_1853 Depth=2
	v_bfe_u32 v38, v10, 21, 1
	s_delay_alu instid0(VALU_DEP_1) | instskip(NEXT) | instid1(VALU_DEP_1)
	v_add_nc_u64_e32 v[14:15], v[10:11], v[38:39]
	v_add_nc_u64_e32 v[14:15], -1, v[14:15]
; %bb.2222:                             ;   in Loop: Header=BB2_1853 Depth=2
	s_or_b32 exec_lo, exec_lo, s28
	v_add_nc_u32_e32 v11, 0xffffff81, v87
	v_lshrrev_b32_e32 v15, 23, v10
	s_mov_b32 s10, exec_lo
	s_delay_alu instid0(VALU_DEP_2) | instskip(NEXT) | instid1(VALU_DEP_1)
	v_cndmask_b32_e64 v11, v11, 0xffffff82, s7
	v_add3_u32 v15, v116, v11, v15
	v_and_b32_e32 v11, 0x1fffff, v14
                                        ; implicit-def: $vgpr14
	s_delay_alu instid0(VALU_DEP_1) | instskip(NEXT) | instid1(VALU_DEP_1)
	v_dual_add_nc_u32 v87, 14, v15 :: v_dual_add_nc_u32 v38, v11, v10
                                        ; implicit-def: $vgpr10_vgpr11
	v_cmpx_ne_u32_e32 0, v87
	s_xor_b32 s10, exec_lo, s10
; %bb.2223:                             ;   in Loop: Header=BB2_1853 Depth=2
	s_delay_alu instid0(VALU_DEP_2) | instskip(SKIP_1) | instid1(VALU_DEP_1)
	v_cmp_lt_u64_e64 s7, 0xffffff, v[38:39]
	v_add_nc_u32_e32 v10, 15, v15
	v_cndmask_b32_e64 v14, v87, v10, s7
	v_cndmask_b32_e64 v10, 0, 1, s7
	s_delay_alu instid0(VALU_DEP_1)
	v_lshrrev_b64 v[10:11], v10, v[38:39]
; %bb.2224:                             ;   in Loop: Header=BB2_1853 Depth=2
	s_and_not1_saveexec_b32 s7, s10
; %bb.2225:                             ;   in Loop: Header=BB2_1853 Depth=2
	v_mov_b64_e32 v[10:11], v[38:39]
	v_bfe_u32 v14, v38, 23, 1
; %bb.2226:                             ;   in Loop: Header=BB2_1853 Depth=2
	s_or_b32 exec_lo, exec_lo, s7
	s_delay_alu instid0(VALU_DEP_2) | instskip(NEXT) | instid1(VALU_DEP_2)
	v_lshrrev_b64 v[10:11], 21, v[10:11]
	v_cmp_gt_i32_e64 s7, 32, v14
	v_min_i32_e32 v15, 31, v14
	v_cmp_eq_u32_e64 s10, 0, v14
	s_delay_alu instid0(VALU_DEP_3) | instskip(NEXT) | instid1(VALU_DEP_3)
	v_cndmask_b32_e64 v11, 0, v11, s7
	v_dual_lshlrev_b32 v15, 2, v15 :: v_dual_cndmask_b32 v10, 3, v10, s7
	s_delay_alu instid0(VALU_DEP_1) | instskip(NEXT) | instid1(VALU_DEP_2)
	v_and_b32_e32 v15, 0xfc, v15
	v_cmp_eq_u64_e64 s7, 0, v[10:11]
	s_delay_alu instid0(VALU_DEP_2)
	v_and_or_b32 v10, v10, 3, v15
	s_and_b32 s7, s10, s7
	s_delay_alu instid0(VALU_DEP_1) | instid1(SALU_CYCLE_1)
	v_cndmask_b32_e64 v10, v10, 0, s7
	s_delay_alu instid0(VALU_DEP_1)
	v_or_b32_e32 v116, v10, v86
.LBB2_2227:                             ;   in Loop: Header=BB2_1853 Depth=2
	s_or_b32 exec_lo, exec_lo, s27
                                        ; implicit-def: $vgpr86
.LBB2_2228:                             ;   in Loop: Header=BB2_1853 Depth=2
	s_and_not1_saveexec_b32 s7, s26
; %bb.2229:                             ;   in Loop: Header=BB2_1853 Depth=2
	v_or_b32_e32 v116, 0x7b, v86
; %bb.2230:                             ;   in Loop: Header=BB2_1853 Depth=2
	s_or_b32 exec_lo, exec_lo, s7
                                        ; implicit-def: $vgpr10
                                        ; implicit-def: $vgpr11
.LBB2_2231:                             ;   in Loop: Header=BB2_1853 Depth=2
	s_and_not1_saveexec_b32 s10, s25
	s_cbranch_execz .LBB2_2237
; %bb.2232:                             ;   in Loop: Header=BB2_1853 Depth=2
	v_cmp_ne_u64_e64 s7, 0, v[38:39]
                                        ; implicit-def: $vgpr116
	s_and_saveexec_b32 s25, s7
	s_delay_alu instid0(SALU_CYCLE_1)
	s_xor_b32 s7, exec_lo, s25
; %bb.2233:                             ;   in Loop: Header=BB2_1853 Depth=2
	v_or_b32_e32 v116, 0x7f, v11
                                        ; implicit-def: $vgpr10
; %bb.2234:                             ;   in Loop: Header=BB2_1853 Depth=2
	s_and_not1_saveexec_b32 s25, s7
; %bb.2235:                             ;   in Loop: Header=BB2_1853 Depth=2
	v_cmp_lt_i32_e64 s7, -1, v10
	s_delay_alu instid0(VALU_DEP_1)
	v_cndmask_b32_e64 v116, 0xfc, v46, s7
; %bb.2236:                             ;   in Loop: Header=BB2_1853 Depth=2
	s_or_b32 exec_lo, exec_lo, s25
.LBB2_2237:                             ;   in Loop: Header=BB2_1853 Depth=2
	s_delay_alu instid0(SALU_CYCLE_1)
	s_or_b32 exec_lo, exec_lo, s10
	v_mov_b32_e32 v11, 0
	s_mov_b32 s10, exec_lo
	v_cmpx_lt_u32_e32 0xffffff, v16
	s_cbranch_execz .LBB2_2247
; %bb.2238:                             ;   in Loop: Header=BB2_1853 Depth=2
	v_lshrrev_b32_e32 v10, 24, v16
	v_bfrev_b32_e32 v11, 1
	s_mov_b32 s25, exec_lo
	s_delay_alu instid0(VALU_DEP_2)
	v_cmpx_ne_u32_e32 0x80, v10
	s_cbranch_execz .LBB2_2246
; %bb.2239:                             ;   in Loop: Header=BB2_1853 Depth=2
	v_and_b32_e32 v11, 0x7c000000, v16
	v_bfe_u32 v14, v16, 24, 2
	s_delay_alu instid0(VALU_DEP_2) | instskip(SKIP_1) | instid1(SALU_CYCLE_1)
	v_cmp_ne_u32_e64 s7, 0x7c000000, v11
                                        ; implicit-def: $vgpr11
	s_and_saveexec_b32 s26, s7
	s_xor_b32 s26, exec_lo, s26
	s_cbranch_execz .LBB2_2243
; %bb.2240:                             ;   in Loop: Header=BB2_1853 Depth=2
	v_bfe_u32 v11, v16, 26, 5
	s_mov_b32 s27, exec_lo
	s_delay_alu instid0(VALU_DEP_1)
	v_cmpx_eq_u32_e32 0, v11
; %bb.2241:                             ;   in Loop: Header=BB2_1853 Depth=2
	v_clz_i32_u32_e32 v11, v14
	s_delay_alu instid0(VALU_DEP_1) | instskip(NEXT) | instid1(VALU_DEP_1)
	v_min_u32_e32 v14, 32, v11
	v_subrev_nc_u32_e32 v11, 29, v14
	s_delay_alu instid0(VALU_DEP_1) | instskip(SKIP_1) | instid1(VALU_DEP_2)
	v_lshlrev_b64_e32 v[10:11], v11, v[10:11]
	v_sub_nc_u32_e32 v11, 30, v14
	v_and_b32_e32 v14, 3, v10
; %bb.2242:                             ;   in Loop: Header=BB2_1853 Depth=2
	s_or_b32 exec_lo, exec_lo, s27
	v_and_b32_e32 v10, 0x80000000, v16
	s_delay_alu instid0(VALU_DEP_1) | instskip(NEXT) | instid1(VALU_DEP_1)
	v_lshl_add_u32 v10, v11, 23, v10
	v_lshl_or_b32 v10, v14, 21, v10
                                        ; implicit-def: $vgpr14
	s_delay_alu instid0(VALU_DEP_1)
	v_add_nc_u32_e32 v11, 0x38000000, v10
.LBB2_2243:                             ;   in Loop: Header=BB2_1853 Depth=2
	s_and_not1_saveexec_b32 s26, s26
; %bb.2244:                             ;   in Loop: Header=BB2_1853 Depth=2
	v_cmp_lt_i32_e64 s7, -1, v16
	s_delay_alu instid0(VALU_DEP_1) | instskip(SKIP_1) | instid1(VALU_DEP_1)
	v_cndmask_b32_e64 v10, 0xff800000, v45, s7
	v_cmp_eq_u32_e64 s7, 0, v14
	v_cndmask_b32_e64 v11, 0x7f800001, v10, s7
; %bb.2245:                             ;   in Loop: Header=BB2_1853 Depth=2
	s_or_b32 exec_lo, exec_lo, s26
.LBB2_2246:                             ;   in Loop: Header=BB2_1853 Depth=2
	s_delay_alu instid0(SALU_CYCLE_1)
	s_or_b32 exec_lo, exec_lo, s25
.LBB2_2247:                             ;   in Loop: Header=BB2_1853 Depth=2
	s_delay_alu instid0(SALU_CYCLE_1) | instskip(SKIP_3) | instid1(VALU_DEP_2)
	s_or_b32 exec_lo, exec_lo, s10
	v_bfe_u32 v38, v12, 24, 2
	v_bfe_u32 v87, v12, 26, 5
                                        ; implicit-def: $vgpr117
	s_mov_b32 s10, exec_lo
	v_clz_i32_u32_e32 v10, v38
	s_delay_alu instid0(VALU_DEP_2) | instskip(NEXT) | instid1(VALU_DEP_2)
	v_cmp_eq_u32_e64 s7, 0, v87
	v_min_u32_e32 v86, 32, v10
	v_lshrrev_b32_e32 v10, 24, v12
	s_delay_alu instid0(VALU_DEP_2) | instskip(NEXT) | instid1(VALU_DEP_1)
	v_subrev_nc_u32_e32 v14, 29, v86
	v_lshlrev_b64_e32 v[14:15], v14, v[10:11]
	v_sub_nc_u32_e32 v15, 30, v86
	v_and_b32_e32 v86, 0x80000000, v12
	s_delay_alu instid0(VALU_DEP_2) | instskip(NEXT) | instid1(VALU_DEP_1)
	v_dual_cndmask_b32 v15, v87, v15, s7 :: v_dual_bitop2_b32 v14, 3, v14 bitop3:0x40
	v_lshl_add_u32 v15, v15, 23, v86
	s_delay_alu instid0(VALU_DEP_2) | instskip(SKIP_1) | instid1(VALU_DEP_2)
	v_cndmask_b32_e64 v14, v38, v14, s7
	v_cmp_lt_i32_e64 s7, -1, v12
	v_lshl_or_b32 v14, v14, 21, v15
	s_delay_alu instid0(VALU_DEP_2) | instskip(SKIP_2) | instid1(VALU_DEP_4)
	v_cndmask_b32_e64 v86, 0xff800000, v45, s7
	v_and_b32_e32 v15, 0x7c000000, v12
	v_cmp_eq_u32_e64 s7, 0, v38
	v_add_nc_u32_e32 v14, 0x38000000, v14
	s_delay_alu instid0(VALU_DEP_2) | instskip(NEXT) | instid1(VALU_DEP_4)
	v_cndmask_b32_e64 v38, 0x7f800001, v86, s7
	v_cmp_eq_u32_e64 s7, 0x7c000000, v15
	s_delay_alu instid0(VALU_DEP_1) | instskip(SKIP_1) | instid1(VALU_DEP_1)
	v_dual_mov_b32 v15, v39 :: v_dual_cndmask_b32 v14, v14, v38, s7
	v_cmp_ne_u32_e64 s7, 0x80, v10
	v_cndmask_b32_e64 v10, 0x80000000, v14, s7
	v_cmp_lt_u32_e64 s7, 0xffffff, v12
	s_delay_alu instid0(VALU_DEP_1) | instskip(NEXT) | instid1(VALU_DEP_1)
	v_cndmask_b32_e64 v10, 0, v10, s7
	v_mul_f32_e32 v10, v10, v11
	s_delay_alu instid0(VALU_DEP_1) | instskip(SKIP_2) | instid1(VALU_DEP_3)
	v_and_b32_e32 v14, 0x7f800000, v10
	v_and_b32_e32 v38, 0x7fffff, v10
	v_lshrrev_b32_e32 v11, 24, v10
	v_cmpx_ne_u64_e32 0x7f800000, v[14:15]
	s_xor_b32 s25, exec_lo, s10
	s_cbranch_execz .LBB2_2261
; %bb.2248:                             ;   in Loop: Header=BB2_1853 Depth=2
	v_and_b32_e32 v14, 0x7fffffff, v10
	v_mov_b32_e32 v15, v39
	v_and_b32_e32 v86, 0x80, v11
                                        ; implicit-def: $vgpr117
	s_mov_b32 s10, exec_lo
	s_delay_alu instid0(VALU_DEP_2)
	v_cmpx_gt_u64_e32 0x47600001, v[14:15]
	s_xor_b32 s26, exec_lo, s10
	s_cbranch_execz .LBB2_2258
; %bb.2249:                             ;   in Loop: Header=BB2_1853 Depth=2
	v_mov_b32_e32 v117, 0
	s_mov_b32 s27, exec_lo
	v_cmpx_ne_u32_e32 0, v10
	s_cbranch_execz .LBB2_2257
; %bb.2250:                             ;   in Loop: Header=BB2_1853 Depth=2
	v_bfe_u32 v87, v10, 23, 8
	v_or_b32_e32 v14, 0x800000, v38
	s_delay_alu instid0(VALU_DEP_2) | instskip(SKIP_1) | instid1(VALU_DEP_1)
	v_sub_nc_u32_e32 v10, 0x71, v87
	v_cmp_gt_u32_e64 s7, 0x72, v87
	v_cndmask_b32_e64 v10, 0, v10, s7
	v_cmp_eq_u32_e64 s7, 0, v87
	s_delay_alu instid0(VALU_DEP_1) | instskip(NEXT) | instid1(VALU_DEP_1)
	v_cndmask_b32_e64 v117, v10, 0x70, s7
	v_dual_cndmask_b32 v38, v14, v38, s7 :: v_dual_add_nc_u32 v10, 21, v117
	v_add_nc_u32_e32 v15, 20, v117
	s_delay_alu instid0(VALU_DEP_2) | instskip(NEXT) | instid1(VALU_DEP_2)
	v_lshlrev_b64_e64 v[10:11], v10, -1
	v_lshlrev_b64_e64 v[14:15], v15, 1
	s_delay_alu instid0(VALU_DEP_2) | instskip(NEXT) | instid1(VALU_DEP_3)
	v_bfi_b32 v119, v11, 0, 0
	v_bfi_b32 v118, v10, 0, v38
	v_lshrrev_b64 v[10:11], v117, v[38:39]
	s_delay_alu instid0(VALU_DEP_2) | instskip(NEXT) | instid1(VALU_DEP_2)
	v_cmp_eq_u64_e64 s10, v[118:119], v[14:15]
	v_mov_b64_e32 v[14:15], v[10:11]
	s_and_saveexec_b32 s28, s10
; %bb.2251:                             ;   in Loop: Header=BB2_1853 Depth=2
	v_bfe_u32 v38, v10, 21, 1
	s_delay_alu instid0(VALU_DEP_1) | instskip(NEXT) | instid1(VALU_DEP_1)
	v_add_nc_u64_e32 v[14:15], v[10:11], v[38:39]
	v_add_nc_u64_e32 v[14:15], -1, v[14:15]
; %bb.2252:                             ;   in Loop: Header=BB2_1853 Depth=2
	s_or_b32 exec_lo, exec_lo, s28
	v_add_nc_u32_e32 v11, 0xffffff81, v87
	v_lshrrev_b32_e32 v15, 23, v10
	s_mov_b32 s10, exec_lo
	s_delay_alu instid0(VALU_DEP_2) | instskip(NEXT) | instid1(VALU_DEP_1)
	v_cndmask_b32_e64 v11, v11, 0xffffff82, s7
	v_add3_u32 v15, v117, v11, v15
	v_and_b32_e32 v11, 0x1fffff, v14
                                        ; implicit-def: $vgpr14
	s_delay_alu instid0(VALU_DEP_1) | instskip(NEXT) | instid1(VALU_DEP_1)
	v_dual_add_nc_u32 v87, 14, v15 :: v_dual_add_nc_u32 v38, v11, v10
                                        ; implicit-def: $vgpr10_vgpr11
	v_cmpx_ne_u32_e32 0, v87
	s_xor_b32 s10, exec_lo, s10
; %bb.2253:                             ;   in Loop: Header=BB2_1853 Depth=2
	s_delay_alu instid0(VALU_DEP_2) | instskip(SKIP_1) | instid1(VALU_DEP_1)
	v_cmp_lt_u64_e64 s7, 0xffffff, v[38:39]
	v_add_nc_u32_e32 v10, 15, v15
	v_cndmask_b32_e64 v14, v87, v10, s7
	v_cndmask_b32_e64 v10, 0, 1, s7
	s_delay_alu instid0(VALU_DEP_1)
	v_lshrrev_b64 v[10:11], v10, v[38:39]
; %bb.2254:                             ;   in Loop: Header=BB2_1853 Depth=2
	s_and_not1_saveexec_b32 s7, s10
; %bb.2255:                             ;   in Loop: Header=BB2_1853 Depth=2
	v_mov_b64_e32 v[10:11], v[38:39]
	v_bfe_u32 v14, v38, 23, 1
; %bb.2256:                             ;   in Loop: Header=BB2_1853 Depth=2
	s_or_b32 exec_lo, exec_lo, s7
	s_delay_alu instid0(VALU_DEP_2) | instskip(NEXT) | instid1(VALU_DEP_2)
	v_lshrrev_b64 v[10:11], 21, v[10:11]
	v_cmp_gt_i32_e64 s7, 32, v14
	v_min_i32_e32 v15, 31, v14
	v_cmp_eq_u32_e64 s10, 0, v14
	s_delay_alu instid0(VALU_DEP_3) | instskip(NEXT) | instid1(VALU_DEP_3)
	v_cndmask_b32_e64 v11, 0, v11, s7
	v_dual_lshlrev_b32 v15, 2, v15 :: v_dual_cndmask_b32 v10, 3, v10, s7
	s_delay_alu instid0(VALU_DEP_1) | instskip(NEXT) | instid1(VALU_DEP_2)
	v_and_b32_e32 v15, 0xfc, v15
	v_cmp_eq_u64_e64 s7, 0, v[10:11]
	s_delay_alu instid0(VALU_DEP_2)
	v_and_or_b32 v10, v10, 3, v15
	s_and_b32 s7, s10, s7
	s_delay_alu instid0(VALU_DEP_1) | instid1(SALU_CYCLE_1)
	v_cndmask_b32_e64 v10, v10, 0, s7
	s_delay_alu instid0(VALU_DEP_1)
	v_or_b32_e32 v117, v10, v86
.LBB2_2257:                             ;   in Loop: Header=BB2_1853 Depth=2
	s_or_b32 exec_lo, exec_lo, s27
                                        ; implicit-def: $vgpr86
.LBB2_2258:                             ;   in Loop: Header=BB2_1853 Depth=2
	s_and_not1_saveexec_b32 s7, s26
; %bb.2259:                             ;   in Loop: Header=BB2_1853 Depth=2
	v_or_b32_e32 v117, 0x7b, v86
; %bb.2260:                             ;   in Loop: Header=BB2_1853 Depth=2
	s_or_b32 exec_lo, exec_lo, s7
                                        ; implicit-def: $vgpr10
                                        ; implicit-def: $vgpr11
.LBB2_2261:                             ;   in Loop: Header=BB2_1853 Depth=2
	s_and_not1_saveexec_b32 s10, s25
	s_cbranch_execz .LBB2_2267
; %bb.2262:                             ;   in Loop: Header=BB2_1853 Depth=2
	v_cmp_ne_u64_e64 s7, 0, v[38:39]
                                        ; implicit-def: $vgpr117
	s_and_saveexec_b32 s25, s7
	s_delay_alu instid0(SALU_CYCLE_1)
	s_xor_b32 s7, exec_lo, s25
; %bb.2263:                             ;   in Loop: Header=BB2_1853 Depth=2
	v_or_b32_e32 v117, 0x7f, v11
                                        ; implicit-def: $vgpr10
; %bb.2264:                             ;   in Loop: Header=BB2_1853 Depth=2
	s_and_not1_saveexec_b32 s25, s7
; %bb.2265:                             ;   in Loop: Header=BB2_1853 Depth=2
	v_cmp_lt_i32_e64 s7, -1, v10
	s_delay_alu instid0(VALU_DEP_1)
	v_cndmask_b32_e64 v117, 0xfc, v46, s7
; %bb.2266:                             ;   in Loop: Header=BB2_1853 Depth=2
	s_or_b32 exec_lo, exec_lo, s25
.LBB2_2267:                             ;   in Loop: Header=BB2_1853 Depth=2
	s_delay_alu instid0(SALU_CYCLE_1) | instskip(SKIP_3) | instid1(VALU_DEP_2)
	s_or_b32 exec_lo, exec_lo, s10
	v_and_b32_e32 v10, 0xff, v17
	v_dual_mov_b32 v38, v17 :: v_dual_mov_b32 v14, 0
	s_mov_b32 s10, exec_lo
	v_cmpx_ne_u16_e32 0, v10
	s_cbranch_execz .LBB2_2277
; %bb.2268:                             ;   in Loop: Header=BB2_1853 Depth=2
	v_bfrev_b32_e32 v14, 1
	s_mov_b32 s25, exec_lo
	v_cmpx_ne_u16_e32 0x80, v10
	s_cbranch_execz .LBB2_2276
; %bb.2269:                             ;   in Loop: Header=BB2_1853 Depth=2
	v_and_b32_e32 v11, 0x7c, v17
	v_and_b32_e32 v10, 3, v17
	s_mov_b32 s26, exec_lo
                                        ; implicit-def: $vgpr14
	s_delay_alu instid0(VALU_DEP_2)
	v_cmpx_ne_u32_e32 0x7c, v11
	s_xor_b32 s26, exec_lo, s26
	s_cbranch_execz .LBB2_2273
; %bb.2270:                             ;   in Loop: Header=BB2_1853 Depth=2
	v_bfe_u32 v11, v17, 2, 5
	s_mov_b32 s27, exec_lo
	s_delay_alu instid0(VALU_DEP_1)
	v_cmpx_eq_u32_e32 0, v11
; %bb.2271:                             ;   in Loop: Header=BB2_1853 Depth=2
	v_clz_i32_u32_e32 v10, v10
	s_delay_alu instid0(VALU_DEP_1) | instskip(NEXT) | instid1(VALU_DEP_1)
	v_min_u32_e32 v14, 32, v10
	v_subrev_nc_u32_e32 v10, 29, v14
	s_delay_alu instid0(VALU_DEP_1) | instskip(SKIP_1) | instid1(VALU_DEP_2)
	v_lshlrev_b64_e32 v[10:11], v10, v[38:39]
	v_sub_nc_u32_e32 v11, 30, v14
	v_and_b32_e32 v10, 3, v10
; %bb.2272:                             ;   in Loop: Header=BB2_1853 Depth=2
	s_or_b32 exec_lo, exec_lo, s27
	v_lshlrev_b32_e32 v14, 24, v17
	s_delay_alu instid0(VALU_DEP_1) | instskip(NEXT) | instid1(VALU_DEP_1)
	v_and_b32_e32 v14, 0x80000000, v14
	v_lshl_add_u32 v11, v11, 23, v14
	s_delay_alu instid0(VALU_DEP_1) | instskip(NEXT) | instid1(VALU_DEP_1)
	v_lshl_or_b32 v10, v10, 21, v11
	v_add_nc_u32_e32 v14, 0x38000000, v10
                                        ; implicit-def: $vgpr10
.LBB2_2273:                             ;   in Loop: Header=BB2_1853 Depth=2
	s_and_not1_saveexec_b32 s26, s26
; %bb.2274:                             ;   in Loop: Header=BB2_1853 Depth=2
	v_bfe_i32 v11, v17, 0, 8
	s_delay_alu instid0(VALU_DEP_1) | instskip(NEXT) | instid1(VALU_DEP_1)
	v_cmp_lt_i16_e64 s7, -1, v11
	v_cndmask_b32_e64 v11, 0xff800000, v45, s7
	v_cmp_eq_u32_e64 s7, 0, v10
	s_delay_alu instid0(VALU_DEP_1)
	v_cndmask_b32_e64 v14, 0x7f800001, v11, s7
; %bb.2275:                             ;   in Loop: Header=BB2_1853 Depth=2
	s_or_b32 exec_lo, exec_lo, s26
.LBB2_2276:                             ;   in Loop: Header=BB2_1853 Depth=2
	s_delay_alu instid0(SALU_CYCLE_1)
	s_or_b32 exec_lo, exec_lo, s25
.LBB2_2277:                             ;   in Loop: Header=BB2_1853 Depth=2
	s_delay_alu instid0(SALU_CYCLE_1) | instskip(SKIP_4) | instid1(VALU_DEP_2)
	s_or_b32 exec_lo, exec_lo, s10
	v_and_b32_e32 v11, 0xff, v13
	v_mov_b32_e32 v10, v13
	s_mov_b32 s25, 0
	s_mov_b32 s10, exec_lo
	v_cmpx_lt_i16_e32 0x7f, v11
	s_xor_b32 s10, exec_lo, s10
	s_cbranch_execz .LBB2_2422
; %bb.2278:                             ;   in Loop: Header=BB2_1853 Depth=2
	s_mov_b32 s25, -1
	s_mov_b32 s26, exec_lo
	v_cmpx_eq_u16_e32 0x80, v11
; %bb.2279:                             ;   in Loop: Header=BB2_1853 Depth=2
	s_xor_b32 s25, exec_lo, -1
; %bb.2280:                             ;   in Loop: Header=BB2_1853 Depth=2
	s_or_b32 exec_lo, exec_lo, s26
	s_delay_alu instid0(SALU_CYCLE_1)
	s_and_b32 s25, s25, exec_lo
                                        ; implicit-def: $vgpr11
	s_or_saveexec_b32 s10, s10
	v_bfrev_b32_e32 v15, 1
	s_xor_b32 exec_lo, exec_lo, s10
	s_cbranch_execnz .LBB2_2423
.LBB2_2281:                             ;   in Loop: Header=BB2_1853 Depth=2
	s_or_b32 exec_lo, exec_lo, s10
	v_mov_b32_e32 v11, v39
	s_and_saveexec_b32 s10, s25
	s_cbranch_execz .LBB2_2283
.LBB2_2282:                             ;   in Loop: Header=BB2_1853 Depth=2
	v_and_b32_e32 v15, 3, v13
	s_delay_alu instid0(VALU_DEP_1) | instskip(NEXT) | instid1(VALU_DEP_1)
	v_clz_i32_u32_e32 v86, v15
	v_min_u32_e32 v118, 32, v86
	s_delay_alu instid0(VALU_DEP_1) | instskip(SKIP_1) | instid1(VALU_DEP_2)
	v_subrev_nc_u32_e32 v86, 29, v118
	v_sub_nc_u32_e32 v118, 30, v118
	v_lshlrev_b64_e32 v[86:87], v86, v[10:11]
	v_bfe_u32 v87, v13, 2, 5
	v_lshlrev_b32_e32 v11, 24, v13
	s_delay_alu instid0(VALU_DEP_2) | instskip(NEXT) | instid1(VALU_DEP_2)
	v_cmp_eq_u32_e64 s7, 0, v87
	v_and_b32_e32 v11, 0x80000000, v11
	v_and_b32_e32 v86, 3, v86
	s_delay_alu instid0(VALU_DEP_3) | instskip(SKIP_1) | instid1(VALU_DEP_3)
	v_cndmask_b32_e64 v87, v87, v118, s7
	v_bfe_i32 v118, v13, 0, 8
	v_cndmask_b32_e64 v86, v15, v86, s7
	s_delay_alu instid0(VALU_DEP_3) | instskip(NEXT) | instid1(VALU_DEP_3)
	v_lshl_add_u32 v11, v87, 23, v11
	v_cmp_lt_i16_e64 s7, -1, v118
	s_delay_alu instid0(VALU_DEP_2) | instskip(NEXT) | instid1(VALU_DEP_2)
	v_lshl_or_b32 v11, v86, 21, v11
	v_cndmask_b32_e64 v87, 0xff800000, v45, s7
	v_and_b32_e32 v86, 0x7c, v13
	v_cmp_eq_u32_e64 s7, 0, v15
	s_delay_alu instid0(VALU_DEP_4) | instskip(NEXT) | instid1(VALU_DEP_2)
	v_add_nc_u32_e32 v11, 0x38000000, v11
	v_cndmask_b32_e64 v15, 0x7f800001, v87, s7
	s_delay_alu instid0(VALU_DEP_4) | instskip(NEXT) | instid1(VALU_DEP_1)
	v_cmp_eq_u32_e64 s7, 0x7c, v86
	v_cndmask_b32_e64 v15, v11, v15, s7
.LBB2_2283:                             ;   in Loop: Header=BB2_1853 Depth=2
	s_or_b32 exec_lo, exec_lo, s10
	s_delay_alu instid0(VALU_DEP_1) | instskip(SKIP_2) | instid1(VALU_DEP_2)
	v_dual_mul_f32 v87, v14, v15 :: v_dual_mov_b32 v119, v39
	v_mov_b32_e32 v15, v39
                                        ; implicit-def: $vgpr86
	s_mov_b32 s10, exec_lo
	v_and_b32_e32 v118, 0x7f800000, v87
	v_and_b32_e32 v14, 0x7fffff, v87
	v_lshrrev_b32_e32 v11, 24, v87
	s_delay_alu instid0(VALU_DEP_3)
	v_cmpx_ne_u64_e32 0x7f800000, v[118:119]
	s_xor_b32 s25, exec_lo, s10
	s_cbranch_execz .LBB2_2297
; %bb.2284:                             ;   in Loop: Header=BB2_1853 Depth=2
	v_and_b32_e32 v118, 0x7fffffff, v87
	v_mov_b32_e32 v119, v39
	v_and_b32_e32 v11, 0x80, v11
                                        ; implicit-def: $vgpr86
	s_mov_b32 s10, exec_lo
	s_delay_alu instid0(VALU_DEP_2)
	v_cmpx_gt_u64_e32 0x47600001, v[118:119]
	s_xor_b32 s26, exec_lo, s10
	s_cbranch_execz .LBB2_2294
; %bb.2285:                             ;   in Loop: Header=BB2_1853 Depth=2
	v_mov_b32_e32 v86, 0
	s_mov_b32 s27, exec_lo
	v_cmpx_ne_u32_e32 0, v87
	s_cbranch_execz .LBB2_2293
; %bb.2286:                             ;   in Loop: Header=BB2_1853 Depth=2
	v_bfe_u32 v118, v87, 23, 8
	v_or_b32_e32 v40, 0x800000, v14
	s_delay_alu instid0(VALU_DEP_2) | instskip(SKIP_1) | instid1(VALU_DEP_1)
	v_sub_nc_u32_e32 v86, 0x71, v118
	v_cmp_gt_u32_e64 s7, 0x72, v118
	v_cndmask_b32_e64 v86, 0, v86, s7
	v_cmp_eq_u32_e64 s7, 0, v118
	s_delay_alu instid0(VALU_DEP_1) | instskip(NEXT) | instid1(VALU_DEP_1)
	v_cndmask_b32_e64 v119, v86, 0x70, s7
	v_dual_cndmask_b32 v14, v40, v14, s7 :: v_dual_add_nc_u32 v86, 21, v119
	v_add_nc_u32_e32 v41, 20, v119
	s_delay_alu instid0(VALU_DEP_2) | instskip(NEXT) | instid1(VALU_DEP_2)
	v_lshlrev_b64_e64 v[86:87], v86, -1
	v_lshlrev_b64_e64 v[40:41], v41, 1
	s_delay_alu instid0(VALU_DEP_2) | instskip(SKIP_1) | instid1(VALU_DEP_4)
	v_bfi_b32 v86, v86, 0, v14
	v_lshrrev_b64 v[14:15], v119, v[14:15]
	v_bfi_b32 v87, v87, 0, 0
	s_delay_alu instid0(VALU_DEP_1) | instskip(NEXT) | instid1(VALU_DEP_3)
	v_cmp_eq_u64_e64 s10, v[86:87], v[40:41]
	v_mov_b64_e32 v[86:87], v[14:15]
	s_and_saveexec_b32 s28, s10
; %bb.2287:                             ;   in Loop: Header=BB2_1853 Depth=2
	v_bfe_u32 v86, v14, 21, 1
	v_mov_b32_e32 v87, v39
	s_delay_alu instid0(VALU_DEP_1) | instskip(NEXT) | instid1(VALU_DEP_1)
	v_add_nc_u64_e32 v[86:87], v[14:15], v[86:87]
	v_add_nc_u64_e32 v[86:87], -1, v[86:87]
; %bb.2288:                             ;   in Loop: Header=BB2_1853 Depth=2
	s_or_b32 exec_lo, exec_lo, s28
	v_add_nc_u32_e32 v15, 0xffffff81, v118
	v_lshrrev_b32_e32 v87, 23, v14
	s_mov_b32 s10, exec_lo
	s_delay_alu instid0(VALU_DEP_2) | instskip(NEXT) | instid1(VALU_DEP_1)
	v_cndmask_b32_e64 v15, v15, 0xffffff82, s7
	v_add3_u32 v87, v119, v15, v87
	v_and_b32_e32 v15, 0x1fffff, v86
                                        ; implicit-def: $vgpr86
	s_delay_alu instid0(VALU_DEP_1) | instskip(SKIP_1) | instid1(VALU_DEP_2)
	v_dual_add_nc_u32 v118, 14, v87 :: v_dual_add_nc_u32 v14, v15, v14
	v_mov_b32_e32 v15, v39
	v_cmpx_ne_u32_e32 0, v118
	s_xor_b32 s10, exec_lo, s10
; %bb.2289:                             ;   in Loop: Header=BB2_1853 Depth=2
	s_delay_alu instid0(VALU_DEP_2) | instskip(SKIP_1) | instid1(VALU_DEP_2)
	v_cmp_lt_u64_e64 s7, 0xffffff, v[14:15]
	v_add_nc_u32_e32 v86, 15, v87
	v_cndmask_b32_e64 v87, 0, 1, s7
	s_delay_alu instid0(VALU_DEP_2) | instskip(NEXT) | instid1(VALU_DEP_2)
	v_cndmask_b32_e64 v86, v118, v86, s7
	v_lshrrev_b64 v[14:15], v87, v[14:15]
; %bb.2290:                             ;   in Loop: Header=BB2_1853 Depth=2
	s_and_not1_saveexec_b32 s7, s10
; %bb.2291:                             ;   in Loop: Header=BB2_1853 Depth=2
	s_delay_alu instid0(VALU_DEP_1)
	v_bfe_u32 v86, v14, 23, 1
; %bb.2292:                             ;   in Loop: Header=BB2_1853 Depth=2
	s_or_b32 exec_lo, exec_lo, s7
	s_delay_alu instid0(VALU_DEP_2) | instskip(NEXT) | instid1(VALU_DEP_2)
	v_lshrrev_b64 v[14:15], 21, v[14:15]
	v_cmp_gt_i32_e64 s7, 32, v86
	v_min_i32_e32 v87, 31, v86
	v_cmp_eq_u32_e64 s10, 0, v86
	s_delay_alu instid0(VALU_DEP_3) | instskip(NEXT) | instid1(VALU_DEP_3)
	v_cndmask_b32_e64 v15, 0, v15, s7
	v_dual_lshlrev_b32 v87, 2, v87 :: v_dual_cndmask_b32 v14, 3, v14, s7
	s_delay_alu instid0(VALU_DEP_1) | instskip(NEXT) | instid1(VALU_DEP_2)
	v_and_b32_e32 v87, 0xfc, v87
	v_cmp_eq_u64_e64 s7, 0, v[14:15]
	s_delay_alu instid0(VALU_DEP_2)
	v_and_or_b32 v14, v14, 3, v87
	s_and_b32 s7, s10, s7
	s_delay_alu instid0(VALU_DEP_1) | instid1(SALU_CYCLE_1)
	v_cndmask_b32_e64 v14, v14, 0, s7
	s_delay_alu instid0(VALU_DEP_1)
	v_or_b32_e32 v86, v14, v11
.LBB2_2293:                             ;   in Loop: Header=BB2_1853 Depth=2
	s_or_b32 exec_lo, exec_lo, s27
                                        ; implicit-def: $vgpr11
.LBB2_2294:                             ;   in Loop: Header=BB2_1853 Depth=2
	s_and_not1_saveexec_b32 s7, s26
; %bb.2295:                             ;   in Loop: Header=BB2_1853 Depth=2
	v_or_b32_e32 v86, 0x7b, v11
; %bb.2296:                             ;   in Loop: Header=BB2_1853 Depth=2
	s_or_b32 exec_lo, exec_lo, s7
                                        ; implicit-def: $vgpr87
                                        ; implicit-def: $vgpr14_vgpr15
                                        ; implicit-def: $vgpr11
.LBB2_2297:                             ;   in Loop: Header=BB2_1853 Depth=2
	s_and_not1_saveexec_b32 s10, s25
	s_cbranch_execz .LBB2_2303
; %bb.2298:                             ;   in Loop: Header=BB2_1853 Depth=2
	v_cmp_ne_u64_e64 s7, 0, v[14:15]
                                        ; implicit-def: $vgpr86
	s_and_saveexec_b32 s25, s7
	s_delay_alu instid0(SALU_CYCLE_1)
	s_xor_b32 s7, exec_lo, s25
; %bb.2299:                             ;   in Loop: Header=BB2_1853 Depth=2
	v_or_b32_e32 v86, 0x7f, v11
                                        ; implicit-def: $vgpr87
; %bb.2300:                             ;   in Loop: Header=BB2_1853 Depth=2
	s_and_not1_saveexec_b32 s25, s7
; %bb.2301:                             ;   in Loop: Header=BB2_1853 Depth=2
	v_cmp_lt_i32_e64 s7, -1, v87
	s_delay_alu instid0(VALU_DEP_1)
	v_cndmask_b32_e64 v86, 0xfc, v46, s7
; %bb.2302:                             ;   in Loop: Header=BB2_1853 Depth=2
	s_or_b32 exec_lo, exec_lo, s25
.LBB2_2303:                             ;   in Loop: Header=BB2_1853 Depth=2
	s_delay_alu instid0(SALU_CYCLE_1) | instskip(SKIP_3) | instid1(VALU_DEP_2)
	s_or_b32 exec_lo, exec_lo, s10
	v_lshrrev_b16 v14, 8, v38
	v_mov_b32_e32 v11, 0
	s_mov_b32 s10, exec_lo
	v_cmpx_ne_u16_e32 0, v14
	s_cbranch_execz .LBB2_2313
; %bb.2304:                             ;   in Loop: Header=BB2_1853 Depth=2
	v_bfrev_b32_e32 v11, 1
	s_mov_b32 s25, exec_lo
	v_cmpx_ne_u16_e32 0x80, v14
	s_cbranch_execz .LBB2_2312
; %bb.2305:                             ;   in Loop: Header=BB2_1853 Depth=2
	v_and_b32_e32 v87, 0xffff, v14
	s_delay_alu instid0(VALU_DEP_1) | instskip(SKIP_1) | instid1(VALU_DEP_2)
	v_and_b32_e32 v11, 0x7c, v87
	v_and_b32_e32 v15, 3, v87
	v_cmp_ne_u32_e64 s7, 0x7c, v11
                                        ; implicit-def: $vgpr11
	s_and_saveexec_b32 s26, s7
	s_delay_alu instid0(SALU_CYCLE_1)
	s_xor_b32 s26, exec_lo, s26
	s_cbranch_execz .LBB2_2309
; %bb.2306:                             ;   in Loop: Header=BB2_1853 Depth=2
	v_bfe_u32 v11, v87, 2, 5
	s_mov_b32 s27, exec_lo
	s_delay_alu instid0(VALU_DEP_1)
	v_cmpx_eq_u32_e32 0, v11
	s_cbranch_execz .LBB2_2308
; %bb.2307:                             ;   in Loop: Header=BB2_1853 Depth=2
	v_clz_i32_u32_e32 v11, v15
	s_delay_alu instid0(VALU_DEP_1) | instskip(SKIP_1) | instid1(VALU_DEP_2)
	v_min_u32_e32 v11, 32, v11
	v_mov_b32_e32 v15, v39
	v_subrev_nc_u32_e32 v87, 29, v11
	v_sub_nc_u32_e32 v11, 30, v11
	s_delay_alu instid0(VALU_DEP_2) | instskip(NEXT) | instid1(VALU_DEP_1)
	v_lshlrev_b64_e32 v[14:15], v87, v[14:15]
	v_and_b32_e32 v15, 3, v14
.LBB2_2308:                             ;   in Loop: Header=BB2_1853 Depth=2
	s_or_b32 exec_lo, exec_lo, s27
	v_lshlrev_b32_e32 v14, 16, v38
	s_delay_alu instid0(VALU_DEP_1) | instskip(NEXT) | instid1(VALU_DEP_1)
	v_and_b32_e32 v14, 0x80000000, v14
	v_lshl_add_u32 v11, v11, 23, v14
	s_delay_alu instid0(VALU_DEP_1) | instskip(NEXT) | instid1(VALU_DEP_1)
	v_lshl_or_b32 v11, v15, 21, v11
                                        ; implicit-def: $vgpr15
	v_add_nc_u32_e32 v11, 0x38000000, v11
.LBB2_2309:                             ;   in Loop: Header=BB2_1853 Depth=2
	s_and_not1_saveexec_b32 s26, s26
; %bb.2310:                             ;   in Loop: Header=BB2_1853 Depth=2
	v_cmp_lt_i16_e64 s7, -1, v38
	s_delay_alu instid0(VALU_DEP_1) | instskip(SKIP_1) | instid1(VALU_DEP_1)
	v_cndmask_b32_e64 v11, 0xff800000, v45, s7
	v_cmp_eq_u32_e64 s7, 0, v15
	v_cndmask_b32_e64 v11, 0x7f800001, v11, s7
; %bb.2311:                             ;   in Loop: Header=BB2_1853 Depth=2
	s_or_b32 exec_lo, exec_lo, s26
.LBB2_2312:                             ;   in Loop: Header=BB2_1853 Depth=2
	s_delay_alu instid0(SALU_CYCLE_1)
	s_or_b32 exec_lo, exec_lo, s25
.LBB2_2313:                             ;   in Loop: Header=BB2_1853 Depth=2
	s_delay_alu instid0(SALU_CYCLE_1) | instskip(SKIP_3) | instid1(VALU_DEP_1)
	s_or_b32 exec_lo, exec_lo, s10
	v_lshrrev_b16 v38, 8, v10
	s_mov_b32 s25, 0
	s_mov_b32 s10, exec_lo
	v_cmpx_lt_i16_e32 0x7f, v38
	s_xor_b32 s10, exec_lo, s10
	s_cbranch_execz .LBB2_2424
; %bb.2314:                             ;   in Loop: Header=BB2_1853 Depth=2
	s_mov_b32 s25, -1
	s_mov_b32 s26, exec_lo
	v_cmpx_eq_u16_e32 0x80, v38
; %bb.2315:                             ;   in Loop: Header=BB2_1853 Depth=2
	s_xor_b32 s25, exec_lo, -1
; %bb.2316:                             ;   in Loop: Header=BB2_1853 Depth=2
	s_or_b32 exec_lo, exec_lo, s26
	s_delay_alu instid0(SALU_CYCLE_1)
	s_and_b32 s25, s25, exec_lo
	s_or_saveexec_b32 s10, s10
	v_bfrev_b32_e32 v14, 1
	s_xor_b32 exec_lo, exec_lo, s10
	s_cbranch_execnz .LBB2_2425
.LBB2_2317:                             ;   in Loop: Header=BB2_1853 Depth=2
	s_or_b32 exec_lo, exec_lo, s10
	s_and_saveexec_b32 s10, s25
	s_cbranch_execz .LBB2_2319
.LBB2_2318:                             ;   in Loop: Header=BB2_1853 Depth=2
	v_and_b32_e32 v87, 0xffff, v38
	s_delay_alu instid0(VALU_DEP_1) | instskip(NEXT) | instid1(VALU_DEP_1)
	v_and_b32_e32 v118, 3, v87
	v_clz_i32_u32_e32 v14, v118
	s_delay_alu instid0(VALU_DEP_1) | instskip(NEXT) | instid1(VALU_DEP_1)
	v_min_u32_e32 v119, 32, v14
	v_subrev_nc_u32_e32 v14, 29, v119
	s_delay_alu instid0(VALU_DEP_1) | instskip(SKIP_3) | instid1(VALU_DEP_3)
	v_lshlrev_b64_e32 v[14:15], v14, v[38:39]
	v_lshlrev_b32_e32 v15, 24, v38
	v_bfe_u32 v38, v87, 2, 5
	v_sub_nc_u32_e32 v119, 30, v119
	v_and_b32_e32 v15, 0x80000000, v15
	s_delay_alu instid0(VALU_DEP_3) | instskip(NEXT) | instid1(VALU_DEP_1)
	v_cmp_eq_u32_e64 s7, 0, v38
	v_dual_cndmask_b32 v38, v38, v119, s7 :: v_dual_bitop2_b32 v14, 3, v14 bitop3:0x40
	s_delay_alu instid0(VALU_DEP_1) | instskip(SKIP_1) | instid1(VALU_DEP_3)
	v_cndmask_b32_e64 v14, v118, v14, s7
	v_cmp_lt_i16_e64 s7, -1, v10
	v_lshl_add_u32 v15, v38, 23, v15
	s_delay_alu instid0(VALU_DEP_2) | instskip(SKIP_1) | instid1(VALU_DEP_3)
	v_cndmask_b32_e64 v10, 0xff800000, v45, s7
	v_cmp_eq_u32_e64 s7, 0, v118
	v_lshl_or_b32 v14, v14, 21, v15
	v_and_b32_e32 v15, 0x7c, v87
	s_delay_alu instid0(VALU_DEP_3) | instskip(NEXT) | instid1(VALU_DEP_3)
	v_cndmask_b32_e64 v10, 0x7f800001, v10, s7
	v_add_nc_u32_e32 v14, 0x38000000, v14
	s_delay_alu instid0(VALU_DEP_3) | instskip(NEXT) | instid1(VALU_DEP_1)
	v_cmp_eq_u32_e64 s7, 0x7c, v15
	v_cndmask_b32_e64 v14, v14, v10, s7
.LBB2_2319:                             ;   in Loop: Header=BB2_1853 Depth=2
	s_or_b32 exec_lo, exec_lo, s10
	s_delay_alu instid0(VALU_DEP_1) | instskip(SKIP_2) | instid1(VALU_DEP_2)
	v_mul_f32_e32 v10, v11, v14
	v_mov_b32_e32 v15, v39
                                        ; implicit-def: $vgpr87
	s_mov_b32 s10, exec_lo
	v_and_b32_e32 v14, 0x7f800000, v10
	v_and_b32_e32 v38, 0x7fffff, v10
	v_lshrrev_b32_e32 v11, 24, v10
	s_delay_alu instid0(VALU_DEP_3)
	v_cmpx_ne_u64_e32 0x7f800000, v[14:15]
	s_xor_b32 s25, exec_lo, s10
	s_cbranch_execz .LBB2_2333
; %bb.2320:                             ;   in Loop: Header=BB2_1853 Depth=2
	v_and_b32_e32 v14, 0x7fffffff, v10
	v_mov_b32_e32 v15, v39
	v_and_b32_e32 v118, 0x80, v11
                                        ; implicit-def: $vgpr87
	s_mov_b32 s10, exec_lo
	s_delay_alu instid0(VALU_DEP_2)
	v_cmpx_gt_u64_e32 0x47600001, v[14:15]
	s_xor_b32 s26, exec_lo, s10
	s_cbranch_execz .LBB2_2330
; %bb.2321:                             ;   in Loop: Header=BB2_1853 Depth=2
	v_mov_b32_e32 v87, 0
	s_mov_b32 s27, exec_lo
	v_cmpx_ne_u32_e32 0, v10
	s_cbranch_execz .LBB2_2329
; %bb.2322:                             ;   in Loop: Header=BB2_1853 Depth=2
	v_bfe_u32 v87, v10, 23, 8
	v_or_b32_e32 v14, 0x800000, v38
	s_delay_alu instid0(VALU_DEP_2) | instskip(SKIP_1) | instid1(VALU_DEP_1)
	v_sub_nc_u32_e32 v10, 0x71, v87
	v_cmp_gt_u32_e64 s7, 0x72, v87
	v_cndmask_b32_e64 v10, 0, v10, s7
	v_cmp_eq_u32_e64 s7, 0, v87
	s_delay_alu instid0(VALU_DEP_1) | instskip(NEXT) | instid1(VALU_DEP_1)
	v_cndmask_b32_e64 v119, v10, 0x70, s7
	v_dual_cndmask_b32 v38, v14, v38, s7 :: v_dual_add_nc_u32 v10, 21, v119
	v_add_nc_u32_e32 v15, 20, v119
	s_delay_alu instid0(VALU_DEP_2) | instskip(NEXT) | instid1(VALU_DEP_2)
	v_lshlrev_b64_e64 v[10:11], v10, -1
	v_lshlrev_b64_e64 v[14:15], v15, 1
	s_delay_alu instid0(VALU_DEP_2) | instskip(NEXT) | instid1(VALU_DEP_3)
	v_bfi_b32 v41, v11, 0, 0
	v_bfi_b32 v40, v10, 0, v38
	v_lshrrev_b64 v[10:11], v119, v[38:39]
	s_delay_alu instid0(VALU_DEP_2) | instskip(NEXT) | instid1(VALU_DEP_2)
	v_cmp_eq_u64_e64 s10, v[40:41], v[14:15]
	v_mov_b64_e32 v[14:15], v[10:11]
	s_and_saveexec_b32 s28, s10
; %bb.2323:                             ;   in Loop: Header=BB2_1853 Depth=2
	v_bfe_u32 v38, v10, 21, 1
	s_delay_alu instid0(VALU_DEP_1) | instskip(NEXT) | instid1(VALU_DEP_1)
	v_add_nc_u64_e32 v[14:15], v[10:11], v[38:39]
	v_add_nc_u64_e32 v[14:15], -1, v[14:15]
; %bb.2324:                             ;   in Loop: Header=BB2_1853 Depth=2
	s_or_b32 exec_lo, exec_lo, s28
	v_add_nc_u32_e32 v11, 0xffffff81, v87
	v_lshrrev_b32_e32 v15, 23, v10
	s_mov_b32 s10, exec_lo
	s_delay_alu instid0(VALU_DEP_2) | instskip(NEXT) | instid1(VALU_DEP_1)
	v_cndmask_b32_e64 v11, v11, 0xffffff82, s7
	v_add3_u32 v15, v119, v11, v15
	v_and_b32_e32 v11, 0x1fffff, v14
                                        ; implicit-def: $vgpr14
	s_delay_alu instid0(VALU_DEP_1) | instskip(NEXT) | instid1(VALU_DEP_1)
	v_dual_add_nc_u32 v87, 14, v15 :: v_dual_add_nc_u32 v38, v11, v10
                                        ; implicit-def: $vgpr10_vgpr11
	v_cmpx_ne_u32_e32 0, v87
	s_xor_b32 s10, exec_lo, s10
; %bb.2325:                             ;   in Loop: Header=BB2_1853 Depth=2
	s_delay_alu instid0(VALU_DEP_2) | instskip(SKIP_1) | instid1(VALU_DEP_1)
	v_cmp_lt_u64_e64 s7, 0xffffff, v[38:39]
	v_add_nc_u32_e32 v10, 15, v15
	v_cndmask_b32_e64 v14, v87, v10, s7
	v_cndmask_b32_e64 v10, 0, 1, s7
	s_delay_alu instid0(VALU_DEP_1)
	v_lshrrev_b64 v[10:11], v10, v[38:39]
; %bb.2326:                             ;   in Loop: Header=BB2_1853 Depth=2
	s_and_not1_saveexec_b32 s7, s10
; %bb.2327:                             ;   in Loop: Header=BB2_1853 Depth=2
	v_mov_b64_e32 v[10:11], v[38:39]
	v_bfe_u32 v14, v38, 23, 1
; %bb.2328:                             ;   in Loop: Header=BB2_1853 Depth=2
	s_or_b32 exec_lo, exec_lo, s7
	s_delay_alu instid0(VALU_DEP_2) | instskip(NEXT) | instid1(VALU_DEP_2)
	v_lshrrev_b64 v[10:11], 21, v[10:11]
	v_cmp_gt_i32_e64 s7, 32, v14
	v_min_i32_e32 v15, 31, v14
	v_cmp_eq_u32_e64 s10, 0, v14
	s_delay_alu instid0(VALU_DEP_3) | instskip(NEXT) | instid1(VALU_DEP_3)
	v_cndmask_b32_e64 v11, 0, v11, s7
	v_dual_lshlrev_b32 v15, 2, v15 :: v_dual_cndmask_b32 v10, 3, v10, s7
	s_delay_alu instid0(VALU_DEP_1) | instskip(NEXT) | instid1(VALU_DEP_2)
	v_and_b32_e32 v15, 0xfc, v15
	v_cmp_eq_u64_e64 s7, 0, v[10:11]
	s_delay_alu instid0(VALU_DEP_2)
	v_and_or_b32 v10, v10, 3, v15
	s_and_b32 s7, s10, s7
	s_delay_alu instid0(VALU_DEP_1) | instid1(SALU_CYCLE_1)
	v_cndmask_b32_e64 v10, v10, 0, s7
	s_delay_alu instid0(VALU_DEP_1)
	v_or_b32_e32 v87, v10, v118
.LBB2_2329:                             ;   in Loop: Header=BB2_1853 Depth=2
	s_or_b32 exec_lo, exec_lo, s27
                                        ; implicit-def: $vgpr118
.LBB2_2330:                             ;   in Loop: Header=BB2_1853 Depth=2
	s_and_not1_saveexec_b32 s7, s26
; %bb.2331:                             ;   in Loop: Header=BB2_1853 Depth=2
	v_or_b32_e32 v87, 0x7b, v118
; %bb.2332:                             ;   in Loop: Header=BB2_1853 Depth=2
	s_or_b32 exec_lo, exec_lo, s7
                                        ; implicit-def: $vgpr10
                                        ; implicit-def: $vgpr11
.LBB2_2333:                             ;   in Loop: Header=BB2_1853 Depth=2
	s_and_not1_saveexec_b32 s10, s25
	s_cbranch_execz .LBB2_2339
; %bb.2334:                             ;   in Loop: Header=BB2_1853 Depth=2
	v_cmp_ne_u64_e64 s7, 0, v[38:39]
                                        ; implicit-def: $vgpr87
	s_and_saveexec_b32 s25, s7
	s_delay_alu instid0(SALU_CYCLE_1)
	s_xor_b32 s7, exec_lo, s25
; %bb.2335:                             ;   in Loop: Header=BB2_1853 Depth=2
	v_or_b32_e32 v87, 0x7f, v11
                                        ; implicit-def: $vgpr10
; %bb.2336:                             ;   in Loop: Header=BB2_1853 Depth=2
	s_and_not1_saveexec_b32 s25, s7
; %bb.2337:                             ;   in Loop: Header=BB2_1853 Depth=2
	v_cmp_lt_i32_e64 s7, -1, v10
	s_delay_alu instid0(VALU_DEP_1)
	v_cndmask_b32_e64 v87, 0xfc, v46, s7
; %bb.2338:                             ;   in Loop: Header=BB2_1853 Depth=2
	s_or_b32 exec_lo, exec_lo, s25
.LBB2_2339:                             ;   in Loop: Header=BB2_1853 Depth=2
	s_delay_alu instid0(SALU_CYCLE_1) | instskip(SKIP_2) | instid1(VALU_DEP_1)
	s_or_b32 exec_lo, exec_lo, s10
	v_dual_mov_b32 v11, 0 :: v_dual_lshrrev_b32 v10, 16, v17
	s_mov_b32 s10, exec_lo
	v_and_b32_e32 v14, 0xff, v10
	s_delay_alu instid0(VALU_DEP_1)
	v_cmpx_ne_u16_e32 0, v14
	s_cbranch_execz .LBB2_2349
; %bb.2340:                             ;   in Loop: Header=BB2_1853 Depth=2
	v_bfrev_b32_e32 v11, 1
	s_mov_b32 s25, exec_lo
	v_cmpx_ne_u16_e32 0x80, v14
	s_cbranch_execz .LBB2_2348
; %bb.2341:                             ;   in Loop: Header=BB2_1853 Depth=2
	v_and_b32_e32 v11, 0x7c0000, v17
	v_bfe_u32 v14, v17, 16, 2
	s_delay_alu instid0(VALU_DEP_2) | instskip(SKIP_1) | instid1(SALU_CYCLE_1)
	v_cmp_ne_u32_e64 s7, 0x7c0000, v11
                                        ; implicit-def: $vgpr11
	s_and_saveexec_b32 s26, s7
	s_xor_b32 s26, exec_lo, s26
	s_cbranch_execz .LBB2_2345
; %bb.2342:                             ;   in Loop: Header=BB2_1853 Depth=2
	v_bfe_u32 v11, v17, 18, 5
	s_mov_b32 s27, exec_lo
	s_delay_alu instid0(VALU_DEP_1)
	v_cmpx_eq_u32_e32 0, v11
; %bb.2343:                             ;   in Loop: Header=BB2_1853 Depth=2
	v_clz_i32_u32_e32 v11, v14
	s_delay_alu instid0(VALU_DEP_1) | instskip(NEXT) | instid1(VALU_DEP_1)
	v_min_u32_e32 v11, 32, v11
	v_subrev_nc_u32_e32 v14, 29, v11
	s_delay_alu instid0(VALU_DEP_1) | instskip(NEXT) | instid1(VALU_DEP_1)
	v_lshlrev_b64_e32 v[14:15], v14, v[10:11]
	v_dual_sub_nc_u32 v11, 30, v11 :: v_dual_bitop2_b32 v14, 3, v14 bitop3:0x40
; %bb.2344:                             ;   in Loop: Header=BB2_1853 Depth=2
	s_or_b32 exec_lo, exec_lo, s27
	v_lshlrev_b32_e32 v10, 24, v10
	s_delay_alu instid0(VALU_DEP_1) | instskip(NEXT) | instid1(VALU_DEP_1)
	v_and_b32_e32 v10, 0x80000000, v10
	v_lshl_add_u32 v10, v11, 23, v10
	s_delay_alu instid0(VALU_DEP_1) | instskip(NEXT) | instid1(VALU_DEP_1)
	v_lshl_or_b32 v10, v14, 21, v10
                                        ; implicit-def: $vgpr14
	v_add_nc_u32_e32 v11, 0x38000000, v10
                                        ; implicit-def: $vgpr10
.LBB2_2345:                             ;   in Loop: Header=BB2_1853 Depth=2
	s_and_not1_saveexec_b32 s26, s26
; %bb.2346:                             ;   in Loop: Header=BB2_1853 Depth=2
	v_bfe_i32 v10, v10, 0, 8
	s_delay_alu instid0(VALU_DEP_1) | instskip(NEXT) | instid1(VALU_DEP_1)
	v_cmp_lt_i16_e64 s7, -1, v10
	v_cndmask_b32_e64 v10, 0xff800000, v45, s7
	v_cmp_eq_u32_e64 s7, 0, v14
	s_delay_alu instid0(VALU_DEP_1)
	v_cndmask_b32_e64 v11, 0x7f800001, v10, s7
; %bb.2347:                             ;   in Loop: Header=BB2_1853 Depth=2
	s_or_b32 exec_lo, exec_lo, s26
.LBB2_2348:                             ;   in Loop: Header=BB2_1853 Depth=2
	s_delay_alu instid0(SALU_CYCLE_1)
	s_or_b32 exec_lo, exec_lo, s25
.LBB2_2349:                             ;   in Loop: Header=BB2_1853 Depth=2
	s_delay_alu instid0(SALU_CYCLE_1) | instskip(SKIP_3) | instid1(VALU_DEP_1)
	s_or_b32 exec_lo, exec_lo, s10
	v_lshrrev_b32_e32 v10, 16, v13
	s_mov_b32 s25, 0
	s_mov_b32 s10, exec_lo
	v_and_b32_e32 v15, 0xff, v10
	s_delay_alu instid0(VALU_DEP_1)
	v_cmpx_lt_i16_e32 0x7f, v15
	s_xor_b32 s10, exec_lo, s10
	s_cbranch_execz .LBB2_2426
; %bb.2350:                             ;   in Loop: Header=BB2_1853 Depth=2
	s_mov_b32 s25, -1
	s_mov_b32 s26, exec_lo
	v_cmpx_eq_u16_e32 0x80, v15
; %bb.2351:                             ;   in Loop: Header=BB2_1853 Depth=2
	s_xor_b32 s25, exec_lo, -1
; %bb.2352:                             ;   in Loop: Header=BB2_1853 Depth=2
	s_or_b32 exec_lo, exec_lo, s26
	s_delay_alu instid0(SALU_CYCLE_1)
	s_and_b32 s25, s25, exec_lo
                                        ; implicit-def: $vgpr15
	s_or_saveexec_b32 s10, s10
	v_bfrev_b32_e32 v14, 1
	s_xor_b32 exec_lo, exec_lo, s10
	s_cbranch_execnz .LBB2_2427
.LBB2_2353:                             ;   in Loop: Header=BB2_1853 Depth=2
	s_or_b32 exec_lo, exec_lo, s10
	s_and_saveexec_b32 s10, s25
	s_cbranch_execz .LBB2_2355
.LBB2_2354:                             ;   in Loop: Header=BB2_1853 Depth=2
	v_and_b32_e32 v38, 3, v10
	v_bfe_u32 v119, v13, 18, 5
	s_delay_alu instid0(VALU_DEP_2) | instskip(NEXT) | instid1(VALU_DEP_2)
	v_clz_i32_u32_e32 v14, v38
	v_cmp_eq_u32_e64 s7, 0, v119
	s_delay_alu instid0(VALU_DEP_2) | instskip(NEXT) | instid1(VALU_DEP_1)
	v_min_u32_e32 v118, 32, v14
	v_subrev_nc_u32_e32 v14, 29, v118
	v_sub_nc_u32_e32 v118, 30, v118
	s_delay_alu instid0(VALU_DEP_2) | instskip(SKIP_1) | instid1(VALU_DEP_3)
	v_lshlrev_b64_e32 v[14:15], v14, v[10:11]
	v_lshlrev_b32_e32 v15, 24, v10
	v_cndmask_b32_e64 v118, v119, v118, s7
	v_bfe_i32 v10, v10, 0, 8
	s_delay_alu instid0(VALU_DEP_3) | instskip(SKIP_1) | instid1(VALU_DEP_2)
	v_and_b32_e32 v15, 0x80000000, v15
	v_and_b32_e32 v14, 3, v14
	v_lshl_add_u32 v15, v118, 23, v15
	s_delay_alu instid0(VALU_DEP_2) | instskip(SKIP_1) | instid1(VALU_DEP_2)
	v_cndmask_b32_e64 v14, v38, v14, s7
	v_cmp_lt_i16_e64 s7, -1, v10
	v_lshl_or_b32 v14, v14, 21, v15
	s_delay_alu instid0(VALU_DEP_2) | instskip(SKIP_2) | instid1(VALU_DEP_4)
	v_cndmask_b32_e64 v10, 0xff800000, v45, s7
	v_and_b32_e32 v15, 0x7c0000, v13
	v_cmp_eq_u32_e64 s7, 0, v38
	v_add_nc_u32_e32 v14, 0x38000000, v14
	s_delay_alu instid0(VALU_DEP_2) | instskip(NEXT) | instid1(VALU_DEP_4)
	v_cndmask_b32_e64 v10, 0x7f800001, v10, s7
	v_cmp_eq_u32_e64 s7, 0x7c0000, v15
	s_delay_alu instid0(VALU_DEP_1)
	v_cndmask_b32_e64 v14, v14, v10, s7
.LBB2_2355:                             ;   in Loop: Header=BB2_1853 Depth=2
	s_or_b32 exec_lo, exec_lo, s10
	s_delay_alu instid0(VALU_DEP_1) | instskip(NEXT) | instid1(VALU_DEP_1)
	v_mul_f32_e32 v10, v11, v14
	v_dual_mov_b32 v15, v39 :: v_dual_lshrrev_b32 v11, 24, v10
	v_and_b32_e32 v14, 0x7f800000, v10
	v_and_b32_e32 v38, 0x7fffff, v10
	s_delay_alu instid0(VALU_DEP_2) | instskip(SKIP_1) | instid1(SALU_CYCLE_1)
	v_cmp_ne_u64_e64 s7, 0x7f800000, v[14:15]
                                        ; implicit-def: $vgpr14
	s_and_saveexec_b32 s10, s7
	s_xor_b32 s25, exec_lo, s10
	s_cbranch_execz .LBB2_2369
; %bb.2356:                             ;   in Loop: Header=BB2_1853 Depth=2
	v_and_b32_e32 v14, 0x7fffffff, v10
	v_mov_b32_e32 v15, v39
	v_and_b32_e32 v118, 0x80, v11
	s_delay_alu instid0(VALU_DEP_2) | instskip(SKIP_1) | instid1(SALU_CYCLE_1)
	v_cmp_gt_u64_e64 s7, 0x47600001, v[14:15]
                                        ; implicit-def: $vgpr14
	s_and_saveexec_b32 s10, s7
	s_xor_b32 s26, exec_lo, s10
	s_cbranch_execz .LBB2_2366
; %bb.2357:                             ;   in Loop: Header=BB2_1853 Depth=2
	v_mov_b32_e32 v14, 0
	s_mov_b32 s27, exec_lo
	v_cmpx_ne_u32_e32 0, v10
	s_cbranch_execz .LBB2_2365
; %bb.2358:                             ;   in Loop: Header=BB2_1853 Depth=2
	v_bfe_u32 v119, v10, 23, 8
	v_or_b32_e32 v14, 0x800000, v38
	s_delay_alu instid0(VALU_DEP_2) | instskip(SKIP_1) | instid1(VALU_DEP_1)
	v_sub_nc_u32_e32 v10, 0x71, v119
	v_cmp_gt_u32_e64 s7, 0x72, v119
	v_cndmask_b32_e64 v10, 0, v10, s7
	v_cmp_eq_u32_e64 s7, 0, v119
	s_delay_alu instid0(VALU_DEP_1) | instskip(NEXT) | instid1(VALU_DEP_1)
	v_cndmask_b32_e64 v40, v10, 0x70, s7
	v_dual_cndmask_b32 v38, v14, v38, s7 :: v_dual_add_nc_u32 v10, 21, v40
	v_add_nc_u32_e32 v15, 20, v40
	s_delay_alu instid0(VALU_DEP_2) | instskip(NEXT) | instid1(VALU_DEP_2)
	v_lshlrev_b64_e64 v[10:11], v10, -1
	v_lshlrev_b64_e64 v[14:15], v15, 1
	s_delay_alu instid0(VALU_DEP_2) | instskip(NEXT) | instid1(VALU_DEP_3)
	v_bfi_b32 v59, v11, 0, 0
	v_bfi_b32 v58, v10, 0, v38
	v_lshrrev_b64 v[10:11], v40, v[38:39]
	s_delay_alu instid0(VALU_DEP_2) | instskip(NEXT) | instid1(VALU_DEP_2)
	v_cmp_eq_u64_e64 s10, v[58:59], v[14:15]
	v_mov_b64_e32 v[14:15], v[10:11]
	s_and_saveexec_b32 s28, s10
; %bb.2359:                             ;   in Loop: Header=BB2_1853 Depth=2
	v_bfe_u32 v38, v10, 21, 1
	s_delay_alu instid0(VALU_DEP_1) | instskip(NEXT) | instid1(VALU_DEP_1)
	v_add_nc_u64_e32 v[14:15], v[10:11], v[38:39]
	v_add_nc_u64_e32 v[14:15], -1, v[14:15]
; %bb.2360:                             ;   in Loop: Header=BB2_1853 Depth=2
	s_or_b32 exec_lo, exec_lo, s28
	v_add_nc_u32_e32 v11, 0xffffff81, v119
	v_lshrrev_b32_e32 v15, 23, v10
	s_mov_b32 s10, exec_lo
	s_delay_alu instid0(VALU_DEP_2) | instskip(NEXT) | instid1(VALU_DEP_1)
	v_cndmask_b32_e64 v11, v11, 0xffffff82, s7
	v_add3_u32 v15, v40, v11, v15
	v_and_b32_e32 v11, 0x1fffff, v14
                                        ; implicit-def: $vgpr14
	s_delay_alu instid0(VALU_DEP_1) | instskip(NEXT) | instid1(VALU_DEP_1)
	v_dual_add_nc_u32 v119, 14, v15 :: v_dual_add_nc_u32 v38, v11, v10
                                        ; implicit-def: $vgpr10_vgpr11
	v_cmpx_ne_u32_e32 0, v119
	s_xor_b32 s10, exec_lo, s10
; %bb.2361:                             ;   in Loop: Header=BB2_1853 Depth=2
	s_delay_alu instid0(VALU_DEP_2) | instskip(SKIP_1) | instid1(VALU_DEP_1)
	v_cmp_lt_u64_e64 s7, 0xffffff, v[38:39]
	v_add_nc_u32_e32 v10, 15, v15
	v_cndmask_b32_e64 v14, v119, v10, s7
	v_cndmask_b32_e64 v10, 0, 1, s7
	s_delay_alu instid0(VALU_DEP_1)
	v_lshrrev_b64 v[10:11], v10, v[38:39]
; %bb.2362:                             ;   in Loop: Header=BB2_1853 Depth=2
	s_and_not1_saveexec_b32 s7, s10
; %bb.2363:                             ;   in Loop: Header=BB2_1853 Depth=2
	v_mov_b64_e32 v[10:11], v[38:39]
	v_bfe_u32 v14, v38, 23, 1
; %bb.2364:                             ;   in Loop: Header=BB2_1853 Depth=2
	s_or_b32 exec_lo, exec_lo, s7
	s_delay_alu instid0(VALU_DEP_2) | instskip(NEXT) | instid1(VALU_DEP_2)
	v_lshrrev_b64 v[10:11], 21, v[10:11]
	v_cmp_gt_i32_e64 s7, 32, v14
	v_min_i32_e32 v15, 31, v14
	v_cmp_eq_u32_e64 s10, 0, v14
	s_delay_alu instid0(VALU_DEP_3) | instskip(NEXT) | instid1(VALU_DEP_3)
	v_cndmask_b32_e64 v11, 0, v11, s7
	v_dual_lshlrev_b32 v15, 2, v15 :: v_dual_cndmask_b32 v10, 3, v10, s7
	s_delay_alu instid0(VALU_DEP_1) | instskip(NEXT) | instid1(VALU_DEP_2)
	v_and_b32_e32 v15, 0xfc, v15
	v_cmp_eq_u64_e64 s7, 0, v[10:11]
	s_delay_alu instid0(VALU_DEP_2)
	v_and_or_b32 v10, v10, 3, v15
	s_and_b32 s7, s10, s7
	s_delay_alu instid0(VALU_DEP_1) | instid1(SALU_CYCLE_1)
	v_cndmask_b32_e64 v10, v10, 0, s7
	s_delay_alu instid0(VALU_DEP_1)
	v_or_b32_e32 v14, v10, v118
.LBB2_2365:                             ;   in Loop: Header=BB2_1853 Depth=2
	s_or_b32 exec_lo, exec_lo, s27
                                        ; implicit-def: $vgpr118
.LBB2_2366:                             ;   in Loop: Header=BB2_1853 Depth=2
	s_and_not1_saveexec_b32 s7, s26
; %bb.2367:                             ;   in Loop: Header=BB2_1853 Depth=2
	v_or_b32_e32 v14, 0x7b, v118
; %bb.2368:                             ;   in Loop: Header=BB2_1853 Depth=2
	s_or_b32 exec_lo, exec_lo, s7
                                        ; implicit-def: $vgpr10
                                        ; implicit-def: $vgpr11
.LBB2_2369:                             ;   in Loop: Header=BB2_1853 Depth=2
	s_and_not1_saveexec_b32 s10, s25
	s_cbranch_execz .LBB2_2375
; %bb.2370:                             ;   in Loop: Header=BB2_1853 Depth=2
	v_cmp_ne_u64_e64 s7, 0, v[38:39]
                                        ; implicit-def: $vgpr14
	s_and_saveexec_b32 s25, s7
	s_delay_alu instid0(SALU_CYCLE_1)
	s_xor_b32 s7, exec_lo, s25
; %bb.2371:                             ;   in Loop: Header=BB2_1853 Depth=2
	v_or_b32_e32 v14, 0x7f, v11
                                        ; implicit-def: $vgpr10
; %bb.2372:                             ;   in Loop: Header=BB2_1853 Depth=2
	s_and_not1_saveexec_b32 s25, s7
; %bb.2373:                             ;   in Loop: Header=BB2_1853 Depth=2
	v_cmp_lt_i32_e64 s7, -1, v10
	s_delay_alu instid0(VALU_DEP_1)
	v_cndmask_b32_e64 v14, 0xfc, v46, s7
; %bb.2374:                             ;   in Loop: Header=BB2_1853 Depth=2
	s_or_b32 exec_lo, exec_lo, s25
.LBB2_2375:                             ;   in Loop: Header=BB2_1853 Depth=2
	s_delay_alu instid0(SALU_CYCLE_1)
	s_or_b32 exec_lo, exec_lo, s10
	v_mov_b32_e32 v11, 0
	s_mov_b32 s10, exec_lo
	v_cmpx_lt_u64_e64 s[12:13], v[16:17]
	s_cbranch_execz .LBB2_2385
; %bb.2376:                             ;   in Loop: Header=BB2_1853 Depth=2
	v_lshrrev_b32_e32 v10, 24, v17
	v_bfrev_b32_e32 v11, 1
	s_mov_b32 s25, exec_lo
	s_delay_alu instid0(VALU_DEP_2)
	v_cmpx_ne_u32_e32 0x80, v10
	s_cbranch_execz .LBB2_2384
; %bb.2377:                             ;   in Loop: Header=BB2_1853 Depth=2
	v_and_b32_e32 v11, 0x7c000000, v17
	v_bfe_u32 v15, v17, 24, 2
	s_delay_alu instid0(VALU_DEP_2) | instskip(SKIP_1) | instid1(SALU_CYCLE_1)
	v_cmp_ne_u32_e64 s7, 0x7c000000, v11
                                        ; implicit-def: $vgpr11
	s_and_saveexec_b32 s26, s7
	s_xor_b32 s26, exec_lo, s26
	s_cbranch_execz .LBB2_2381
; %bb.2378:                             ;   in Loop: Header=BB2_1853 Depth=2
	v_bfe_u32 v11, v17, 26, 5
	s_mov_b32 s27, exec_lo
	s_delay_alu instid0(VALU_DEP_1)
	v_cmpx_eq_u32_e32 0, v11
; %bb.2379:                             ;   in Loop: Header=BB2_1853 Depth=2
	v_clz_i32_u32_e32 v11, v15
	s_delay_alu instid0(VALU_DEP_1) | instskip(NEXT) | instid1(VALU_DEP_1)
	v_min_u32_e32 v15, 32, v11
	v_subrev_nc_u32_e32 v11, 29, v15
	s_delay_alu instid0(VALU_DEP_1) | instskip(NEXT) | instid1(VALU_DEP_1)
	v_lshlrev_b64_e32 v[10:11], v11, v[10:11]
	v_dual_sub_nc_u32 v11, 30, v15 :: v_dual_bitop2_b32 v15, 3, v10 bitop3:0x40
; %bb.2380:                             ;   in Loop: Header=BB2_1853 Depth=2
	s_or_b32 exec_lo, exec_lo, s27
	v_and_b32_e32 v10, 0x80000000, v17
                                        ; implicit-def: $vgpr16_vgpr17
	s_delay_alu instid0(VALU_DEP_1) | instskip(NEXT) | instid1(VALU_DEP_1)
	v_lshl_add_u32 v10, v11, 23, v10
	v_lshl_or_b32 v10, v15, 21, v10
                                        ; implicit-def: $vgpr15
	s_delay_alu instid0(VALU_DEP_1)
	v_add_nc_u32_e32 v11, 0x38000000, v10
.LBB2_2381:                             ;   in Loop: Header=BB2_1853 Depth=2
	s_and_not1_saveexec_b32 s26, s26
; %bb.2382:                             ;   in Loop: Header=BB2_1853 Depth=2
	v_cmp_lt_i64_e64 s7, -1, v[16:17]
	s_delay_alu instid0(VALU_DEP_1) | instskip(SKIP_1) | instid1(VALU_DEP_1)
	v_cndmask_b32_e64 v10, 0xff800000, v45, s7
	v_cmp_eq_u32_e64 s7, 0, v15
	v_cndmask_b32_e64 v11, 0x7f800001, v10, s7
; %bb.2383:                             ;   in Loop: Header=BB2_1853 Depth=2
	s_or_b32 exec_lo, exec_lo, s26
.LBB2_2384:                             ;   in Loop: Header=BB2_1853 Depth=2
	s_delay_alu instid0(SALU_CYCLE_1)
	s_or_b32 exec_lo, exec_lo, s25
.LBB2_2385:                             ;   in Loop: Header=BB2_1853 Depth=2
	s_delay_alu instid0(SALU_CYCLE_1) | instskip(SKIP_2) | instid1(VALU_DEP_2)
	s_or_b32 exec_lo, exec_lo, s10
	v_bfe_u32 v15, v13, 24, 2
	v_bfe_u32 v118, v13, 26, 5
	v_clz_i32_u32_e32 v10, v15
	s_delay_alu instid0(VALU_DEP_2) | instskip(NEXT) | instid1(VALU_DEP_2)
	v_cmp_eq_u32_e64 s7, 0, v118
	v_min_u32_e32 v38, 32, v10
	v_lshrrev_b32_e32 v10, 24, v13
	s_delay_alu instid0(VALU_DEP_2) | instskip(NEXT) | instid1(VALU_DEP_1)
	v_subrev_nc_u32_e32 v16, 29, v38
	v_lshlrev_b64_e32 v[16:17], v16, v[10:11]
	v_sub_nc_u32_e32 v17, 30, v38
	v_and_b32_e32 v38, 0x80000000, v13
	s_delay_alu instid0(VALU_DEP_2) | instskip(NEXT) | instid1(VALU_DEP_1)
	v_dual_cndmask_b32 v17, v118, v17, s7 :: v_dual_bitop2_b32 v16, 3, v16 bitop3:0x40
	v_lshl_add_u32 v17, v17, 23, v38
	s_delay_alu instid0(VALU_DEP_2) | instskip(SKIP_1) | instid1(VALU_DEP_2)
	v_cndmask_b32_e64 v16, v15, v16, s7
	v_cmp_lt_i64_e64 s7, -1, v[12:13]
	v_lshl_or_b32 v16, v16, 21, v17
	v_and_b32_e32 v17, 0x7c000000, v13
	s_delay_alu instid0(VALU_DEP_3) | instskip(SKIP_1) | instid1(VALU_DEP_4)
	v_cndmask_b32_e64 v38, 0xff800000, v45, s7
	v_cmp_eq_u32_e64 s7, 0, v15
	v_add_nc_u32_e32 v16, 0x38000000, v16
	s_delay_alu instid0(VALU_DEP_2) | instskip(SKIP_1) | instid1(VALU_DEP_1)
	v_cndmask_b32_e64 v15, 0x7f800001, v38, s7
	v_cmp_eq_u32_e64 s7, 0x7c000000, v17
	v_cndmask_b32_e64 v15, v16, v15, s7
	v_cmp_ne_u32_e64 s7, 0x80, v10
	s_delay_alu instid0(VALU_DEP_1) | instskip(SKIP_1) | instid1(VALU_DEP_1)
	v_cndmask_b32_e64 v10, 0x80000000, v15, s7
	v_cmp_lt_u64_e64 s7, s[12:13], v[12:13]
	v_dual_mov_b32 v13, v39 :: v_dual_cndmask_b32 v10, 0, v10, s7
	s_delay_alu instid0(VALU_DEP_1) | instskip(NEXT) | instid1(VALU_DEP_1)
	v_mul_f32_e32 v11, v10, v11
                                        ; implicit-def: $vgpr10
	v_and_b32_e32 v12, 0x7f800000, v11
	v_and_b32_e32 v38, 0x7fffff, v11
	s_delay_alu instid0(VALU_DEP_2) | instskip(SKIP_2) | instid1(SALU_CYCLE_1)
	v_cmp_ne_u64_e64 s7, 0x7f800000, v[12:13]
	v_lshrrev_b32_e32 v12, 24, v11
	s_and_saveexec_b32 s10, s7
	s_xor_b32 s25, exec_lo, s10
	s_cbranch_execz .LBB2_2399
; %bb.2386:                             ;   in Loop: Header=BB2_1853 Depth=2
	v_and_b32_e32 v16, 0x7fffffff, v11
	v_mov_b32_e32 v17, v39
	v_and_b32_e32 v15, 0x80, v12
                                        ; implicit-def: $vgpr10
	s_mov_b32 s10, exec_lo
	s_delay_alu instid0(VALU_DEP_2)
	v_cmpx_gt_u64_e32 0x47600001, v[16:17]
	s_xor_b32 s26, exec_lo, s10
	s_cbranch_execz .LBB2_2396
; %bb.2387:                             ;   in Loop: Header=BB2_1853 Depth=2
	v_mov_b32_e32 v10, 0
	s_mov_b32 s27, exec_lo
	v_cmpx_ne_u32_e32 0, v11
	s_cbranch_execz .LBB2_2395
; %bb.2388:                             ;   in Loop: Header=BB2_1853 Depth=2
	v_bfe_u32 v16, v11, 23, 8
	v_or_b32_e32 v12, 0x800000, v38
	s_delay_alu instid0(VALU_DEP_2) | instskip(SKIP_1) | instid1(VALU_DEP_1)
	v_sub_nc_u32_e32 v10, 0x71, v16
	v_cmp_gt_u32_e64 s7, 0x72, v16
	v_cndmask_b32_e64 v10, 0, v10, s7
	v_cmp_eq_u32_e64 s7, 0, v16
	s_delay_alu instid0(VALU_DEP_1) | instskip(NEXT) | instid1(VALU_DEP_1)
	v_cndmask_b32_e64 v17, v10, 0x70, s7
	v_dual_cndmask_b32 v38, v12, v38, s7 :: v_dual_add_nc_u32 v10, 21, v17
	v_add_nc_u32_e32 v13, 20, v17
	s_delay_alu instid0(VALU_DEP_2) | instskip(NEXT) | instid1(VALU_DEP_2)
	v_lshlrev_b64_e64 v[10:11], v10, -1
	v_lshlrev_b64_e64 v[12:13], v13, 1
	s_delay_alu instid0(VALU_DEP_2) | instskip(NEXT) | instid1(VALU_DEP_3)
	v_bfi_b32 v119, v11, 0, 0
	v_bfi_b32 v118, v10, 0, v38
	v_lshrrev_b64 v[10:11], v17, v[38:39]
	s_delay_alu instid0(VALU_DEP_2) | instskip(NEXT) | instid1(VALU_DEP_2)
	v_cmp_eq_u64_e64 s10, v[118:119], v[12:13]
	v_mov_b64_e32 v[12:13], v[10:11]
	s_and_saveexec_b32 s28, s10
; %bb.2389:                             ;   in Loop: Header=BB2_1853 Depth=2
	v_bfe_u32 v38, v10, 21, 1
	s_delay_alu instid0(VALU_DEP_1) | instskip(NEXT) | instid1(VALU_DEP_1)
	v_add_nc_u64_e32 v[12:13], v[10:11], v[38:39]
	v_add_nc_u64_e32 v[12:13], -1, v[12:13]
; %bb.2390:                             ;   in Loop: Header=BB2_1853 Depth=2
	s_or_b32 exec_lo, exec_lo, s28
	v_add_nc_u32_e32 v11, 0xffffff81, v16
	v_lshrrev_b32_e32 v13, 23, v10
	s_mov_b32 s10, exec_lo
	s_delay_alu instid0(VALU_DEP_2) | instskip(NEXT) | instid1(VALU_DEP_1)
	v_cndmask_b32_e64 v11, v11, 0xffffff82, s7
	v_add3_u32 v13, v17, v11, v13
	v_and_b32_e32 v11, 0x1fffff, v12
                                        ; implicit-def: $vgpr12
	s_delay_alu instid0(VALU_DEP_1) | instskip(NEXT) | instid1(VALU_DEP_1)
	v_dual_add_nc_u32 v16, 14, v13 :: v_dual_add_nc_u32 v38, v11, v10
                                        ; implicit-def: $vgpr10_vgpr11
	v_cmpx_ne_u32_e32 0, v16
	s_xor_b32 s10, exec_lo, s10
; %bb.2391:                             ;   in Loop: Header=BB2_1853 Depth=2
	s_delay_alu instid0(VALU_DEP_2) | instskip(SKIP_1) | instid1(VALU_DEP_1)
	v_cmp_lt_u64_e64 s7, 0xffffff, v[38:39]
	v_add_nc_u32_e32 v10, 15, v13
	v_cndmask_b32_e64 v12, v16, v10, s7
	v_cndmask_b32_e64 v10, 0, 1, s7
	s_delay_alu instid0(VALU_DEP_1)
	v_lshrrev_b64 v[10:11], v10, v[38:39]
; %bb.2392:                             ;   in Loop: Header=BB2_1853 Depth=2
	s_and_not1_saveexec_b32 s7, s10
; %bb.2393:                             ;   in Loop: Header=BB2_1853 Depth=2
	v_mov_b64_e32 v[10:11], v[38:39]
	v_bfe_u32 v12, v38, 23, 1
; %bb.2394:                             ;   in Loop: Header=BB2_1853 Depth=2
	s_or_b32 exec_lo, exec_lo, s7
	s_delay_alu instid0(VALU_DEP_2) | instskip(NEXT) | instid1(VALU_DEP_2)
	v_lshrrev_b64 v[10:11], 21, v[10:11]
	v_cmp_gt_i32_e64 s7, 32, v12
	v_min_i32_e32 v13, 31, v12
	v_cmp_eq_u32_e64 s10, 0, v12
	s_delay_alu instid0(VALU_DEP_2) | instskip(SKIP_1) | instid1(VALU_DEP_2)
	v_dual_cndmask_b32 v11, 0, v11, s7 :: v_dual_lshlrev_b32 v13, 2, v13
	v_cndmask_b32_e64 v10, 3, v10, s7
	v_and_b32_e32 v13, 0xfc, v13
	s_delay_alu instid0(VALU_DEP_2) | instskip(NEXT) | instid1(VALU_DEP_2)
	v_cmp_eq_u64_e64 s7, 0, v[10:11]
	v_and_or_b32 v10, v10, 3, v13
	s_and_b32 s7, s10, s7
	s_delay_alu instid0(VALU_DEP_1) | instid1(SALU_CYCLE_1)
	v_cndmask_b32_e64 v10, v10, 0, s7
	s_delay_alu instid0(VALU_DEP_1)
	v_or_b32_e32 v10, v10, v15
.LBB2_2395:                             ;   in Loop: Header=BB2_1853 Depth=2
	s_or_b32 exec_lo, exec_lo, s27
                                        ; implicit-def: $vgpr15
.LBB2_2396:                             ;   in Loop: Header=BB2_1853 Depth=2
	s_and_not1_saveexec_b32 s7, s26
; %bb.2397:                             ;   in Loop: Header=BB2_1853 Depth=2
	v_or_b32_e32 v10, 0x7b, v15
; %bb.2398:                             ;   in Loop: Header=BB2_1853 Depth=2
	s_or_b32 exec_lo, exec_lo, s7
                                        ; implicit-def: $vgpr11
                                        ; implicit-def: $vgpr12
.LBB2_2399:                             ;   in Loop: Header=BB2_1853 Depth=2
	s_and_not1_saveexec_b32 s10, s25
	s_cbranch_execz .LBB2_1852
; %bb.2400:                             ;   in Loop: Header=BB2_1853 Depth=2
	v_cmp_ne_u64_e64 s7, 0, v[38:39]
                                        ; implicit-def: $vgpr10
	s_and_saveexec_b32 s25, s7
	s_delay_alu instid0(SALU_CYCLE_1)
	s_xor_b32 s7, exec_lo, s25
; %bb.2401:                             ;   in Loop: Header=BB2_1853 Depth=2
	v_or_b32_e32 v10, 0x7f, v12
                                        ; implicit-def: $vgpr11
; %bb.2402:                             ;   in Loop: Header=BB2_1853 Depth=2
	s_and_not1_saveexec_b32 s25, s7
	s_cbranch_execz .LBB2_1851
; %bb.2403:                             ;   in Loop: Header=BB2_1853 Depth=2
	v_cmp_lt_i32_e64 s7, -1, v11
	s_delay_alu instid0(VALU_DEP_1)
	v_cndmask_b32_e64 v10, 0xfc, v46, s7
	s_branch .LBB2_1851
.LBB2_2404:                             ;   in Loop: Header=BB2_1853 Depth=2
	s_or_saveexec_b32 s10, s10
	v_bfrev_b32_e32 v38, 1
	s_xor_b32 exec_lo, exec_lo, s10
	s_cbranch_execz .LBB2_1867
.LBB2_2405:                             ;   in Loop: Header=BB2_1853 Depth=2
	v_cmp_ne_u16_e64 s7, 0, v86
	v_mov_b32_e32 v38, 0
	s_and_not1_b32 s25, s25, exec_lo
	s_and_b32 s7, s7, exec_lo
	s_delay_alu instid0(SALU_CYCLE_1)
	s_or_b32 s25, s25, s7
	s_or_b32 exec_lo, exec_lo, s10
	s_and_saveexec_b32 s10, s25
	s_cbranch_execnz .LBB2_1868
	s_branch .LBB2_1869
.LBB2_2406:                             ;   in Loop: Header=BB2_1853 Depth=2
	s_or_saveexec_b32 s10, s10
	v_bfrev_b32_e32 v86, 1
	s_xor_b32 exec_lo, exec_lo, s10
	s_cbranch_execz .LBB2_1903
.LBB2_2407:                             ;   in Loop: Header=BB2_1853 Depth=2
	v_cmp_ne_u16_e64 s7, 0, v38
	v_mov_b32_e32 v86, 0
	s_and_not1_b32 s25, s25, exec_lo
	s_and_b32 s7, s7, exec_lo
	s_delay_alu instid0(SALU_CYCLE_1)
	s_or_b32 s25, s25, s7
	s_or_b32 exec_lo, exec_lo, s10
	s_and_saveexec_b32 s10, s25
	s_cbranch_execnz .LBB2_1904
	s_branch .LBB2_1905
.LBB2_2408:                             ;   in Loop: Header=BB2_1853 Depth=2
	s_or_saveexec_b32 s10, s10
	v_bfrev_b32_e32 v86, 1
	s_xor_b32 exec_lo, exec_lo, s10
	s_cbranch_execz .LBB2_1939
.LBB2_2409:                             ;   in Loop: Header=BB2_1853 Depth=2
	v_cmp_ne_u16_e64 s7, 0, v87
	v_mov_b32_e32 v86, 0
	s_and_not1_b32 s25, s25, exec_lo
	s_and_b32 s7, s7, exec_lo
	s_delay_alu instid0(SALU_CYCLE_1)
	s_or_b32 s25, s25, s7
	s_or_b32 exec_lo, exec_lo, s10
	s_and_saveexec_b32 s10, s25
	s_cbranch_execnz .LBB2_1940
	s_branch .LBB2_1941
.LBB2_2410:                             ;   in Loop: Header=BB2_1853 Depth=2
	s_or_saveexec_b32 s10, s10
	v_bfrev_b32_e32 v96, 1
	s_xor_b32 exec_lo, exec_lo, s10
	s_cbranch_execz .LBB2_2005
.LBB2_2411:                             ;   in Loop: Header=BB2_1853 Depth=2
	v_cmp_ne_u16_e64 s7, 0, v87
	v_mov_b32_e32 v96, 0
	s_and_not1_b32 s25, s25, exec_lo
	s_and_b32 s7, s7, exec_lo
	s_delay_alu instid0(SALU_CYCLE_1)
	s_or_b32 s25, s25, s7
	s_or_b32 exec_lo, exec_lo, s10
	v_mov_b32_e32 v87, v39
	s_and_saveexec_b32 s10, s25
	s_cbranch_execnz .LBB2_2006
	s_branch .LBB2_2007
.LBB2_2412:                             ;   in Loop: Header=BB2_1853 Depth=2
	s_or_saveexec_b32 s10, s10
	v_bfrev_b32_e32 v87, 1
	s_xor_b32 exec_lo, exec_lo, s10
	s_cbranch_execz .LBB2_2041
.LBB2_2413:                             ;   in Loop: Header=BB2_1853 Depth=2
	v_cmp_ne_u16_e64 s7, 0, v38
	v_mov_b32_e32 v87, 0
	s_and_not1_b32 s25, s25, exec_lo
	s_and_b32 s7, s7, exec_lo
	s_delay_alu instid0(SALU_CYCLE_1)
	s_or_b32 s25, s25, s7
	s_or_b32 exec_lo, exec_lo, s10
	s_and_saveexec_b32 s10, s25
	s_cbranch_execnz .LBB2_2042
	s_branch .LBB2_2043
.LBB2_2414:                             ;   in Loop: Header=BB2_1853 Depth=2
	s_or_saveexec_b32 s10, s10
	v_bfrev_b32_e32 v86, 1
	s_xor_b32 exec_lo, exec_lo, s10
	s_cbranch_execz .LBB2_2077
.LBB2_2415:                             ;   in Loop: Header=BB2_1853 Depth=2
	v_cmp_ne_u16_e64 s7, 0, v87
	v_mov_b32_e32 v86, 0
	s_and_not1_b32 s25, s25, exec_lo
	s_and_b32 s7, s7, exec_lo
	s_delay_alu instid0(SALU_CYCLE_1)
	s_or_b32 s25, s25, s7
	s_or_b32 exec_lo, exec_lo, s10
	s_and_saveexec_b32 s10, s25
	s_cbranch_execnz .LBB2_2078
	s_branch .LBB2_2079
.LBB2_2416:                             ;   in Loop: Header=BB2_1853 Depth=2
	s_or_saveexec_b32 s10, s10
	v_bfrev_b32_e32 v11, 1
	s_xor_b32 exec_lo, exec_lo, s10
	s_cbranch_execz .LBB2_2143
.LBB2_2417:                             ;   in Loop: Header=BB2_1853 Depth=2
	v_cmp_ne_u16_e64 s7, 0, v14
	v_mov_b32_e32 v11, 0
	s_and_not1_b32 s25, s25, exec_lo
	s_and_b32 s7, s7, exec_lo
	s_delay_alu instid0(SALU_CYCLE_1)
	s_or_b32 s25, s25, s7
	s_or_b32 exec_lo, exec_lo, s10
	s_and_saveexec_b32 s10, s25
	s_cbranch_execnz .LBB2_2144
	s_branch .LBB2_2145
.LBB2_2418:                             ;   in Loop: Header=BB2_1853 Depth=2
	s_or_saveexec_b32 s10, s10
	v_bfrev_b32_e32 v11, 1
	s_xor_b32 exec_lo, exec_lo, s10
	s_cbranch_execz .LBB2_2179
.LBB2_2419:                             ;   in Loop: Header=BB2_1853 Depth=2
	v_cmp_ne_u16_e64 s7, 0, v38
	v_mov_b32_e32 v11, 0
	s_and_not1_b32 s25, s25, exec_lo
	s_and_b32 s7, s7, exec_lo
	s_delay_alu instid0(SALU_CYCLE_1)
	s_or_b32 s25, s25, s7
	s_or_b32 exec_lo, exec_lo, s10
	s_and_saveexec_b32 s10, s25
	s_cbranch_execnz .LBB2_2180
	s_branch .LBB2_2181
.LBB2_2420:                             ;   in Loop: Header=BB2_1853 Depth=2
	s_or_saveexec_b32 s10, s10
	v_bfrev_b32_e32 v14, 1
	s_xor_b32 exec_lo, exec_lo, s10
	s_cbranch_execz .LBB2_2215
.LBB2_2421:                             ;   in Loop: Header=BB2_1853 Depth=2
	v_cmp_ne_u16_e64 s7, 0, v15
	v_mov_b32_e32 v14, 0
	s_and_not1_b32 s25, s25, exec_lo
	s_and_b32 s7, s7, exec_lo
	s_delay_alu instid0(SALU_CYCLE_1)
	s_or_b32 s25, s25, s7
	s_or_b32 exec_lo, exec_lo, s10
	s_and_saveexec_b32 s10, s25
	s_cbranch_execnz .LBB2_2216
	s_branch .LBB2_2217
.LBB2_2422:                             ;   in Loop: Header=BB2_1853 Depth=2
	s_or_saveexec_b32 s10, s10
	v_bfrev_b32_e32 v15, 1
	s_xor_b32 exec_lo, exec_lo, s10
	s_cbranch_execz .LBB2_2281
.LBB2_2423:                             ;   in Loop: Header=BB2_1853 Depth=2
	v_cmp_ne_u16_e64 s7, 0, v11
	v_mov_b32_e32 v15, 0
	s_and_not1_b32 s25, s25, exec_lo
	s_and_b32 s7, s7, exec_lo
	s_delay_alu instid0(SALU_CYCLE_1)
	s_or_b32 s25, s25, s7
	s_or_b32 exec_lo, exec_lo, s10
	v_mov_b32_e32 v11, v39
	s_and_saveexec_b32 s10, s25
	s_cbranch_execnz .LBB2_2282
	s_branch .LBB2_2283
.LBB2_2424:                             ;   in Loop: Header=BB2_1853 Depth=2
	s_or_saveexec_b32 s10, s10
	v_bfrev_b32_e32 v14, 1
	s_xor_b32 exec_lo, exec_lo, s10
	s_cbranch_execz .LBB2_2317
.LBB2_2425:                             ;   in Loop: Header=BB2_1853 Depth=2
	v_cmp_ne_u16_e64 s7, 0, v38
	v_mov_b32_e32 v14, 0
	s_and_not1_b32 s25, s25, exec_lo
	s_and_b32 s7, s7, exec_lo
	s_delay_alu instid0(SALU_CYCLE_1)
	s_or_b32 s25, s25, s7
	s_or_b32 exec_lo, exec_lo, s10
	s_and_saveexec_b32 s10, s25
	s_cbranch_execnz .LBB2_2318
	s_branch .LBB2_2319
.LBB2_2426:                             ;   in Loop: Header=BB2_1853 Depth=2
	s_or_saveexec_b32 s10, s10
	v_bfrev_b32_e32 v14, 1
	s_xor_b32 exec_lo, exec_lo, s10
	s_cbranch_execz .LBB2_2353
.LBB2_2427:                             ;   in Loop: Header=BB2_1853 Depth=2
	v_cmp_ne_u16_e64 s7, 0, v15
	v_mov_b32_e32 v14, 0
	s_and_not1_b32 s25, s25, exec_lo
	s_and_b32 s7, s7, exec_lo
	s_delay_alu instid0(SALU_CYCLE_1)
	s_or_b32 s25, s25, s7
	s_or_b32 exec_lo, exec_lo, s10
	s_and_saveexec_b32 s10, s25
	s_cbranch_execnz .LBB2_2354
	s_branch .LBB2_2355
.LBB2_2428:                             ;   in Loop: Header=BB2_1777 Depth=1
	s_or_b32 exec_lo, exec_lo, s24
.LBB2_2429:                             ;   in Loop: Header=BB2_1777 Depth=1
	s_delay_alu instid0(SALU_CYCLE_1) | instskip(SKIP_3) | instid1(VALU_DEP_1)
	s_or_b32 exec_lo, exec_lo, s23
	v_dual_mov_b32 v58, 0 :: v_dual_bitop2_b32 v10, 15, v47 bitop3:0x40
	s_mov_b32 s23, 0
	s_mov_b32 s10, exec_lo
                                        ; implicit-def: $vgpr30
	v_cndmask_b32_e32 v59, v101, v10, vcc_lo
	s_delay_alu instid0(VALU_DEP_1)
	v_cmpx_ne_u32_e32 0, v59
	s_cbranch_execz .LBB2_3011
; %bb.2430:                             ;   in Loop: Header=BB2_1777 Depth=1
	v_cmp_lt_i32_e64 s7, 0, v100
	s_mov_b32 s23, exec_lo
	v_cndmask_b32_e64 v10, 0, v36, s7
	s_delay_alu instid0(VALU_DEP_1) | instskip(NEXT) | instid1(VALU_DEP_1)
	v_sub_nc_u32_e32 v10, v10, v100
	v_lshl_add_u32 v10, v10, 5, v42
	s_delay_alu instid0(VALU_DEP_1) | instskip(NEXT) | instid1(VALU_DEP_1)
	v_ashrrev_i32_e32 v11, 31, v10
	v_lshrrev_b32_e32 v11, 27, v11
	s_delay_alu instid0(VALU_DEP_1) | instskip(NEXT) | instid1(VALU_DEP_1)
	v_add_nc_u32_e32 v11, v10, v11
	v_and_b32_e32 v12, 0xffffffe0, v11
	s_delay_alu instid0(VALU_DEP_1) | instskip(SKIP_1) | instid1(VALU_DEP_2)
	v_sub_nc_u32_e32 v100, v10, v12
	v_and_b32_e32 v12, 0x1f0, v47
	v_dual_lshlrev_b32 v10, 4, v100 :: v_dual_ashrrev_i32 v11, 5, v11
	s_delay_alu instid0(VALU_DEP_1) | instskip(NEXT) | instid1(VALU_DEP_3)
	v_lshl_add_u32 v10, v11, 9, v10
	v_dual_cndmask_b32 v12, 0, v12 :: v_dual_sub_nc_u32 v101, 0, v11
	s_delay_alu instid0(VALU_DEP_2) | instskip(NEXT) | instid1(VALU_DEP_2)
	v_sub_nc_u32_e32 v102, v59, v10
	v_and_or_b32 v58, 0x3ffffe00, v47, v12
	s_delay_alu instid0(VALU_DEP_2)
	v_cmpx_lt_i32_e32 15, v102
	s_cbranch_execz .LBB2_3010
; %bb.2431:                             ;   in Loop: Header=BB2_1777 Depth=1
	s_trap 2
	ds_load_b64 v[12:13], v0
	v_add_nc_u32_e32 v10, v10, v58
	s_mov_b32 s24, 0
	s_delay_alu instid0(VALU_DEP_1) | instskip(NEXT) | instid1(VALU_DEP_1)
	v_ashrrev_i32_e32 v11, 31, v10
	v_add_nc_u64_e32 v[80:81], v[10:11], v[68:69]
	v_add_nc_u64_e32 v[84:85], v[10:11], v[70:71]
	s_wait_dscnt 0x0
	v_add_nc_u64_e32 v[82:83], v[12:13], v[10:11]
	s_branch .LBB2_2434
.LBB2_2432:                             ;   in Loop: Header=BB2_2434 Depth=2
	s_or_b32 exec_lo, exec_lo, s25
.LBB2_2433:                             ;   in Loop: Header=BB2_2434 Depth=2
	s_delay_alu instid0(SALU_CYCLE_1)
	s_or_b32 exec_lo, exec_lo, s7
	v_lshl_or_b32 v11, v99, 8, v98
	v_dual_lshlrev_b32 v12, 16, v96 :: v_dual_lshlrev_b32 v13, 24, v30
	v_lshl_or_b32 v15, v112, 8, v103
	v_dual_lshlrev_b32 v16, 16, v113 :: v_dual_lshlrev_b32 v17, 24, v114
	;; [unrolled: 2-line block ×3, first 2 shown]
	v_dual_lshlrev_b32 v97, 24, v10 :: v_dual_sub_nc_u32 v101, v101, v36
	v_lshlrev_b32_e32 v14, 16, v14
	v_lshl_or_b32 v86, v87, 8, v86
	v_or3_b32 v11, v11, v12, v13
	v_or3_b32 v10, v15, v16, v17
	;; [unrolled: 1-line block ×3, first 2 shown]
	v_sub_nc_u32_e32 v102, v102, v50
	v_or3_b32 v13, v86, v14, v97
	v_add_nc_u64_e32 v[80:81], v[80:81], v[50:51]
	v_add_nc_u64_e32 v[82:83], v[82:83], v[50:51]
	s_delay_alu instid0(VALU_DEP_4) | instskip(SKIP_4) | instid1(SALU_CYCLE_1)
	v_cmp_gt_i32_e32 vcc_lo, 16, v102
	global_store_b128 v[84:85], v[10:13], off th:TH_STORE_NT
	s_wait_xcnt 0x0
	v_add_nc_u64_e32 v[84:85], v[84:85], v[50:51]
	s_or_b32 s24, vcc_lo, s24
	s_and_not1_b32 exec_lo, exec_lo, s24
	s_cbranch_execz .LBB2_3009
.LBB2_2434:                             ;   Parent Loop BB2_1777 Depth=1
                                        ; =>  This Inner Loop Header: Depth=2
	global_load_b128 v[14:17], v[80:81], off th:TH_LOAD_NT
	global_load_b128 v[10:13], v[82:83], off th:TH_LOAD_NT
	s_wait_loadcnt 0x1
	v_and_b32_e32 v30, 0xff, v14
	s_delay_alu instid0(VALU_DEP_1)
	v_cmp_ne_u16_e32 vcc_lo, 0, v30
	v_mov_b32_e32 v30, 0
	s_wait_xcnt 0x0
	s_and_saveexec_b32 s7, vcc_lo
	s_cbranch_execz .LBB2_2444
; %bb.2435:                             ;   in Loop: Header=BB2_2434 Depth=2
	v_bfe_i32 v86, v14, 0, 8
	v_bfrev_b32_e32 v30, 1
	s_mov_b32 s25, exec_lo
	s_delay_alu instid0(VALU_DEP_2)
	v_cmpx_ne_u16_e32 0xff80, v86
	s_cbranch_execz .LBB2_2443
; %bb.2436:                             ;   in Loop: Header=BB2_2434 Depth=2
	v_and_b32_e32 v30, 0x7c, v14
	v_and_b32_e32 v38, 3, v14
	s_delay_alu instid0(VALU_DEP_2) | instskip(SKIP_1) | instid1(SALU_CYCLE_1)
	v_cmp_ne_u32_e32 vcc_lo, 0x7c, v30
                                        ; implicit-def: $vgpr30
	s_and_saveexec_b32 s26, vcc_lo
	s_xor_b32 s26, exec_lo, s26
	s_cbranch_execz .LBB2_2440
; %bb.2437:                             ;   in Loop: Header=BB2_2434 Depth=2
	v_bfe_u32 v30, v14, 2, 5
	s_mov_b32 s27, exec_lo
	s_delay_alu instid0(VALU_DEP_1)
	v_cmpx_eq_u32_e32 0, v30
; %bb.2438:                             ;   in Loop: Header=BB2_2434 Depth=2
	v_clz_i32_u32_e32 v30, v38
	s_delay_alu instid0(VALU_DEP_1) | instskip(NEXT) | instid1(VALU_DEP_1)
	v_min_u32_e32 v30, 32, v30
	v_subrev_nc_u32_e32 v38, 29, v30
	v_sub_nc_u32_e32 v30, 30, v30
	s_delay_alu instid0(VALU_DEP_2) | instskip(NEXT) | instid1(VALU_DEP_1)
	v_lshlrev_b64_e32 v[86:87], v38, v[14:15]
	v_and_b32_e32 v38, 3, v86
; %bb.2439:                             ;   in Loop: Header=BB2_2434 Depth=2
	s_or_b32 exec_lo, exec_lo, s27
	v_lshlrev_b32_e32 v86, 24, v14
	s_delay_alu instid0(VALU_DEP_1) | instskip(NEXT) | instid1(VALU_DEP_1)
	v_and_b32_e32 v86, 0x80000000, v86
	v_lshl_add_u32 v30, v30, 23, v86
                                        ; implicit-def: $vgpr86
	s_delay_alu instid0(VALU_DEP_1) | instskip(NEXT) | instid1(VALU_DEP_1)
	v_lshl_or_b32 v30, v38, 21, v30
                                        ; implicit-def: $vgpr38
	v_add_nc_u32_e32 v30, 0x38000000, v30
.LBB2_2440:                             ;   in Loop: Header=BB2_2434 Depth=2
	s_and_not1_saveexec_b32 s26, s26
; %bb.2441:                             ;   in Loop: Header=BB2_2434 Depth=2
	v_cmp_lt_i16_e32 vcc_lo, -1, v86
	v_cndmask_b32_e32 v30, 0xff800000, v45, vcc_lo
	v_cmp_eq_u32_e32 vcc_lo, 0, v38
	s_delay_alu instid0(VALU_DEP_2)
	v_cndmask_b32_e32 v30, 0x7f800001, v30, vcc_lo
; %bb.2442:                             ;   in Loop: Header=BB2_2434 Depth=2
	s_or_b32 exec_lo, exec_lo, s26
.LBB2_2443:                             ;   in Loop: Header=BB2_2434 Depth=2
	s_delay_alu instid0(SALU_CYCLE_1)
	s_or_b32 exec_lo, exec_lo, s25
.LBB2_2444:                             ;   in Loop: Header=BB2_2434 Depth=2
	s_delay_alu instid0(SALU_CYCLE_1) | instskip(SKIP_4) | instid1(VALU_DEP_1)
	s_or_b32 exec_lo, exec_lo, s7
	s_wait_loadcnt 0x0
	v_and_b32_e32 v86, 0xff, v10
	s_mov_b32 s25, 0
	s_mov_b32 s7, exec_lo
	v_cmpx_lt_i16_e32 0x7f, v86
	s_xor_b32 s7, exec_lo, s7
	s_cbranch_execz .LBB2_2985
; %bb.2445:                             ;   in Loop: Header=BB2_2434 Depth=2
	s_mov_b32 s25, -1
	s_mov_b32 s26, exec_lo
	v_cmpx_eq_u16_e32 0x80, v86
; %bb.2446:                             ;   in Loop: Header=BB2_2434 Depth=2
	s_xor_b32 s25, exec_lo, -1
; %bb.2447:                             ;   in Loop: Header=BB2_2434 Depth=2
	s_or_b32 exec_lo, exec_lo, s26
	s_delay_alu instid0(SALU_CYCLE_1)
	s_and_b32 s25, s25, exec_lo
                                        ; implicit-def: $vgpr86
	s_or_saveexec_b32 s7, s7
	v_bfrev_b32_e32 v38, 1
	s_xor_b32 exec_lo, exec_lo, s7
	s_cbranch_execnz .LBB2_2986
.LBB2_2448:                             ;   in Loop: Header=BB2_2434 Depth=2
	s_or_b32 exec_lo, exec_lo, s7
	s_and_saveexec_b32 s7, s25
	s_cbranch_execz .LBB2_2450
.LBB2_2449:                             ;   in Loop: Header=BB2_2434 Depth=2
	v_and_b32_e32 v38, 3, v10
	v_bfe_u32 v97, v10, 2, 5
	s_delay_alu instid0(VALU_DEP_2) | instskip(NEXT) | instid1(VALU_DEP_2)
	v_clz_i32_u32_e32 v86, v38
	v_cmp_eq_u32_e32 vcc_lo, 0, v97
	s_delay_alu instid0(VALU_DEP_2) | instskip(NEXT) | instid1(VALU_DEP_1)
	v_min_u32_e32 v96, 32, v86
	v_subrev_nc_u32_e32 v86, 29, v96
	s_delay_alu instid0(VALU_DEP_1) | instskip(SKIP_1) | instid1(VALU_DEP_1)
	v_lshlrev_b64_e32 v[86:87], v86, v[10:11]
	v_dual_lshlrev_b32 v87, 24, v10 :: v_dual_sub_nc_u32 v96, 30, v96
	v_and_b32_e32 v87, 0x80000000, v87
	s_delay_alu instid0(VALU_DEP_2) | instskip(SKIP_1) | instid1(VALU_DEP_2)
	v_dual_cndmask_b32 v96, v97, v96, vcc_lo :: v_dual_bitop2_b32 v86, 3, v86 bitop3:0x40
	v_bfe_i32 v97, v10, 0, 8
	v_cndmask_b32_e32 v86, v38, v86, vcc_lo
	s_delay_alu instid0(VALU_DEP_3) | instskip(NEXT) | instid1(VALU_DEP_3)
	v_lshl_add_u32 v87, v96, 23, v87
	v_cmp_lt_i16_e32 vcc_lo, -1, v97
	s_delay_alu instid0(VALU_DEP_2) | instskip(SKIP_3) | instid1(VALU_DEP_4)
	v_lshl_or_b32 v86, v86, 21, v87
	v_cndmask_b32_e32 v96, 0xff800000, v45, vcc_lo
	v_and_b32_e32 v87, 0x7c, v10
	v_cmp_eq_u32_e32 vcc_lo, 0, v38
	v_add_nc_u32_e32 v86, 0x38000000, v86
	s_delay_alu instid0(VALU_DEP_4) | instskip(NEXT) | instid1(VALU_DEP_4)
	v_cndmask_b32_e32 v38, 0x7f800001, v96, vcc_lo
	v_cmp_eq_u32_e32 vcc_lo, 0x7c, v87
	s_delay_alu instid0(VALU_DEP_2)
	v_cndmask_b32_e32 v38, v86, v38, vcc_lo
.LBB2_2450:                             ;   in Loop: Header=BB2_2434 Depth=2
	s_or_b32 exec_lo, exec_lo, s7
	s_delay_alu instid0(VALU_DEP_1) | instskip(SKIP_1) | instid1(VALU_DEP_1)
	v_dual_mul_f32 v86, v30, v38 :: v_dual_mov_b32 v97, v39
                                        ; implicit-def: $vgpr103
	s_mov_b32 s7, exec_lo
	v_and_b32_e32 v96, 0x7f800000, v86
	v_and_b32_e32 v38, 0x7fffff, v86
	v_lshrrev_b32_e32 v30, 24, v86
	s_delay_alu instid0(VALU_DEP_3)
	v_cmpx_ne_u64_e32 0x7f800000, v[96:97]
	s_xor_b32 s25, exec_lo, s7
	s_cbranch_execz .LBB2_2464
; %bb.2451:                             ;   in Loop: Header=BB2_2434 Depth=2
	v_and_b32_e32 v96, 0x7fffffff, v86
	v_mov_b32_e32 v97, v39
	v_and_b32_e32 v30, 0x80, v30
                                        ; implicit-def: $vgpr103
	s_mov_b32 s7, exec_lo
	s_delay_alu instid0(VALU_DEP_2)
	v_cmpx_gt_u64_e32 0x47600001, v[96:97]
	s_xor_b32 s26, exec_lo, s7
	s_cbranch_execz .LBB2_2461
; %bb.2452:                             ;   in Loop: Header=BB2_2434 Depth=2
	v_mov_b32_e32 v103, 0
	s_mov_b32 s27, exec_lo
	v_cmpx_ne_u32_e32 0, v86
	s_cbranch_execz .LBB2_2460
; %bb.2453:                             ;   in Loop: Header=BB2_2434 Depth=2
	v_bfe_u32 v98, v86, 23, 8
	v_or_b32_e32 v96, 0x800000, v38
	s_delay_alu instid0(VALU_DEP_2) | instskip(SKIP_1) | instid1(VALU_DEP_2)
	v_sub_nc_u32_e32 v86, 0x71, v98
	v_cmp_gt_u32_e32 vcc_lo, 0x72, v98
	v_cndmask_b32_e32 v86, 0, v86, vcc_lo
	v_cmp_eq_u32_e32 vcc_lo, 0, v98
	s_delay_alu instid0(VALU_DEP_2) | instskip(NEXT) | instid1(VALU_DEP_1)
	v_cndmask_b32_e64 v99, v86, 0x70, vcc_lo
	v_dual_cndmask_b32 v38, v96, v38, vcc_lo :: v_dual_add_nc_u32 v86, 21, v99
	v_add_nc_u32_e32 v97, 20, v99
	s_delay_alu instid0(VALU_DEP_2) | instskip(NEXT) | instid1(VALU_DEP_2)
	v_lshlrev_b64_e64 v[86:87], v86, -1
	v_lshlrev_b64_e64 v[96:97], v97, 1
	s_delay_alu instid0(VALU_DEP_2) | instskip(NEXT) | instid1(VALU_DEP_3)
	v_bfi_b32 v113, v87, 0, 0
	v_bfi_b32 v112, v86, 0, v38
	v_lshrrev_b64 v[86:87], v99, v[38:39]
	s_delay_alu instid0(VALU_DEP_2) | instskip(NEXT) | instid1(VALU_DEP_2)
	v_cmp_eq_u64_e64 s7, v[112:113], v[96:97]
	v_mov_b64_e32 v[96:97], v[86:87]
	s_and_saveexec_b32 s28, s7
; %bb.2454:                             ;   in Loop: Header=BB2_2434 Depth=2
	v_bfe_u32 v38, v86, 21, 1
	s_delay_alu instid0(VALU_DEP_1) | instskip(NEXT) | instid1(VALU_DEP_1)
	v_add_nc_u64_e32 v[96:97], v[86:87], v[38:39]
	v_add_nc_u64_e32 v[96:97], -1, v[96:97]
; %bb.2455:                             ;   in Loop: Header=BB2_2434 Depth=2
	s_or_b32 exec_lo, exec_lo, s28
	v_add_nc_u32_e32 v38, 0xffffff81, v98
	v_lshrrev_b32_e32 v87, 23, v86
	s_mov_b32 s7, exec_lo
	s_delay_alu instid0(VALU_DEP_2) | instskip(NEXT) | instid1(VALU_DEP_1)
	v_cndmask_b32_e64 v38, v38, 0xffffff82, vcc_lo
	v_add3_u32 v97, v99, v38, v87
	v_and_b32_e32 v38, 0x1fffff, v96
                                        ; implicit-def: $vgpr96
	s_delay_alu instid0(VALU_DEP_1) | instskip(NEXT) | instid1(VALU_DEP_1)
	v_dual_add_nc_u32 v98, 14, v97 :: v_dual_add_nc_u32 v38, v38, v86
                                        ; implicit-def: $vgpr86_vgpr87
	v_cmpx_ne_u32_e32 0, v98
	s_xor_b32 s7, exec_lo, s7
; %bb.2456:                             ;   in Loop: Header=BB2_2434 Depth=2
	s_delay_alu instid0(VALU_DEP_2) | instskip(SKIP_1) | instid1(VALU_DEP_1)
	v_cmp_lt_u64_e32 vcc_lo, 0xffffff, v[38:39]
	v_add_nc_u32_e32 v86, 15, v97
	v_cndmask_b32_e32 v96, v98, v86, vcc_lo
	v_cndmask_b32_e64 v86, 0, 1, vcc_lo
	s_delay_alu instid0(VALU_DEP_1)
	v_lshrrev_b64 v[86:87], v86, v[38:39]
; %bb.2457:                             ;   in Loop: Header=BB2_2434 Depth=2
	s_and_not1_saveexec_b32 s7, s7
; %bb.2458:                             ;   in Loop: Header=BB2_2434 Depth=2
	v_mov_b64_e32 v[86:87], v[38:39]
	v_bfe_u32 v96, v38, 23, 1
; %bb.2459:                             ;   in Loop: Header=BB2_2434 Depth=2
	s_or_b32 exec_lo, exec_lo, s7
	s_delay_alu instid0(VALU_DEP_2) | instskip(NEXT) | instid1(VALU_DEP_2)
	v_lshrrev_b64 v[86:87], 21, v[86:87]
	v_cmp_gt_i32_e32 vcc_lo, 32, v96
	v_min_i32_e32 v38, 31, v96
	v_cmp_eq_u32_e64 s7, 0, v96
	s_delay_alu instid0(VALU_DEP_2) | instskip(SKIP_1) | instid1(VALU_DEP_2)
	v_dual_cndmask_b32 v87, 0, v87 :: v_dual_lshlrev_b32 v38, 2, v38
	v_cndmask_b32_e32 v86, 3, v86, vcc_lo
	v_and_b32_e32 v38, 0xfc, v38
	s_delay_alu instid0(VALU_DEP_2) | instskip(NEXT) | instid1(VALU_DEP_2)
	v_cmp_eq_u64_e32 vcc_lo, 0, v[86:87]
	v_and_or_b32 v38, v86, 3, v38
	s_and_b32 s7, s7, vcc_lo
	s_delay_alu instid0(VALU_DEP_1) | instid1(SALU_CYCLE_1)
	v_cndmask_b32_e64 v38, v38, 0, s7
	s_delay_alu instid0(VALU_DEP_1)
	v_or_b32_e32 v103, v38, v30
.LBB2_2460:                             ;   in Loop: Header=BB2_2434 Depth=2
	s_or_b32 exec_lo, exec_lo, s27
                                        ; implicit-def: $vgpr30
.LBB2_2461:                             ;   in Loop: Header=BB2_2434 Depth=2
	s_and_not1_saveexec_b32 s7, s26
; %bb.2462:                             ;   in Loop: Header=BB2_2434 Depth=2
	v_or_b32_e32 v103, 0x7b, v30
; %bb.2463:                             ;   in Loop: Header=BB2_2434 Depth=2
	s_or_b32 exec_lo, exec_lo, s7
                                        ; implicit-def: $vgpr86
                                        ; implicit-def: $vgpr30
.LBB2_2464:                             ;   in Loop: Header=BB2_2434 Depth=2
	s_and_not1_saveexec_b32 s7, s25
	s_cbranch_execz .LBB2_2470
; %bb.2465:                             ;   in Loop: Header=BB2_2434 Depth=2
	s_mov_b32 s25, exec_lo
                                        ; implicit-def: $vgpr103
	v_cmpx_ne_u64_e32 0, v[38:39]
	s_xor_b32 s25, exec_lo, s25
; %bb.2466:                             ;   in Loop: Header=BB2_2434 Depth=2
	v_or_b32_e32 v103, 0x7f, v30
                                        ; implicit-def: $vgpr86
; %bb.2467:                             ;   in Loop: Header=BB2_2434 Depth=2
	s_and_not1_saveexec_b32 s25, s25
; %bb.2468:                             ;   in Loop: Header=BB2_2434 Depth=2
	v_cmp_lt_i32_e32 vcc_lo, -1, v86
	v_cndmask_b32_e32 v103, 0xfc, v46, vcc_lo
; %bb.2469:                             ;   in Loop: Header=BB2_2434 Depth=2
	s_or_b32 exec_lo, exec_lo, s25
.LBB2_2470:                             ;   in Loop: Header=BB2_2434 Depth=2
	s_delay_alu instid0(SALU_CYCLE_1) | instskip(SKIP_3) | instid1(VALU_DEP_2)
	s_or_b32 exec_lo, exec_lo, s7
	v_lshrrev_b16 v38, 8, v14
	v_mov_b32_e32 v30, 0
	s_mov_b32 s7, exec_lo
	v_cmpx_ne_u16_e32 0, v38
	s_cbranch_execz .LBB2_2480
; %bb.2471:                             ;   in Loop: Header=BB2_2434 Depth=2
	v_bfrev_b32_e32 v30, 1
	s_mov_b32 s25, exec_lo
	v_cmpx_ne_u16_e32 0x80, v38
	s_cbranch_execz .LBB2_2479
; %bb.2472:                             ;   in Loop: Header=BB2_2434 Depth=2
	v_and_b32_e32 v87, 0xffff, v38
	s_delay_alu instid0(VALU_DEP_1) | instskip(SKIP_1) | instid1(VALU_DEP_2)
	v_and_b32_e32 v30, 0x7c, v87
	v_and_b32_e32 v86, 3, v87
	v_cmp_ne_u32_e32 vcc_lo, 0x7c, v30
                                        ; implicit-def: $vgpr30
	s_and_saveexec_b32 s26, vcc_lo
	s_delay_alu instid0(SALU_CYCLE_1)
	s_xor_b32 s26, exec_lo, s26
	s_cbranch_execz .LBB2_2476
; %bb.2473:                             ;   in Loop: Header=BB2_2434 Depth=2
	v_bfe_u32 v30, v87, 2, 5
	s_mov_b32 s27, exec_lo
	s_delay_alu instid0(VALU_DEP_1)
	v_cmpx_eq_u32_e32 0, v30
; %bb.2474:                             ;   in Loop: Header=BB2_2434 Depth=2
	v_clz_i32_u32_e32 v30, v86
	s_delay_alu instid0(VALU_DEP_1) | instskip(NEXT) | instid1(VALU_DEP_1)
	v_min_u32_e32 v30, 32, v30
	v_subrev_nc_u32_e32 v86, 29, v30
	v_sub_nc_u32_e32 v30, 30, v30
	s_delay_alu instid0(VALU_DEP_2) | instskip(NEXT) | instid1(VALU_DEP_1)
	v_lshlrev_b64_e32 v[86:87], v86, v[38:39]
	v_and_b32_e32 v86, 3, v86
; %bb.2475:                             ;   in Loop: Header=BB2_2434 Depth=2
	s_or_b32 exec_lo, exec_lo, s27
	v_lshlrev_b32_e32 v38, 16, v14
	s_delay_alu instid0(VALU_DEP_1) | instskip(NEXT) | instid1(VALU_DEP_1)
	v_and_b32_e32 v38, 0x80000000, v38
	v_lshl_add_u32 v30, v30, 23, v38
	s_delay_alu instid0(VALU_DEP_1) | instskip(NEXT) | instid1(VALU_DEP_1)
	v_lshl_or_b32 v30, v86, 21, v30
                                        ; implicit-def: $vgpr86
	v_add_nc_u32_e32 v30, 0x38000000, v30
.LBB2_2476:                             ;   in Loop: Header=BB2_2434 Depth=2
	s_and_not1_saveexec_b32 s26, s26
; %bb.2477:                             ;   in Loop: Header=BB2_2434 Depth=2
	v_cmp_lt_i16_e32 vcc_lo, -1, v14
	v_cndmask_b32_e32 v30, 0xff800000, v45, vcc_lo
	v_cmp_eq_u32_e32 vcc_lo, 0, v86
	s_delay_alu instid0(VALU_DEP_2)
	v_cndmask_b32_e32 v30, 0x7f800001, v30, vcc_lo
; %bb.2478:                             ;   in Loop: Header=BB2_2434 Depth=2
	s_or_b32 exec_lo, exec_lo, s26
.LBB2_2479:                             ;   in Loop: Header=BB2_2434 Depth=2
	s_delay_alu instid0(SALU_CYCLE_1)
	s_or_b32 exec_lo, exec_lo, s25
.LBB2_2480:                             ;   in Loop: Header=BB2_2434 Depth=2
	s_delay_alu instid0(SALU_CYCLE_1) | instskip(SKIP_3) | instid1(VALU_DEP_1)
	s_or_b32 exec_lo, exec_lo, s7
	v_lshrrev_b16 v38, 8, v10
	s_mov_b32 s25, 0
	s_mov_b32 s7, exec_lo
	v_cmpx_lt_i16_e32 0x7f, v38
	s_xor_b32 s7, exec_lo, s7
	s_cbranch_execz .LBB2_2987
; %bb.2481:                             ;   in Loop: Header=BB2_2434 Depth=2
	s_mov_b32 s25, -1
	s_mov_b32 s26, exec_lo
	v_cmpx_eq_u16_e32 0x80, v38
; %bb.2482:                             ;   in Loop: Header=BB2_2434 Depth=2
	s_xor_b32 s25, exec_lo, -1
; %bb.2483:                             ;   in Loop: Header=BB2_2434 Depth=2
	s_or_b32 exec_lo, exec_lo, s26
	s_delay_alu instid0(SALU_CYCLE_1)
	s_and_b32 s25, s25, exec_lo
	s_or_saveexec_b32 s7, s7
	v_bfrev_b32_e32 v86, 1
	s_xor_b32 exec_lo, exec_lo, s7
	s_cbranch_execnz .LBB2_2988
.LBB2_2484:                             ;   in Loop: Header=BB2_2434 Depth=2
	s_or_b32 exec_lo, exec_lo, s7
	s_and_saveexec_b32 s7, s25
	s_cbranch_execz .LBB2_2486
.LBB2_2485:                             ;   in Loop: Header=BB2_2434 Depth=2
	v_and_b32_e32 v96, 0xffff, v38
	s_delay_alu instid0(VALU_DEP_1) | instskip(NEXT) | instid1(VALU_DEP_1)
	v_and_b32_e32 v97, 3, v96
	v_clz_i32_u32_e32 v86, v97
	s_delay_alu instid0(VALU_DEP_1) | instskip(NEXT) | instid1(VALU_DEP_1)
	v_min_u32_e32 v98, 32, v86
	v_subrev_nc_u32_e32 v86, 29, v98
	v_sub_nc_u32_e32 v98, 30, v98
	s_delay_alu instid0(VALU_DEP_2) | instskip(SKIP_2) | instid1(VALU_DEP_2)
	v_lshlrev_b64_e32 v[86:87], v86, v[38:39]
	v_bfe_u32 v87, v96, 2, 5
	v_lshlrev_b32_e32 v38, 24, v38
	v_cmp_eq_u32_e32 vcc_lo, 0, v87
	s_delay_alu instid0(VALU_DEP_2) | instskip(SKIP_2) | instid1(VALU_DEP_2)
	v_and_b32_e32 v38, 0x80000000, v38
	v_and_b32_e32 v86, 3, v86
	v_cndmask_b32_e32 v87, v87, v98, vcc_lo
	v_cndmask_b32_e32 v86, v97, v86, vcc_lo
	v_cmp_lt_i16_e32 vcc_lo, -1, v10
	s_delay_alu instid0(VALU_DEP_3) | instskip(SKIP_2) | instid1(VALU_DEP_3)
	v_lshl_add_u32 v38, v87, 23, v38
	v_cndmask_b32_e32 v87, 0xff800000, v45, vcc_lo
	v_cmp_eq_u32_e32 vcc_lo, 0, v97
	v_lshl_or_b32 v38, v86, 21, v38
	v_and_b32_e32 v86, 0x7c, v96
	s_delay_alu instid0(VALU_DEP_4) | instskip(NEXT) | instid1(VALU_DEP_3)
	v_cndmask_b32_e32 v87, 0x7f800001, v87, vcc_lo
	v_add_nc_u32_e32 v38, 0x38000000, v38
	s_delay_alu instid0(VALU_DEP_3) | instskip(NEXT) | instid1(VALU_DEP_2)
	v_cmp_eq_u32_e32 vcc_lo, 0x7c, v86
	v_cndmask_b32_e32 v86, v38, v87, vcc_lo
.LBB2_2486:                             ;   in Loop: Header=BB2_2434 Depth=2
	s_or_b32 exec_lo, exec_lo, s7
	s_delay_alu instid0(VALU_DEP_1) | instskip(SKIP_1) | instid1(VALU_DEP_1)
	v_dual_mul_f32 v86, v30, v86 :: v_dual_mov_b32 v97, v39
                                        ; implicit-def: $vgpr112
	s_mov_b32 s7, exec_lo
	v_and_b32_e32 v96, 0x7f800000, v86
	v_and_b32_e32 v38, 0x7fffff, v86
	v_lshrrev_b32_e32 v30, 24, v86
	s_delay_alu instid0(VALU_DEP_3)
	v_cmpx_ne_u64_e32 0x7f800000, v[96:97]
	s_xor_b32 s25, exec_lo, s7
	s_cbranch_execz .LBB2_2500
; %bb.2487:                             ;   in Loop: Header=BB2_2434 Depth=2
	v_and_b32_e32 v96, 0x7fffffff, v86
	v_mov_b32_e32 v97, v39
	v_and_b32_e32 v30, 0x80, v30
                                        ; implicit-def: $vgpr112
	s_mov_b32 s7, exec_lo
	s_delay_alu instid0(VALU_DEP_2)
	v_cmpx_gt_u64_e32 0x47600001, v[96:97]
	s_xor_b32 s26, exec_lo, s7
	s_cbranch_execz .LBB2_2497
; %bb.2488:                             ;   in Loop: Header=BB2_2434 Depth=2
	v_mov_b32_e32 v112, 0
	s_mov_b32 s27, exec_lo
	v_cmpx_ne_u32_e32 0, v86
	s_cbranch_execz .LBB2_2496
; %bb.2489:                             ;   in Loop: Header=BB2_2434 Depth=2
	v_bfe_u32 v98, v86, 23, 8
	v_or_b32_e32 v96, 0x800000, v38
	s_delay_alu instid0(VALU_DEP_2) | instskip(SKIP_1) | instid1(VALU_DEP_2)
	v_sub_nc_u32_e32 v86, 0x71, v98
	v_cmp_gt_u32_e32 vcc_lo, 0x72, v98
	v_cndmask_b32_e32 v86, 0, v86, vcc_lo
	v_cmp_eq_u32_e32 vcc_lo, 0, v98
	s_delay_alu instid0(VALU_DEP_2) | instskip(NEXT) | instid1(VALU_DEP_1)
	v_cndmask_b32_e64 v99, v86, 0x70, vcc_lo
	v_dual_cndmask_b32 v38, v96, v38, vcc_lo :: v_dual_add_nc_u32 v86, 21, v99
	v_add_nc_u32_e32 v97, 20, v99
	s_delay_alu instid0(VALU_DEP_2) | instskip(NEXT) | instid1(VALU_DEP_2)
	v_lshlrev_b64_e64 v[86:87], v86, -1
	v_lshlrev_b64_e64 v[96:97], v97, 1
	s_delay_alu instid0(VALU_DEP_2) | instskip(NEXT) | instid1(VALU_DEP_3)
	v_bfi_b32 v113, v87, 0, 0
	v_bfi_b32 v112, v86, 0, v38
	v_lshrrev_b64 v[86:87], v99, v[38:39]
	s_delay_alu instid0(VALU_DEP_2) | instskip(NEXT) | instid1(VALU_DEP_2)
	v_cmp_eq_u64_e64 s7, v[112:113], v[96:97]
	v_mov_b64_e32 v[96:97], v[86:87]
	s_and_saveexec_b32 s28, s7
; %bb.2490:                             ;   in Loop: Header=BB2_2434 Depth=2
	v_bfe_u32 v38, v86, 21, 1
	s_delay_alu instid0(VALU_DEP_1) | instskip(NEXT) | instid1(VALU_DEP_1)
	v_add_nc_u64_e32 v[96:97], v[86:87], v[38:39]
	v_add_nc_u64_e32 v[96:97], -1, v[96:97]
; %bb.2491:                             ;   in Loop: Header=BB2_2434 Depth=2
	s_or_b32 exec_lo, exec_lo, s28
	v_add_nc_u32_e32 v38, 0xffffff81, v98
	v_lshrrev_b32_e32 v87, 23, v86
	s_mov_b32 s7, exec_lo
	s_delay_alu instid0(VALU_DEP_2) | instskip(NEXT) | instid1(VALU_DEP_1)
	v_cndmask_b32_e64 v38, v38, 0xffffff82, vcc_lo
	v_add3_u32 v97, v99, v38, v87
	v_and_b32_e32 v38, 0x1fffff, v96
                                        ; implicit-def: $vgpr96
	s_delay_alu instid0(VALU_DEP_1) | instskip(NEXT) | instid1(VALU_DEP_1)
	v_dual_add_nc_u32 v98, 14, v97 :: v_dual_add_nc_u32 v38, v38, v86
                                        ; implicit-def: $vgpr86_vgpr87
	v_cmpx_ne_u32_e32 0, v98
	s_xor_b32 s7, exec_lo, s7
; %bb.2492:                             ;   in Loop: Header=BB2_2434 Depth=2
	s_delay_alu instid0(VALU_DEP_2) | instskip(SKIP_1) | instid1(VALU_DEP_1)
	v_cmp_lt_u64_e32 vcc_lo, 0xffffff, v[38:39]
	v_add_nc_u32_e32 v86, 15, v97
	v_cndmask_b32_e32 v96, v98, v86, vcc_lo
	v_cndmask_b32_e64 v86, 0, 1, vcc_lo
	s_delay_alu instid0(VALU_DEP_1)
	v_lshrrev_b64 v[86:87], v86, v[38:39]
; %bb.2493:                             ;   in Loop: Header=BB2_2434 Depth=2
	s_and_not1_saveexec_b32 s7, s7
; %bb.2494:                             ;   in Loop: Header=BB2_2434 Depth=2
	v_mov_b64_e32 v[86:87], v[38:39]
	v_bfe_u32 v96, v38, 23, 1
; %bb.2495:                             ;   in Loop: Header=BB2_2434 Depth=2
	s_or_b32 exec_lo, exec_lo, s7
	s_delay_alu instid0(VALU_DEP_2) | instskip(NEXT) | instid1(VALU_DEP_2)
	v_lshrrev_b64 v[86:87], 21, v[86:87]
	v_cmp_gt_i32_e32 vcc_lo, 32, v96
	v_min_i32_e32 v38, 31, v96
	v_cmp_eq_u32_e64 s7, 0, v96
	s_delay_alu instid0(VALU_DEP_2) | instskip(SKIP_1) | instid1(VALU_DEP_2)
	v_dual_cndmask_b32 v87, 0, v87 :: v_dual_lshlrev_b32 v38, 2, v38
	v_cndmask_b32_e32 v86, 3, v86, vcc_lo
	v_and_b32_e32 v38, 0xfc, v38
	s_delay_alu instid0(VALU_DEP_2) | instskip(NEXT) | instid1(VALU_DEP_2)
	v_cmp_eq_u64_e32 vcc_lo, 0, v[86:87]
	v_and_or_b32 v38, v86, 3, v38
	s_and_b32 s7, s7, vcc_lo
	s_delay_alu instid0(VALU_DEP_1) | instid1(SALU_CYCLE_1)
	v_cndmask_b32_e64 v38, v38, 0, s7
	s_delay_alu instid0(VALU_DEP_1)
	v_or_b32_e32 v112, v38, v30
.LBB2_2496:                             ;   in Loop: Header=BB2_2434 Depth=2
	s_or_b32 exec_lo, exec_lo, s27
                                        ; implicit-def: $vgpr30
.LBB2_2497:                             ;   in Loop: Header=BB2_2434 Depth=2
	s_and_not1_saveexec_b32 s7, s26
; %bb.2498:                             ;   in Loop: Header=BB2_2434 Depth=2
	v_or_b32_e32 v112, 0x7b, v30
; %bb.2499:                             ;   in Loop: Header=BB2_2434 Depth=2
	s_or_b32 exec_lo, exec_lo, s7
                                        ; implicit-def: $vgpr86
                                        ; implicit-def: $vgpr30
.LBB2_2500:                             ;   in Loop: Header=BB2_2434 Depth=2
	s_and_not1_saveexec_b32 s7, s25
	s_cbranch_execz .LBB2_2506
; %bb.2501:                             ;   in Loop: Header=BB2_2434 Depth=2
	s_mov_b32 s25, exec_lo
                                        ; implicit-def: $vgpr112
	v_cmpx_ne_u64_e32 0, v[38:39]
	s_xor_b32 s25, exec_lo, s25
; %bb.2502:                             ;   in Loop: Header=BB2_2434 Depth=2
	v_or_b32_e32 v112, 0x7f, v30
                                        ; implicit-def: $vgpr86
; %bb.2503:                             ;   in Loop: Header=BB2_2434 Depth=2
	s_and_not1_saveexec_b32 s25, s25
; %bb.2504:                             ;   in Loop: Header=BB2_2434 Depth=2
	v_cmp_lt_i32_e32 vcc_lo, -1, v86
	v_cndmask_b32_e32 v112, 0xfc, v46, vcc_lo
; %bb.2505:                             ;   in Loop: Header=BB2_2434 Depth=2
	s_or_b32 exec_lo, exec_lo, s25
.LBB2_2506:                             ;   in Loop: Header=BB2_2434 Depth=2
	s_delay_alu instid0(SALU_CYCLE_1) | instskip(SKIP_2) | instid1(VALU_DEP_1)
	s_or_b32 exec_lo, exec_lo, s7
	v_dual_lshrrev_b32 v30, 16, v14 :: v_dual_mov_b32 v38, 0
	s_mov_b32 s7, exec_lo
	v_and_b32_e32 v86, 0xff, v30
	s_delay_alu instid0(VALU_DEP_1)
	v_cmpx_ne_u16_e32 0, v86
	s_cbranch_execz .LBB2_2516
; %bb.2507:                             ;   in Loop: Header=BB2_2434 Depth=2
	v_bfrev_b32_e32 v38, 1
	s_mov_b32 s25, exec_lo
	v_cmpx_ne_u16_e32 0x80, v86
	s_cbranch_execz .LBB2_2515
; %bb.2508:                             ;   in Loop: Header=BB2_2434 Depth=2
	v_and_b32_e32 v38, 0x7c0000, v14
	v_bfe_u32 v86, v14, 16, 2
	s_delay_alu instid0(VALU_DEP_2) | instskip(SKIP_1) | instid1(SALU_CYCLE_1)
	v_cmp_ne_u32_e32 vcc_lo, 0x7c0000, v38
                                        ; implicit-def: $vgpr38
	s_and_saveexec_b32 s26, vcc_lo
	s_xor_b32 s26, exec_lo, s26
	s_cbranch_execz .LBB2_2512
; %bb.2509:                             ;   in Loop: Header=BB2_2434 Depth=2
	v_bfe_u32 v38, v14, 18, 5
	s_mov_b32 s27, exec_lo
	s_delay_alu instid0(VALU_DEP_1)
	v_cmpx_eq_u32_e32 0, v38
; %bb.2510:                             ;   in Loop: Header=BB2_2434 Depth=2
	v_clz_i32_u32_e32 v38, v86
	s_delay_alu instid0(VALU_DEP_1) | instskip(NEXT) | instid1(VALU_DEP_1)
	v_min_u32_e32 v38, 32, v38
	v_subrev_nc_u32_e32 v86, 29, v38
	v_sub_nc_u32_e32 v38, 30, v38
	s_delay_alu instid0(VALU_DEP_2) | instskip(NEXT) | instid1(VALU_DEP_1)
	v_lshlrev_b64_e32 v[86:87], v86, v[30:31]
	v_and_b32_e32 v86, 3, v86
; %bb.2511:                             ;   in Loop: Header=BB2_2434 Depth=2
	s_or_b32 exec_lo, exec_lo, s27
	v_lshlrev_b32_e32 v30, 24, v30
	s_delay_alu instid0(VALU_DEP_1) | instskip(NEXT) | instid1(VALU_DEP_1)
	v_and_b32_e32 v30, 0x80000000, v30
	v_lshl_add_u32 v30, v38, 23, v30
	s_delay_alu instid0(VALU_DEP_1) | instskip(NEXT) | instid1(VALU_DEP_1)
	v_lshl_or_b32 v30, v86, 21, v30
                                        ; implicit-def: $vgpr86
	v_add_nc_u32_e32 v38, 0x38000000, v30
                                        ; implicit-def: $vgpr30
.LBB2_2512:                             ;   in Loop: Header=BB2_2434 Depth=2
	s_and_not1_saveexec_b32 s26, s26
; %bb.2513:                             ;   in Loop: Header=BB2_2434 Depth=2
	v_bfe_i32 v30, v30, 0, 8
	s_delay_alu instid0(VALU_DEP_1) | instskip(SKIP_2) | instid1(VALU_DEP_2)
	v_cmp_lt_i16_e32 vcc_lo, -1, v30
	v_cndmask_b32_e32 v30, 0xff800000, v45, vcc_lo
	v_cmp_eq_u32_e32 vcc_lo, 0, v86
	v_cndmask_b32_e32 v38, 0x7f800001, v30, vcc_lo
; %bb.2514:                             ;   in Loop: Header=BB2_2434 Depth=2
	s_or_b32 exec_lo, exec_lo, s26
.LBB2_2515:                             ;   in Loop: Header=BB2_2434 Depth=2
	s_delay_alu instid0(SALU_CYCLE_1)
	s_or_b32 exec_lo, exec_lo, s25
.LBB2_2516:                             ;   in Loop: Header=BB2_2434 Depth=2
	s_delay_alu instid0(SALU_CYCLE_1) | instskip(SKIP_3) | instid1(VALU_DEP_1)
	s_or_b32 exec_lo, exec_lo, s7
	v_lshrrev_b32_e32 v30, 16, v10
	s_mov_b32 s25, 0
	s_mov_b32 s7, exec_lo
	v_and_b32_e32 v87, 0xff, v30
	s_delay_alu instid0(VALU_DEP_1)
	v_cmpx_lt_i16_e32 0x7f, v87
	s_xor_b32 s7, exec_lo, s7
	s_cbranch_execz .LBB2_2989
; %bb.2517:                             ;   in Loop: Header=BB2_2434 Depth=2
	s_mov_b32 s25, -1
	s_mov_b32 s26, exec_lo
	v_cmpx_eq_u16_e32 0x80, v87
; %bb.2518:                             ;   in Loop: Header=BB2_2434 Depth=2
	s_xor_b32 s25, exec_lo, -1
; %bb.2519:                             ;   in Loop: Header=BB2_2434 Depth=2
	s_or_b32 exec_lo, exec_lo, s26
	s_delay_alu instid0(SALU_CYCLE_1)
	s_and_b32 s25, s25, exec_lo
                                        ; implicit-def: $vgpr87
	s_or_saveexec_b32 s7, s7
	v_bfrev_b32_e32 v86, 1
	s_xor_b32 exec_lo, exec_lo, s7
	s_cbranch_execnz .LBB2_2990
.LBB2_2520:                             ;   in Loop: Header=BB2_2434 Depth=2
	s_or_b32 exec_lo, exec_lo, s7
	s_and_saveexec_b32 s7, s25
	s_cbranch_execz .LBB2_2522
.LBB2_2521:                             ;   in Loop: Header=BB2_2434 Depth=2
	v_and_b32_e32 v96, 3, v30
	v_bfe_u32 v98, v10, 18, 5
	s_delay_alu instid0(VALU_DEP_2) | instskip(NEXT) | instid1(VALU_DEP_2)
	v_clz_i32_u32_e32 v86, v96
	v_cmp_eq_u32_e32 vcc_lo, 0, v98
	s_delay_alu instid0(VALU_DEP_2) | instskip(NEXT) | instid1(VALU_DEP_1)
	v_min_u32_e32 v97, 32, v86
	v_subrev_nc_u32_e32 v86, 29, v97
	s_delay_alu instid0(VALU_DEP_1) | instskip(SKIP_2) | instid1(VALU_DEP_2)
	v_lshlrev_b64_e32 v[86:87], v86, v[30:31]
	v_dual_lshlrev_b32 v87, 24, v30 :: v_dual_sub_nc_u32 v97, 30, v97
	v_bfe_i32 v30, v30, 0, 8
	v_and_b32_e32 v87, 0x80000000, v87
	s_delay_alu instid0(VALU_DEP_3) | instskip(NEXT) | instid1(VALU_DEP_1)
	v_dual_cndmask_b32 v97, v98, v97, vcc_lo :: v_dual_bitop2_b32 v86, 3, v86 bitop3:0x40
	v_cndmask_b32_e32 v86, v96, v86, vcc_lo
	s_delay_alu instid0(VALU_DEP_2) | instskip(SKIP_1) | instid1(VALU_DEP_2)
	v_lshl_add_u32 v87, v97, 23, v87
	v_cmp_lt_i16_e32 vcc_lo, -1, v30
	v_lshl_or_b32 v86, v86, 21, v87
	v_cndmask_b32_e32 v30, 0xff800000, v45, vcc_lo
	v_and_b32_e32 v87, 0x7c0000, v10
	v_cmp_eq_u32_e32 vcc_lo, 0, v96
	s_delay_alu instid0(VALU_DEP_4) | instskip(NEXT) | instid1(VALU_DEP_4)
	v_add_nc_u32_e32 v86, 0x38000000, v86
	v_cndmask_b32_e32 v30, 0x7f800001, v30, vcc_lo
	s_delay_alu instid0(VALU_DEP_4) | instskip(NEXT) | instid1(VALU_DEP_2)
	v_cmp_eq_u32_e32 vcc_lo, 0x7c0000, v87
	v_cndmask_b32_e32 v86, v86, v30, vcc_lo
.LBB2_2522:                             ;   in Loop: Header=BB2_2434 Depth=2
	s_or_b32 exec_lo, exec_lo, s7
	s_delay_alu instid0(VALU_DEP_1) | instskip(SKIP_1) | instid1(VALU_DEP_1)
	v_dual_mul_f32 v86, v38, v86 :: v_dual_mov_b32 v97, v39
                                        ; implicit-def: $vgpr113
	s_mov_b32 s7, exec_lo
	v_and_b32_e32 v96, 0x7f800000, v86
	v_and_b32_e32 v38, 0x7fffff, v86
	v_lshrrev_b32_e32 v30, 24, v86
	s_delay_alu instid0(VALU_DEP_3)
	v_cmpx_ne_u64_e32 0x7f800000, v[96:97]
	s_xor_b32 s25, exec_lo, s7
	s_cbranch_execz .LBB2_2536
; %bb.2523:                             ;   in Loop: Header=BB2_2434 Depth=2
	v_and_b32_e32 v96, 0x7fffffff, v86
	v_mov_b32_e32 v97, v39
	v_and_b32_e32 v30, 0x80, v30
                                        ; implicit-def: $vgpr113
	s_mov_b32 s7, exec_lo
	s_delay_alu instid0(VALU_DEP_2)
	v_cmpx_gt_u64_e32 0x47600001, v[96:97]
	s_xor_b32 s26, exec_lo, s7
	s_cbranch_execz .LBB2_2533
; %bb.2524:                             ;   in Loop: Header=BB2_2434 Depth=2
	v_mov_b32_e32 v113, 0
	s_mov_b32 s27, exec_lo
	v_cmpx_ne_u32_e32 0, v86
	s_cbranch_execz .LBB2_2532
; %bb.2525:                             ;   in Loop: Header=BB2_2434 Depth=2
	v_bfe_u32 v98, v86, 23, 8
	v_or_b32_e32 v96, 0x800000, v38
	s_delay_alu instid0(VALU_DEP_2) | instskip(SKIP_1) | instid1(VALU_DEP_2)
	v_sub_nc_u32_e32 v86, 0x71, v98
	v_cmp_gt_u32_e32 vcc_lo, 0x72, v98
	v_cndmask_b32_e32 v86, 0, v86, vcc_lo
	v_cmp_eq_u32_e32 vcc_lo, 0, v98
	s_delay_alu instid0(VALU_DEP_2) | instskip(NEXT) | instid1(VALU_DEP_1)
	v_cndmask_b32_e64 v99, v86, 0x70, vcc_lo
	v_dual_cndmask_b32 v38, v96, v38, vcc_lo :: v_dual_add_nc_u32 v86, 21, v99
	v_add_nc_u32_e32 v97, 20, v99
	s_delay_alu instid0(VALU_DEP_2) | instskip(NEXT) | instid1(VALU_DEP_2)
	v_lshlrev_b64_e64 v[86:87], v86, -1
	v_lshlrev_b64_e64 v[96:97], v97, 1
	s_delay_alu instid0(VALU_DEP_2) | instskip(NEXT) | instid1(VALU_DEP_3)
	v_bfi_b32 v115, v87, 0, 0
	v_bfi_b32 v114, v86, 0, v38
	v_lshrrev_b64 v[86:87], v99, v[38:39]
	s_delay_alu instid0(VALU_DEP_2) | instskip(NEXT) | instid1(VALU_DEP_2)
	v_cmp_eq_u64_e64 s7, v[114:115], v[96:97]
	v_mov_b64_e32 v[96:97], v[86:87]
	s_and_saveexec_b32 s28, s7
; %bb.2526:                             ;   in Loop: Header=BB2_2434 Depth=2
	v_bfe_u32 v38, v86, 21, 1
	s_delay_alu instid0(VALU_DEP_1) | instskip(NEXT) | instid1(VALU_DEP_1)
	v_add_nc_u64_e32 v[96:97], v[86:87], v[38:39]
	v_add_nc_u64_e32 v[96:97], -1, v[96:97]
; %bb.2527:                             ;   in Loop: Header=BB2_2434 Depth=2
	s_or_b32 exec_lo, exec_lo, s28
	v_add_nc_u32_e32 v38, 0xffffff81, v98
	v_lshrrev_b32_e32 v87, 23, v86
	s_mov_b32 s7, exec_lo
	s_delay_alu instid0(VALU_DEP_2) | instskip(NEXT) | instid1(VALU_DEP_1)
	v_cndmask_b32_e64 v38, v38, 0xffffff82, vcc_lo
	v_add3_u32 v97, v99, v38, v87
	v_and_b32_e32 v38, 0x1fffff, v96
                                        ; implicit-def: $vgpr96
	s_delay_alu instid0(VALU_DEP_1) | instskip(NEXT) | instid1(VALU_DEP_1)
	v_dual_add_nc_u32 v98, 14, v97 :: v_dual_add_nc_u32 v38, v38, v86
                                        ; implicit-def: $vgpr86_vgpr87
	v_cmpx_ne_u32_e32 0, v98
	s_xor_b32 s7, exec_lo, s7
; %bb.2528:                             ;   in Loop: Header=BB2_2434 Depth=2
	s_delay_alu instid0(VALU_DEP_2) | instskip(SKIP_1) | instid1(VALU_DEP_1)
	v_cmp_lt_u64_e32 vcc_lo, 0xffffff, v[38:39]
	v_add_nc_u32_e32 v86, 15, v97
	v_cndmask_b32_e32 v96, v98, v86, vcc_lo
	v_cndmask_b32_e64 v86, 0, 1, vcc_lo
	s_delay_alu instid0(VALU_DEP_1)
	v_lshrrev_b64 v[86:87], v86, v[38:39]
; %bb.2529:                             ;   in Loop: Header=BB2_2434 Depth=2
	s_and_not1_saveexec_b32 s7, s7
; %bb.2530:                             ;   in Loop: Header=BB2_2434 Depth=2
	v_mov_b64_e32 v[86:87], v[38:39]
	v_bfe_u32 v96, v38, 23, 1
; %bb.2531:                             ;   in Loop: Header=BB2_2434 Depth=2
	s_or_b32 exec_lo, exec_lo, s7
	s_delay_alu instid0(VALU_DEP_2) | instskip(NEXT) | instid1(VALU_DEP_2)
	v_lshrrev_b64 v[86:87], 21, v[86:87]
	v_cmp_gt_i32_e32 vcc_lo, 32, v96
	v_min_i32_e32 v38, 31, v96
	v_cmp_eq_u32_e64 s7, 0, v96
	s_delay_alu instid0(VALU_DEP_2) | instskip(SKIP_1) | instid1(VALU_DEP_2)
	v_dual_cndmask_b32 v87, 0, v87 :: v_dual_lshlrev_b32 v38, 2, v38
	v_cndmask_b32_e32 v86, 3, v86, vcc_lo
	v_and_b32_e32 v38, 0xfc, v38
	s_delay_alu instid0(VALU_DEP_2) | instskip(NEXT) | instid1(VALU_DEP_2)
	v_cmp_eq_u64_e32 vcc_lo, 0, v[86:87]
	v_and_or_b32 v38, v86, 3, v38
	s_and_b32 s7, s7, vcc_lo
	s_delay_alu instid0(VALU_DEP_1) | instid1(SALU_CYCLE_1)
	v_cndmask_b32_e64 v38, v38, 0, s7
	s_delay_alu instid0(VALU_DEP_1)
	v_or_b32_e32 v113, v38, v30
.LBB2_2532:                             ;   in Loop: Header=BB2_2434 Depth=2
	s_or_b32 exec_lo, exec_lo, s27
                                        ; implicit-def: $vgpr30
.LBB2_2533:                             ;   in Loop: Header=BB2_2434 Depth=2
	s_and_not1_saveexec_b32 s7, s26
; %bb.2534:                             ;   in Loop: Header=BB2_2434 Depth=2
	v_or_b32_e32 v113, 0x7b, v30
; %bb.2535:                             ;   in Loop: Header=BB2_2434 Depth=2
	s_or_b32 exec_lo, exec_lo, s7
                                        ; implicit-def: $vgpr86
                                        ; implicit-def: $vgpr30
.LBB2_2536:                             ;   in Loop: Header=BB2_2434 Depth=2
	s_and_not1_saveexec_b32 s7, s25
	s_cbranch_execz .LBB2_2542
; %bb.2537:                             ;   in Loop: Header=BB2_2434 Depth=2
	s_mov_b32 s25, exec_lo
                                        ; implicit-def: $vgpr113
	v_cmpx_ne_u64_e32 0, v[38:39]
	s_xor_b32 s25, exec_lo, s25
; %bb.2538:                             ;   in Loop: Header=BB2_2434 Depth=2
	v_or_b32_e32 v113, 0x7f, v30
                                        ; implicit-def: $vgpr86
; %bb.2539:                             ;   in Loop: Header=BB2_2434 Depth=2
	s_and_not1_saveexec_b32 s25, s25
; %bb.2540:                             ;   in Loop: Header=BB2_2434 Depth=2
	v_cmp_lt_i32_e32 vcc_lo, -1, v86
	v_cndmask_b32_e32 v113, 0xfc, v46, vcc_lo
; %bb.2541:                             ;   in Loop: Header=BB2_2434 Depth=2
	s_or_b32 exec_lo, exec_lo, s25
.LBB2_2542:                             ;   in Loop: Header=BB2_2434 Depth=2
	s_delay_alu instid0(SALU_CYCLE_1)
	s_or_b32 exec_lo, exec_lo, s7
	v_mov_b32_e32 v38, 0
	s_mov_b32 s7, exec_lo
	v_cmpx_lt_u32_e32 0xffffff, v14
	s_cbranch_execz .LBB2_2552
; %bb.2543:                             ;   in Loop: Header=BB2_2434 Depth=2
	v_lshrrev_b32_e32 v30, 24, v14
	v_bfrev_b32_e32 v38, 1
	s_mov_b32 s25, exec_lo
	s_delay_alu instid0(VALU_DEP_2)
	v_cmpx_ne_u32_e32 0x80, v30
	s_cbranch_execz .LBB2_2551
; %bb.2544:                             ;   in Loop: Header=BB2_2434 Depth=2
	v_and_b32_e32 v38, 0x7c000000, v14
	v_bfe_u32 v86, v14, 24, 2
	s_delay_alu instid0(VALU_DEP_2) | instskip(SKIP_1) | instid1(SALU_CYCLE_1)
	v_cmp_ne_u32_e32 vcc_lo, 0x7c000000, v38
                                        ; implicit-def: $vgpr38
	s_and_saveexec_b32 s26, vcc_lo
	s_xor_b32 s26, exec_lo, s26
	s_cbranch_execz .LBB2_2548
; %bb.2545:                             ;   in Loop: Header=BB2_2434 Depth=2
	v_bfe_u32 v38, v14, 26, 5
	s_mov_b32 s27, exec_lo
	s_delay_alu instid0(VALU_DEP_1)
	v_cmpx_eq_u32_e32 0, v38
; %bb.2546:                             ;   in Loop: Header=BB2_2434 Depth=2
	v_clz_i32_u32_e32 v38, v86
	s_delay_alu instid0(VALU_DEP_1) | instskip(NEXT) | instid1(VALU_DEP_1)
	v_min_u32_e32 v38, 32, v38
	v_subrev_nc_u32_e32 v86, 29, v38
	v_sub_nc_u32_e32 v38, 30, v38
	s_delay_alu instid0(VALU_DEP_2) | instskip(NEXT) | instid1(VALU_DEP_1)
	v_lshlrev_b64_e32 v[86:87], v86, v[30:31]
	v_and_b32_e32 v86, 3, v86
; %bb.2547:                             ;   in Loop: Header=BB2_2434 Depth=2
	s_or_b32 exec_lo, exec_lo, s27
	v_and_b32_e32 v30, 0x80000000, v14
	s_delay_alu instid0(VALU_DEP_1) | instskip(NEXT) | instid1(VALU_DEP_1)
	v_lshl_add_u32 v30, v38, 23, v30
	v_lshl_or_b32 v30, v86, 21, v30
                                        ; implicit-def: $vgpr86
	s_delay_alu instid0(VALU_DEP_1)
	v_add_nc_u32_e32 v38, 0x38000000, v30
.LBB2_2548:                             ;   in Loop: Header=BB2_2434 Depth=2
	s_and_not1_saveexec_b32 s26, s26
; %bb.2549:                             ;   in Loop: Header=BB2_2434 Depth=2
	v_cmp_lt_i32_e32 vcc_lo, -1, v14
	v_cndmask_b32_e32 v30, 0xff800000, v45, vcc_lo
	v_cmp_eq_u32_e32 vcc_lo, 0, v86
	s_delay_alu instid0(VALU_DEP_2)
	v_cndmask_b32_e32 v38, 0x7f800001, v30, vcc_lo
; %bb.2550:                             ;   in Loop: Header=BB2_2434 Depth=2
	s_or_b32 exec_lo, exec_lo, s26
.LBB2_2551:                             ;   in Loop: Header=BB2_2434 Depth=2
	s_delay_alu instid0(SALU_CYCLE_1)
	s_or_b32 exec_lo, exec_lo, s25
.LBB2_2552:                             ;   in Loop: Header=BB2_2434 Depth=2
	s_delay_alu instid0(SALU_CYCLE_1) | instskip(SKIP_3) | instid1(VALU_DEP_2)
	s_or_b32 exec_lo, exec_lo, s7
	v_bfe_u32 v96, v10, 24, 2
	v_bfe_u32 v98, v10, 26, 5
                                        ; implicit-def: $vgpr114
	s_mov_b32 s7, exec_lo
	v_clz_i32_u32_e32 v30, v96
	s_delay_alu instid0(VALU_DEP_2) | instskip(NEXT) | instid1(VALU_DEP_2)
	v_cmp_eq_u32_e32 vcc_lo, 0, v98
	v_min_u32_e32 v97, 32, v30
	v_lshrrev_b32_e32 v30, 24, v10
	s_delay_alu instid0(VALU_DEP_2) | instskip(NEXT) | instid1(VALU_DEP_1)
	v_subrev_nc_u32_e32 v86, 29, v97
	v_lshlrev_b64_e32 v[86:87], v86, v[30:31]
	v_sub_nc_u32_e32 v87, 30, v97
	v_and_b32_e32 v97, 0x80000000, v10
	s_delay_alu instid0(VALU_DEP_2) | instskip(NEXT) | instid1(VALU_DEP_1)
	v_dual_cndmask_b32 v87, v98, v87, vcc_lo :: v_dual_bitop2_b32 v86, 3, v86 bitop3:0x40
	v_lshl_add_u32 v87, v87, 23, v97
	s_delay_alu instid0(VALU_DEP_2) | instskip(SKIP_3) | instid1(VALU_DEP_2)
	v_cndmask_b32_e32 v86, v96, v86, vcc_lo
	v_cmp_lt_i32_e32 vcc_lo, -1, v10
	v_cndmask_b32_e32 v97, 0xff800000, v45, vcc_lo
	v_cmp_eq_u32_e32 vcc_lo, 0, v96
	v_dual_cndmask_b32 v96, 0x7f800001, v97 :: v_dual_mov_b32 v97, v39
	v_lshl_or_b32 v86, v86, 21, v87
	v_and_b32_e32 v87, 0x7c000000, v10
	s_delay_alu instid0(VALU_DEP_2) | instskip(NEXT) | instid1(VALU_DEP_2)
	v_add_nc_u32_e32 v86, 0x38000000, v86
	v_cmp_eq_u32_e32 vcc_lo, 0x7c000000, v87
	s_delay_alu instid0(VALU_DEP_2) | instskip(SKIP_1) | instid1(VALU_DEP_2)
	v_cndmask_b32_e32 v86, v86, v96, vcc_lo
	v_cmp_ne_u32_e32 vcc_lo, 0x80, v30
	v_cndmask_b32_e32 v30, 0x80000000, v86, vcc_lo
	v_cmp_lt_u32_e32 vcc_lo, 0xffffff, v10
	s_delay_alu instid0(VALU_DEP_2) | instskip(NEXT) | instid1(VALU_DEP_1)
	v_cndmask_b32_e32 v30, 0, v30, vcc_lo
	v_mul_f32_e32 v86, v30, v38
	s_delay_alu instid0(VALU_DEP_1) | instskip(SKIP_2) | instid1(VALU_DEP_3)
	v_and_b32_e32 v96, 0x7f800000, v86
	v_and_b32_e32 v38, 0x7fffff, v86
	v_lshrrev_b32_e32 v30, 24, v86
	v_cmpx_ne_u64_e32 0x7f800000, v[96:97]
	s_xor_b32 s25, exec_lo, s7
	s_cbranch_execz .LBB2_2566
; %bb.2553:                             ;   in Loop: Header=BB2_2434 Depth=2
	v_and_b32_e32 v96, 0x7fffffff, v86
	v_mov_b32_e32 v97, v39
	v_and_b32_e32 v30, 0x80, v30
                                        ; implicit-def: $vgpr114
	s_mov_b32 s7, exec_lo
	s_delay_alu instid0(VALU_DEP_2)
	v_cmpx_gt_u64_e32 0x47600001, v[96:97]
	s_xor_b32 s26, exec_lo, s7
	s_cbranch_execz .LBB2_2563
; %bb.2554:                             ;   in Loop: Header=BB2_2434 Depth=2
	v_mov_b32_e32 v114, 0
	s_mov_b32 s27, exec_lo
	v_cmpx_ne_u32_e32 0, v86
	s_cbranch_execz .LBB2_2562
; %bb.2555:                             ;   in Loop: Header=BB2_2434 Depth=2
	v_bfe_u32 v98, v86, 23, 8
	v_or_b32_e32 v96, 0x800000, v38
	s_delay_alu instid0(VALU_DEP_2) | instskip(SKIP_1) | instid1(VALU_DEP_2)
	v_sub_nc_u32_e32 v86, 0x71, v98
	v_cmp_gt_u32_e32 vcc_lo, 0x72, v98
	v_cndmask_b32_e32 v86, 0, v86, vcc_lo
	v_cmp_eq_u32_e32 vcc_lo, 0, v98
	s_delay_alu instid0(VALU_DEP_2) | instskip(NEXT) | instid1(VALU_DEP_1)
	v_cndmask_b32_e64 v99, v86, 0x70, vcc_lo
	v_dual_cndmask_b32 v38, v96, v38, vcc_lo :: v_dual_add_nc_u32 v86, 21, v99
	v_add_nc_u32_e32 v97, 20, v99
	s_delay_alu instid0(VALU_DEP_2) | instskip(NEXT) | instid1(VALU_DEP_2)
	v_lshlrev_b64_e64 v[86:87], v86, -1
	v_lshlrev_b64_e64 v[96:97], v97, 1
	s_delay_alu instid0(VALU_DEP_2) | instskip(NEXT) | instid1(VALU_DEP_3)
	v_bfi_b32 v115, v87, 0, 0
	v_bfi_b32 v114, v86, 0, v38
	v_lshrrev_b64 v[86:87], v99, v[38:39]
	s_delay_alu instid0(VALU_DEP_2) | instskip(NEXT) | instid1(VALU_DEP_2)
	v_cmp_eq_u64_e64 s7, v[114:115], v[96:97]
	v_mov_b64_e32 v[96:97], v[86:87]
	s_and_saveexec_b32 s28, s7
; %bb.2556:                             ;   in Loop: Header=BB2_2434 Depth=2
	v_bfe_u32 v38, v86, 21, 1
	s_delay_alu instid0(VALU_DEP_1) | instskip(NEXT) | instid1(VALU_DEP_1)
	v_add_nc_u64_e32 v[96:97], v[86:87], v[38:39]
	v_add_nc_u64_e32 v[96:97], -1, v[96:97]
; %bb.2557:                             ;   in Loop: Header=BB2_2434 Depth=2
	s_or_b32 exec_lo, exec_lo, s28
	v_add_nc_u32_e32 v38, 0xffffff81, v98
	v_lshrrev_b32_e32 v87, 23, v86
	s_mov_b32 s7, exec_lo
	s_delay_alu instid0(VALU_DEP_2) | instskip(NEXT) | instid1(VALU_DEP_1)
	v_cndmask_b32_e64 v38, v38, 0xffffff82, vcc_lo
	v_add3_u32 v97, v99, v38, v87
	v_and_b32_e32 v38, 0x1fffff, v96
                                        ; implicit-def: $vgpr96
	s_delay_alu instid0(VALU_DEP_1) | instskip(NEXT) | instid1(VALU_DEP_1)
	v_dual_add_nc_u32 v98, 14, v97 :: v_dual_add_nc_u32 v38, v38, v86
                                        ; implicit-def: $vgpr86_vgpr87
	v_cmpx_ne_u32_e32 0, v98
	s_xor_b32 s7, exec_lo, s7
; %bb.2558:                             ;   in Loop: Header=BB2_2434 Depth=2
	s_delay_alu instid0(VALU_DEP_2) | instskip(SKIP_1) | instid1(VALU_DEP_1)
	v_cmp_lt_u64_e32 vcc_lo, 0xffffff, v[38:39]
	v_add_nc_u32_e32 v86, 15, v97
	v_cndmask_b32_e32 v96, v98, v86, vcc_lo
	v_cndmask_b32_e64 v86, 0, 1, vcc_lo
	s_delay_alu instid0(VALU_DEP_1)
	v_lshrrev_b64 v[86:87], v86, v[38:39]
; %bb.2559:                             ;   in Loop: Header=BB2_2434 Depth=2
	s_and_not1_saveexec_b32 s7, s7
; %bb.2560:                             ;   in Loop: Header=BB2_2434 Depth=2
	v_mov_b64_e32 v[86:87], v[38:39]
	v_bfe_u32 v96, v38, 23, 1
; %bb.2561:                             ;   in Loop: Header=BB2_2434 Depth=2
	s_or_b32 exec_lo, exec_lo, s7
	s_delay_alu instid0(VALU_DEP_2) | instskip(NEXT) | instid1(VALU_DEP_2)
	v_lshrrev_b64 v[86:87], 21, v[86:87]
	v_cmp_gt_i32_e32 vcc_lo, 32, v96
	v_min_i32_e32 v38, 31, v96
	v_cmp_eq_u32_e64 s7, 0, v96
	s_delay_alu instid0(VALU_DEP_2) | instskip(SKIP_1) | instid1(VALU_DEP_2)
	v_dual_cndmask_b32 v87, 0, v87 :: v_dual_lshlrev_b32 v38, 2, v38
	v_cndmask_b32_e32 v86, 3, v86, vcc_lo
	v_and_b32_e32 v38, 0xfc, v38
	s_delay_alu instid0(VALU_DEP_2) | instskip(NEXT) | instid1(VALU_DEP_2)
	v_cmp_eq_u64_e32 vcc_lo, 0, v[86:87]
	v_and_or_b32 v38, v86, 3, v38
	s_and_b32 s7, s7, vcc_lo
	s_delay_alu instid0(VALU_DEP_1) | instid1(SALU_CYCLE_1)
	v_cndmask_b32_e64 v38, v38, 0, s7
	s_delay_alu instid0(VALU_DEP_1)
	v_or_b32_e32 v114, v38, v30
.LBB2_2562:                             ;   in Loop: Header=BB2_2434 Depth=2
	s_or_b32 exec_lo, exec_lo, s27
                                        ; implicit-def: $vgpr30
.LBB2_2563:                             ;   in Loop: Header=BB2_2434 Depth=2
	s_and_not1_saveexec_b32 s7, s26
; %bb.2564:                             ;   in Loop: Header=BB2_2434 Depth=2
	v_or_b32_e32 v114, 0x7b, v30
; %bb.2565:                             ;   in Loop: Header=BB2_2434 Depth=2
	s_or_b32 exec_lo, exec_lo, s7
                                        ; implicit-def: $vgpr86
                                        ; implicit-def: $vgpr30
.LBB2_2566:                             ;   in Loop: Header=BB2_2434 Depth=2
	s_and_not1_saveexec_b32 s7, s25
	s_cbranch_execz .LBB2_2572
; %bb.2567:                             ;   in Loop: Header=BB2_2434 Depth=2
	s_mov_b32 s25, exec_lo
                                        ; implicit-def: $vgpr114
	v_cmpx_ne_u64_e32 0, v[38:39]
	s_xor_b32 s25, exec_lo, s25
; %bb.2568:                             ;   in Loop: Header=BB2_2434 Depth=2
	v_or_b32_e32 v114, 0x7f, v30
                                        ; implicit-def: $vgpr86
; %bb.2569:                             ;   in Loop: Header=BB2_2434 Depth=2
	s_and_not1_saveexec_b32 s25, s25
; %bb.2570:                             ;   in Loop: Header=BB2_2434 Depth=2
	v_cmp_lt_i32_e32 vcc_lo, -1, v86
	v_cndmask_b32_e32 v114, 0xfc, v46, vcc_lo
; %bb.2571:                             ;   in Loop: Header=BB2_2434 Depth=2
	s_or_b32 exec_lo, exec_lo, s25
.LBB2_2572:                             ;   in Loop: Header=BB2_2434 Depth=2
	s_delay_alu instid0(SALU_CYCLE_1) | instskip(SKIP_3) | instid1(VALU_DEP_2)
	s_or_b32 exec_lo, exec_lo, s7
	v_and_b32_e32 v86, 0xff, v15
	v_dual_mov_b32 v38, v15 :: v_dual_mov_b32 v30, 0
	s_mov_b32 s7, exec_lo
	v_cmpx_ne_u16_e32 0, v86
	s_cbranch_execz .LBB2_2582
; %bb.2573:                             ;   in Loop: Header=BB2_2434 Depth=2
	v_bfrev_b32_e32 v30, 1
	s_mov_b32 s25, exec_lo
	v_cmpx_ne_u16_e32 0x80, v86
	s_cbranch_execz .LBB2_2581
; %bb.2574:                             ;   in Loop: Header=BB2_2434 Depth=2
	v_and_b32_e32 v30, 0x7c, v15
	v_and_b32_e32 v86, 3, v15
	s_delay_alu instid0(VALU_DEP_2) | instskip(SKIP_1) | instid1(SALU_CYCLE_1)
	v_cmp_ne_u32_e32 vcc_lo, 0x7c, v30
                                        ; implicit-def: $vgpr30
	s_and_saveexec_b32 s26, vcc_lo
	s_xor_b32 s26, exec_lo, s26
	s_cbranch_execz .LBB2_2578
; %bb.2575:                             ;   in Loop: Header=BB2_2434 Depth=2
	v_bfe_u32 v30, v15, 2, 5
	s_mov_b32 s27, exec_lo
	s_delay_alu instid0(VALU_DEP_1)
	v_cmpx_eq_u32_e32 0, v30
; %bb.2576:                             ;   in Loop: Header=BB2_2434 Depth=2
	v_clz_i32_u32_e32 v30, v86
	s_delay_alu instid0(VALU_DEP_1) | instskip(NEXT) | instid1(VALU_DEP_1)
	v_min_u32_e32 v30, 32, v30
	v_subrev_nc_u32_e32 v86, 29, v30
	v_sub_nc_u32_e32 v30, 30, v30
	s_delay_alu instid0(VALU_DEP_2) | instskip(NEXT) | instid1(VALU_DEP_1)
	v_lshlrev_b64_e32 v[86:87], v86, v[38:39]
	v_and_b32_e32 v86, 3, v86
; %bb.2577:                             ;   in Loop: Header=BB2_2434 Depth=2
	s_or_b32 exec_lo, exec_lo, s27
	v_lshlrev_b32_e32 v87, 24, v15
	s_delay_alu instid0(VALU_DEP_1) | instskip(NEXT) | instid1(VALU_DEP_1)
	v_and_b32_e32 v87, 0x80000000, v87
	v_lshl_add_u32 v30, v30, 23, v87
	s_delay_alu instid0(VALU_DEP_1) | instskip(NEXT) | instid1(VALU_DEP_1)
	v_lshl_or_b32 v30, v86, 21, v30
                                        ; implicit-def: $vgpr86
	v_add_nc_u32_e32 v30, 0x38000000, v30
.LBB2_2578:                             ;   in Loop: Header=BB2_2434 Depth=2
	s_and_not1_saveexec_b32 s26, s26
; %bb.2579:                             ;   in Loop: Header=BB2_2434 Depth=2
	v_bfe_i32 v30, v15, 0, 8
	s_delay_alu instid0(VALU_DEP_1) | instskip(SKIP_2) | instid1(VALU_DEP_2)
	v_cmp_lt_i16_e32 vcc_lo, -1, v30
	v_cndmask_b32_e32 v30, 0xff800000, v45, vcc_lo
	v_cmp_eq_u32_e32 vcc_lo, 0, v86
	v_cndmask_b32_e32 v30, 0x7f800001, v30, vcc_lo
; %bb.2580:                             ;   in Loop: Header=BB2_2434 Depth=2
	s_or_b32 exec_lo, exec_lo, s26
.LBB2_2581:                             ;   in Loop: Header=BB2_2434 Depth=2
	s_delay_alu instid0(SALU_CYCLE_1)
	s_or_b32 exec_lo, exec_lo, s25
.LBB2_2582:                             ;   in Loop: Header=BB2_2434 Depth=2
	s_delay_alu instid0(SALU_CYCLE_1) | instskip(SKIP_4) | instid1(VALU_DEP_2)
	s_or_b32 exec_lo, exec_lo, s7
	v_and_b32_e32 v87, 0xff, v11
	v_mov_b32_e32 v86, v11
	s_mov_b32 s25, 0
	s_mov_b32 s7, exec_lo
	v_cmpx_lt_i16_e32 0x7f, v87
	s_xor_b32 s7, exec_lo, s7
	s_cbranch_execz .LBB2_2991
; %bb.2583:                             ;   in Loop: Header=BB2_2434 Depth=2
	s_mov_b32 s25, -1
	s_mov_b32 s26, exec_lo
	v_cmpx_eq_u16_e32 0x80, v87
; %bb.2584:                             ;   in Loop: Header=BB2_2434 Depth=2
	s_xor_b32 s25, exec_lo, -1
; %bb.2585:                             ;   in Loop: Header=BB2_2434 Depth=2
	s_or_b32 exec_lo, exec_lo, s26
	s_delay_alu instid0(SALU_CYCLE_1)
	s_and_b32 s25, s25, exec_lo
                                        ; implicit-def: $vgpr87
	s_or_saveexec_b32 s7, s7
	v_bfrev_b32_e32 v96, 1
	s_xor_b32 exec_lo, exec_lo, s7
	s_cbranch_execnz .LBB2_2992
.LBB2_2586:                             ;   in Loop: Header=BB2_2434 Depth=2
	s_or_b32 exec_lo, exec_lo, s7
	v_mov_b32_e32 v87, v39
	s_and_saveexec_b32 s7, s25
	s_cbranch_execz .LBB2_2588
.LBB2_2587:                             ;   in Loop: Header=BB2_2434 Depth=2
	v_and_b32_e32 v98, 3, v11
	s_delay_alu instid0(VALU_DEP_1) | instskip(NEXT) | instid1(VALU_DEP_1)
	v_clz_i32_u32_e32 v96, v98
	v_min_u32_e32 v99, 32, v96
	s_delay_alu instid0(VALU_DEP_1) | instskip(NEXT) | instid1(VALU_DEP_1)
	v_subrev_nc_u32_e32 v96, 29, v99
	v_lshlrev_b64_e32 v[96:97], v96, v[86:87]
	v_bfe_u32 v97, v11, 2, 5
	v_lshlrev_b32_e32 v87, 24, v11
	v_sub_nc_u32_e32 v99, 30, v99
	s_delay_alu instid0(VALU_DEP_3) | instskip(NEXT) | instid1(VALU_DEP_3)
	v_cmp_eq_u32_e32 vcc_lo, 0, v97
	v_and_b32_e32 v87, 0x80000000, v87
	s_delay_alu instid0(VALU_DEP_3) | instskip(SKIP_1) | instid1(VALU_DEP_2)
	v_dual_cndmask_b32 v97, v97, v99, vcc_lo :: v_dual_bitop2_b32 v96, 3, v96 bitop3:0x40
	v_bfe_i32 v99, v11, 0, 8
	v_cndmask_b32_e32 v96, v98, v96, vcc_lo
	s_delay_alu instid0(VALU_DEP_3) | instskip(NEXT) | instid1(VALU_DEP_3)
	v_lshl_add_u32 v87, v97, 23, v87
	v_cmp_lt_i16_e32 vcc_lo, -1, v99
	s_delay_alu instid0(VALU_DEP_2) | instskip(SKIP_3) | instid1(VALU_DEP_4)
	v_lshl_or_b32 v87, v96, 21, v87
	v_cndmask_b32_e32 v97, 0xff800000, v45, vcc_lo
	v_and_b32_e32 v96, 0x7c, v11
	v_cmp_eq_u32_e32 vcc_lo, 0, v98
	v_add_nc_u32_e32 v87, 0x38000000, v87
	s_delay_alu instid0(VALU_DEP_4) | instskip(NEXT) | instid1(VALU_DEP_4)
	v_cndmask_b32_e32 v97, 0x7f800001, v97, vcc_lo
	v_cmp_eq_u32_e32 vcc_lo, 0x7c, v96
	s_delay_alu instid0(VALU_DEP_2)
	v_cndmask_b32_e32 v96, v87, v97, vcc_lo
.LBB2_2588:                             ;   in Loop: Header=BB2_2434 Depth=2
	s_or_b32 exec_lo, exec_lo, s7
	s_delay_alu instid0(VALU_DEP_1) | instskip(NEXT) | instid1(VALU_DEP_1)
	v_dual_mul_f32 v87, v30, v96 :: v_dual_mov_b32 v99, v39
	v_dual_mov_b32 v97, v39 :: v_dual_lshrrev_b32 v30, 24, v87
	v_and_b32_e32 v98, 0x7f800000, v87
	v_and_b32_e32 v96, 0x7fffff, v87
	s_delay_alu instid0(VALU_DEP_2) | instskip(SKIP_1) | instid1(SALU_CYCLE_1)
	v_cmp_ne_u64_e32 vcc_lo, 0x7f800000, v[98:99]
                                        ; implicit-def: $vgpr98
	s_and_saveexec_b32 s7, vcc_lo
	s_xor_b32 s25, exec_lo, s7
	s_cbranch_execz .LBB2_2602
; %bb.2589:                             ;   in Loop: Header=BB2_2434 Depth=2
	v_and_b32_e32 v98, 0x7fffffff, v87
	v_mov_b32_e32 v99, v39
	v_and_b32_e32 v30, 0x80, v30
	s_delay_alu instid0(VALU_DEP_2) | instskip(SKIP_1) | instid1(SALU_CYCLE_1)
	v_cmp_gt_u64_e32 vcc_lo, 0x47600001, v[98:99]
                                        ; implicit-def: $vgpr98
	s_and_saveexec_b32 s7, vcc_lo
	s_xor_b32 s26, exec_lo, s7
	s_cbranch_execz .LBB2_2599
; %bb.2590:                             ;   in Loop: Header=BB2_2434 Depth=2
	v_mov_b32_e32 v98, 0
	s_mov_b32 s27, exec_lo
	v_cmpx_ne_u32_e32 0, v87
	s_cbranch_execz .LBB2_2598
; %bb.2591:                             ;   in Loop: Header=BB2_2434 Depth=2
	v_bfe_u32 v87, v87, 23, 8
	v_or_b32_e32 v116, 0x800000, v96
	s_delay_alu instid0(VALU_DEP_2) | instskip(SKIP_1) | instid1(VALU_DEP_2)
	v_sub_nc_u32_e32 v98, 0x71, v87
	v_cmp_gt_u32_e32 vcc_lo, 0x72, v87
	v_cndmask_b32_e32 v98, 0, v98, vcc_lo
	v_cmp_eq_u32_e32 vcc_lo, 0, v87
	s_delay_alu instid0(VALU_DEP_2) | instskip(NEXT) | instid1(VALU_DEP_1)
	v_cndmask_b32_e64 v115, v98, 0x70, vcc_lo
	v_dual_cndmask_b32 v96, v116, v96, vcc_lo :: v_dual_add_nc_u32 v98, 21, v115
	v_add_nc_u32_e32 v117, 20, v115
	s_delay_alu instid0(VALU_DEP_2) | instskip(NEXT) | instid1(VALU_DEP_2)
	v_lshlrev_b64_e64 v[98:99], v98, -1
	v_lshlrev_b64_e64 v[116:117], v117, 1
	s_delay_alu instid0(VALU_DEP_2) | instskip(SKIP_1) | instid1(VALU_DEP_4)
	v_bfi_b32 v98, v98, 0, v96
	v_lshrrev_b64 v[96:97], v115, v[96:97]
	v_bfi_b32 v99, v99, 0, 0
	s_delay_alu instid0(VALU_DEP_1) | instskip(NEXT) | instid1(VALU_DEP_3)
	v_cmp_eq_u64_e64 s7, v[98:99], v[116:117]
	v_mov_b64_e32 v[98:99], v[96:97]
	s_and_saveexec_b32 s28, s7
; %bb.2592:                             ;   in Loop: Header=BB2_2434 Depth=2
	v_bfe_u32 v98, v96, 21, 1
	v_mov_b32_e32 v99, v39
	s_delay_alu instid0(VALU_DEP_1) | instskip(NEXT) | instid1(VALU_DEP_1)
	v_add_nc_u64_e32 v[98:99], v[96:97], v[98:99]
	v_add_nc_u64_e32 v[98:99], -1, v[98:99]
; %bb.2593:                             ;   in Loop: Header=BB2_2434 Depth=2
	s_or_b32 exec_lo, exec_lo, s28
	v_add_nc_u32_e32 v87, 0xffffff81, v87
	v_lshrrev_b32_e32 v97, 23, v96
	s_mov_b32 s7, exec_lo
	s_delay_alu instid0(VALU_DEP_2) | instskip(NEXT) | instid1(VALU_DEP_1)
	v_cndmask_b32_e64 v87, v87, 0xffffff82, vcc_lo
	v_add3_u32 v99, v115, v87, v97
	v_and_b32_e32 v87, 0x1fffff, v98
	s_delay_alu instid0(VALU_DEP_2) | instskip(NEXT) | instid1(VALU_DEP_2)
	v_dual_mov_b32 v97, v39 :: v_dual_add_nc_u32 v98, 14, v99
	v_add_nc_u32_e32 v96, v87, v96
                                        ; implicit-def: $vgpr87
	s_delay_alu instid0(VALU_DEP_2)
	v_cmpx_ne_u32_e32 0, v98
	s_xor_b32 s7, exec_lo, s7
; %bb.2594:                             ;   in Loop: Header=BB2_2434 Depth=2
	s_delay_alu instid0(VALU_DEP_2) | instskip(SKIP_1) | instid1(VALU_DEP_1)
	v_cmp_lt_u64_e32 vcc_lo, 0xffffff, v[96:97]
	v_add_nc_u32_e32 v87, 15, v99
	v_cndmask_b32_e32 v87, v98, v87, vcc_lo
	v_cndmask_b32_e64 v98, 0, 1, vcc_lo
	s_delay_alu instid0(VALU_DEP_1)
	v_lshrrev_b64 v[96:97], v98, v[96:97]
; %bb.2595:                             ;   in Loop: Header=BB2_2434 Depth=2
	s_and_not1_saveexec_b32 s7, s7
; %bb.2596:                             ;   in Loop: Header=BB2_2434 Depth=2
	s_delay_alu instid0(VALU_DEP_1)
	v_bfe_u32 v87, v96, 23, 1
; %bb.2597:                             ;   in Loop: Header=BB2_2434 Depth=2
	s_or_b32 exec_lo, exec_lo, s7
	s_delay_alu instid0(VALU_DEP_2) | instskip(NEXT) | instid1(VALU_DEP_2)
	v_lshrrev_b64 v[96:97], 21, v[96:97]
	v_cmp_gt_i32_e32 vcc_lo, 32, v87
	v_min_i32_e32 v98, 31, v87
	v_cmp_eq_u32_e64 s7, 0, v87
	s_delay_alu instid0(VALU_DEP_2) | instskip(SKIP_1) | instid1(VALU_DEP_2)
	v_dual_cndmask_b32 v97, 0, v97 :: v_dual_lshlrev_b32 v98, 2, v98
	v_cndmask_b32_e32 v96, 3, v96, vcc_lo
	v_and_b32_e32 v98, 0xfc, v98
	s_delay_alu instid0(VALU_DEP_2) | instskip(NEXT) | instid1(VALU_DEP_2)
	v_cmp_eq_u64_e32 vcc_lo, 0, v[96:97]
	v_and_or_b32 v87, v96, 3, v98
	s_and_b32 s7, s7, vcc_lo
	s_delay_alu instid0(VALU_DEP_1) | instid1(SALU_CYCLE_1)
	v_cndmask_b32_e64 v87, v87, 0, s7
	s_delay_alu instid0(VALU_DEP_1)
	v_or_b32_e32 v98, v87, v30
.LBB2_2598:                             ;   in Loop: Header=BB2_2434 Depth=2
	s_or_b32 exec_lo, exec_lo, s27
                                        ; implicit-def: $vgpr30
.LBB2_2599:                             ;   in Loop: Header=BB2_2434 Depth=2
	s_and_not1_saveexec_b32 s7, s26
; %bb.2600:                             ;   in Loop: Header=BB2_2434 Depth=2
	v_or_b32_e32 v98, 0x7b, v30
; %bb.2601:                             ;   in Loop: Header=BB2_2434 Depth=2
	s_or_b32 exec_lo, exec_lo, s7
                                        ; implicit-def: $vgpr87
                                        ; implicit-def: $vgpr96_vgpr97
                                        ; implicit-def: $vgpr30
.LBB2_2602:                             ;   in Loop: Header=BB2_2434 Depth=2
	s_and_not1_saveexec_b32 s7, s25
	s_cbranch_execz .LBB2_2608
; %bb.2603:                             ;   in Loop: Header=BB2_2434 Depth=2
	s_mov_b32 s25, exec_lo
                                        ; implicit-def: $vgpr98
	v_cmpx_ne_u64_e32 0, v[96:97]
	s_xor_b32 s25, exec_lo, s25
; %bb.2604:                             ;   in Loop: Header=BB2_2434 Depth=2
	v_or_b32_e32 v98, 0x7f, v30
                                        ; implicit-def: $vgpr87
; %bb.2605:                             ;   in Loop: Header=BB2_2434 Depth=2
	s_and_not1_saveexec_b32 s25, s25
; %bb.2606:                             ;   in Loop: Header=BB2_2434 Depth=2
	v_cmp_lt_i32_e32 vcc_lo, -1, v87
	v_cndmask_b32_e32 v98, 0xfc, v46, vcc_lo
; %bb.2607:                             ;   in Loop: Header=BB2_2434 Depth=2
	s_or_b32 exec_lo, exec_lo, s25
.LBB2_2608:                             ;   in Loop: Header=BB2_2434 Depth=2
	s_delay_alu instid0(SALU_CYCLE_1) | instskip(SKIP_3) | instid1(VALU_DEP_2)
	s_or_b32 exec_lo, exec_lo, s7
	v_lshrrev_b16 v96, 8, v38
	v_mov_b32_e32 v30, 0
	s_mov_b32 s7, exec_lo
	v_cmpx_ne_u16_e32 0, v96
	s_cbranch_execz .LBB2_2618
; %bb.2609:                             ;   in Loop: Header=BB2_2434 Depth=2
	v_bfrev_b32_e32 v30, 1
	s_mov_b32 s25, exec_lo
	v_cmpx_ne_u16_e32 0x80, v96
	s_cbranch_execz .LBB2_2617
; %bb.2610:                             ;   in Loop: Header=BB2_2434 Depth=2
	v_and_b32_e32 v97, 0xffff, v96
	s_delay_alu instid0(VALU_DEP_1) | instskip(SKIP_1) | instid1(VALU_DEP_2)
	v_and_b32_e32 v30, 0x7c, v97
	v_and_b32_e32 v87, 3, v97
	v_cmp_ne_u32_e32 vcc_lo, 0x7c, v30
                                        ; implicit-def: $vgpr30
	s_and_saveexec_b32 s26, vcc_lo
	s_delay_alu instid0(SALU_CYCLE_1)
	s_xor_b32 s26, exec_lo, s26
	s_cbranch_execz .LBB2_2614
; %bb.2611:                             ;   in Loop: Header=BB2_2434 Depth=2
	v_bfe_u32 v30, v97, 2, 5
	s_mov_b32 s27, exec_lo
	s_delay_alu instid0(VALU_DEP_1)
	v_cmpx_eq_u32_e32 0, v30
	s_cbranch_execz .LBB2_2613
; %bb.2612:                             ;   in Loop: Header=BB2_2434 Depth=2
	v_clz_i32_u32_e32 v30, v87
	s_delay_alu instid0(VALU_DEP_1) | instskip(SKIP_1) | instid1(VALU_DEP_2)
	v_min_u32_e32 v30, 32, v30
	v_mov_b32_e32 v97, v39
	v_subrev_nc_u32_e32 v87, 29, v30
	v_sub_nc_u32_e32 v30, 30, v30
	s_delay_alu instid0(VALU_DEP_2) | instskip(NEXT) | instid1(VALU_DEP_1)
	v_lshlrev_b64_e32 v[96:97], v87, v[96:97]
	v_and_b32_e32 v87, 3, v96
.LBB2_2613:                             ;   in Loop: Header=BB2_2434 Depth=2
	s_or_b32 exec_lo, exec_lo, s27
	v_lshlrev_b32_e32 v38, 16, v38
	s_delay_alu instid0(VALU_DEP_1) | instskip(NEXT) | instid1(VALU_DEP_1)
	v_and_b32_e32 v38, 0x80000000, v38
	v_lshl_add_u32 v30, v30, 23, v38
	s_delay_alu instid0(VALU_DEP_1) | instskip(NEXT) | instid1(VALU_DEP_1)
	v_lshl_or_b32 v30, v87, 21, v30
                                        ; implicit-def: $vgpr87
	v_add_nc_u32_e32 v30, 0x38000000, v30
.LBB2_2614:                             ;   in Loop: Header=BB2_2434 Depth=2
	s_and_not1_saveexec_b32 s26, s26
; %bb.2615:                             ;   in Loop: Header=BB2_2434 Depth=2
	v_cmp_lt_i16_e32 vcc_lo, -1, v38
	v_cndmask_b32_e32 v30, 0xff800000, v45, vcc_lo
	v_cmp_eq_u32_e32 vcc_lo, 0, v87
	s_delay_alu instid0(VALU_DEP_2)
	v_cndmask_b32_e32 v30, 0x7f800001, v30, vcc_lo
; %bb.2616:                             ;   in Loop: Header=BB2_2434 Depth=2
	s_or_b32 exec_lo, exec_lo, s26
.LBB2_2617:                             ;   in Loop: Header=BB2_2434 Depth=2
	s_delay_alu instid0(SALU_CYCLE_1)
	s_or_b32 exec_lo, exec_lo, s25
.LBB2_2618:                             ;   in Loop: Header=BB2_2434 Depth=2
	s_delay_alu instid0(SALU_CYCLE_1) | instskip(SKIP_3) | instid1(VALU_DEP_1)
	s_or_b32 exec_lo, exec_lo, s7
	v_lshrrev_b16 v38, 8, v86
	s_mov_b32 s25, 0
	s_mov_b32 s7, exec_lo
	v_cmpx_lt_i16_e32 0x7f, v38
	s_xor_b32 s7, exec_lo, s7
	s_cbranch_execz .LBB2_2993
; %bb.2619:                             ;   in Loop: Header=BB2_2434 Depth=2
	s_mov_b32 s25, -1
	s_mov_b32 s26, exec_lo
	v_cmpx_eq_u16_e32 0x80, v38
; %bb.2620:                             ;   in Loop: Header=BB2_2434 Depth=2
	s_xor_b32 s25, exec_lo, -1
; %bb.2621:                             ;   in Loop: Header=BB2_2434 Depth=2
	s_or_b32 exec_lo, exec_lo, s26
	s_delay_alu instid0(SALU_CYCLE_1)
	s_and_b32 s25, s25, exec_lo
	s_or_saveexec_b32 s7, s7
	v_bfrev_b32_e32 v87, 1
	s_xor_b32 exec_lo, exec_lo, s7
	s_cbranch_execnz .LBB2_2994
.LBB2_2622:                             ;   in Loop: Header=BB2_2434 Depth=2
	s_or_b32 exec_lo, exec_lo, s7
	s_and_saveexec_b32 s7, s25
	s_cbranch_execz .LBB2_2624
.LBB2_2623:                             ;   in Loop: Header=BB2_2434 Depth=2
	v_and_b32_e32 v87, 0xffff, v38
	s_delay_alu instid0(VALU_DEP_1) | instskip(NEXT) | instid1(VALU_DEP_1)
	v_and_b32_e32 v99, 3, v87
	v_clz_i32_u32_e32 v96, v99
	s_delay_alu instid0(VALU_DEP_1) | instskip(NEXT) | instid1(VALU_DEP_1)
	v_min_u32_e32 v115, 32, v96
	v_subrev_nc_u32_e32 v96, 29, v115
	s_delay_alu instid0(VALU_DEP_1) | instskip(SKIP_3) | instid1(VALU_DEP_3)
	v_lshlrev_b64_e32 v[96:97], v96, v[38:39]
	v_bfe_u32 v97, v87, 2, 5
	v_dual_lshlrev_b32 v38, 24, v38 :: v_dual_sub_nc_u32 v115, 30, v115
	v_and_b32_e32 v87, 0x7c, v87
	v_cmp_eq_u32_e32 vcc_lo, 0, v97
	s_delay_alu instid0(VALU_DEP_3) | instskip(NEXT) | instid1(VALU_DEP_4)
	v_and_b32_e32 v38, 0x80000000, v38
	v_dual_cndmask_b32 v97, v97, v115, vcc_lo :: v_dual_bitop2_b32 v96, 3, v96 bitop3:0x40
	s_delay_alu instid0(VALU_DEP_1) | instskip(SKIP_1) | instid1(VALU_DEP_3)
	v_cndmask_b32_e32 v96, v99, v96, vcc_lo
	v_cmp_lt_i16_e32 vcc_lo, -1, v86
	v_lshl_add_u32 v38, v97, 23, v38
	v_cndmask_b32_e32 v86, 0xff800000, v45, vcc_lo
	v_cmp_eq_u32_e32 vcc_lo, 0, v99
	s_delay_alu instid0(VALU_DEP_3) | instskip(NEXT) | instid1(VALU_DEP_3)
	v_lshl_or_b32 v38, v96, 21, v38
	v_cndmask_b32_e32 v86, 0x7f800001, v86, vcc_lo
	s_delay_alu instid0(VALU_DEP_2) | instskip(SKIP_1) | instid1(VALU_DEP_2)
	v_add_nc_u32_e32 v38, 0x38000000, v38
	v_cmp_eq_u32_e32 vcc_lo, 0x7c, v87
	v_cndmask_b32_e32 v87, v38, v86, vcc_lo
.LBB2_2624:                             ;   in Loop: Header=BB2_2434 Depth=2
	s_or_b32 exec_lo, exec_lo, s7
	s_delay_alu instid0(VALU_DEP_1) | instskip(SKIP_1) | instid1(VALU_DEP_1)
	v_dual_mul_f32 v86, v30, v87 :: v_dual_mov_b32 v97, v39
                                        ; implicit-def: $vgpr99
	s_mov_b32 s7, exec_lo
	v_and_b32_e32 v96, 0x7f800000, v86
	v_and_b32_e32 v38, 0x7fffff, v86
	v_lshrrev_b32_e32 v30, 24, v86
	s_delay_alu instid0(VALU_DEP_3)
	v_cmpx_ne_u64_e32 0x7f800000, v[96:97]
	s_xor_b32 s25, exec_lo, s7
	s_cbranch_execz .LBB2_2638
; %bb.2625:                             ;   in Loop: Header=BB2_2434 Depth=2
	v_and_b32_e32 v96, 0x7fffffff, v86
	v_mov_b32_e32 v97, v39
	v_and_b32_e32 v30, 0x80, v30
                                        ; implicit-def: $vgpr99
	s_mov_b32 s7, exec_lo
	s_delay_alu instid0(VALU_DEP_2)
	v_cmpx_gt_u64_e32 0x47600001, v[96:97]
	s_xor_b32 s26, exec_lo, s7
	s_cbranch_execz .LBB2_2635
; %bb.2626:                             ;   in Loop: Header=BB2_2434 Depth=2
	v_mov_b32_e32 v99, 0
	s_mov_b32 s27, exec_lo
	v_cmpx_ne_u32_e32 0, v86
	s_cbranch_execz .LBB2_2634
; %bb.2627:                             ;   in Loop: Header=BB2_2434 Depth=2
	v_bfe_u32 v99, v86, 23, 8
	v_or_b32_e32 v96, 0x800000, v38
	s_delay_alu instid0(VALU_DEP_2) | instskip(SKIP_1) | instid1(VALU_DEP_2)
	v_sub_nc_u32_e32 v86, 0x71, v99
	v_cmp_gt_u32_e32 vcc_lo, 0x72, v99
	v_cndmask_b32_e32 v86, 0, v86, vcc_lo
	v_cmp_eq_u32_e32 vcc_lo, 0, v99
	s_delay_alu instid0(VALU_DEP_2) | instskip(NEXT) | instid1(VALU_DEP_1)
	v_cndmask_b32_e64 v115, v86, 0x70, vcc_lo
	v_dual_cndmask_b32 v38, v96, v38, vcc_lo :: v_dual_add_nc_u32 v86, 21, v115
	v_add_nc_u32_e32 v97, 20, v115
	s_delay_alu instid0(VALU_DEP_2) | instskip(NEXT) | instid1(VALU_DEP_2)
	v_lshlrev_b64_e64 v[86:87], v86, -1
	v_lshlrev_b64_e64 v[96:97], v97, 1
	s_delay_alu instid0(VALU_DEP_2) | instskip(NEXT) | instid1(VALU_DEP_3)
	v_bfi_b32 v117, v87, 0, 0
	v_bfi_b32 v116, v86, 0, v38
	v_lshrrev_b64 v[86:87], v115, v[38:39]
	s_delay_alu instid0(VALU_DEP_2) | instskip(NEXT) | instid1(VALU_DEP_2)
	v_cmp_eq_u64_e64 s7, v[116:117], v[96:97]
	v_mov_b64_e32 v[96:97], v[86:87]
	s_and_saveexec_b32 s28, s7
; %bb.2628:                             ;   in Loop: Header=BB2_2434 Depth=2
	v_bfe_u32 v38, v86, 21, 1
	s_delay_alu instid0(VALU_DEP_1) | instskip(NEXT) | instid1(VALU_DEP_1)
	v_add_nc_u64_e32 v[96:97], v[86:87], v[38:39]
	v_add_nc_u64_e32 v[96:97], -1, v[96:97]
; %bb.2629:                             ;   in Loop: Header=BB2_2434 Depth=2
	s_or_b32 exec_lo, exec_lo, s28
	v_add_nc_u32_e32 v38, 0xffffff81, v99
	v_lshrrev_b32_e32 v87, 23, v86
	s_mov_b32 s7, exec_lo
	s_delay_alu instid0(VALU_DEP_2) | instskip(NEXT) | instid1(VALU_DEP_1)
	v_cndmask_b32_e64 v38, v38, 0xffffff82, vcc_lo
	v_add3_u32 v97, v115, v38, v87
	v_and_b32_e32 v38, 0x1fffff, v96
                                        ; implicit-def: $vgpr96
	s_delay_alu instid0(VALU_DEP_1) | instskip(NEXT) | instid1(VALU_DEP_1)
	v_dual_add_nc_u32 v99, 14, v97 :: v_dual_add_nc_u32 v38, v38, v86
                                        ; implicit-def: $vgpr86_vgpr87
	v_cmpx_ne_u32_e32 0, v99
	s_xor_b32 s7, exec_lo, s7
; %bb.2630:                             ;   in Loop: Header=BB2_2434 Depth=2
	s_delay_alu instid0(VALU_DEP_2) | instskip(SKIP_1) | instid1(VALU_DEP_1)
	v_cmp_lt_u64_e32 vcc_lo, 0xffffff, v[38:39]
	v_add_nc_u32_e32 v86, 15, v97
	v_cndmask_b32_e32 v96, v99, v86, vcc_lo
	v_cndmask_b32_e64 v86, 0, 1, vcc_lo
	s_delay_alu instid0(VALU_DEP_1)
	v_lshrrev_b64 v[86:87], v86, v[38:39]
; %bb.2631:                             ;   in Loop: Header=BB2_2434 Depth=2
	s_and_not1_saveexec_b32 s7, s7
; %bb.2632:                             ;   in Loop: Header=BB2_2434 Depth=2
	v_mov_b64_e32 v[86:87], v[38:39]
	v_bfe_u32 v96, v38, 23, 1
; %bb.2633:                             ;   in Loop: Header=BB2_2434 Depth=2
	s_or_b32 exec_lo, exec_lo, s7
	s_delay_alu instid0(VALU_DEP_2) | instskip(NEXT) | instid1(VALU_DEP_2)
	v_lshrrev_b64 v[86:87], 21, v[86:87]
	v_cmp_gt_i32_e32 vcc_lo, 32, v96
	v_min_i32_e32 v38, 31, v96
	v_cmp_eq_u32_e64 s7, 0, v96
	s_delay_alu instid0(VALU_DEP_2) | instskip(SKIP_1) | instid1(VALU_DEP_2)
	v_dual_cndmask_b32 v87, 0, v87 :: v_dual_lshlrev_b32 v38, 2, v38
	v_cndmask_b32_e32 v86, 3, v86, vcc_lo
	v_and_b32_e32 v38, 0xfc, v38
	s_delay_alu instid0(VALU_DEP_2) | instskip(NEXT) | instid1(VALU_DEP_2)
	v_cmp_eq_u64_e32 vcc_lo, 0, v[86:87]
	v_and_or_b32 v38, v86, 3, v38
	s_and_b32 s7, s7, vcc_lo
	s_delay_alu instid0(VALU_DEP_1) | instid1(SALU_CYCLE_1)
	v_cndmask_b32_e64 v38, v38, 0, s7
	s_delay_alu instid0(VALU_DEP_1)
	v_or_b32_e32 v99, v38, v30
.LBB2_2634:                             ;   in Loop: Header=BB2_2434 Depth=2
	s_or_b32 exec_lo, exec_lo, s27
                                        ; implicit-def: $vgpr30
.LBB2_2635:                             ;   in Loop: Header=BB2_2434 Depth=2
	s_and_not1_saveexec_b32 s7, s26
; %bb.2636:                             ;   in Loop: Header=BB2_2434 Depth=2
	v_or_b32_e32 v99, 0x7b, v30
; %bb.2637:                             ;   in Loop: Header=BB2_2434 Depth=2
	s_or_b32 exec_lo, exec_lo, s7
                                        ; implicit-def: $vgpr86
                                        ; implicit-def: $vgpr30
.LBB2_2638:                             ;   in Loop: Header=BB2_2434 Depth=2
	s_and_not1_saveexec_b32 s7, s25
	s_cbranch_execz .LBB2_2644
; %bb.2639:                             ;   in Loop: Header=BB2_2434 Depth=2
	s_mov_b32 s25, exec_lo
                                        ; implicit-def: $vgpr99
	v_cmpx_ne_u64_e32 0, v[38:39]
	s_xor_b32 s25, exec_lo, s25
; %bb.2640:                             ;   in Loop: Header=BB2_2434 Depth=2
	v_or_b32_e32 v99, 0x7f, v30
                                        ; implicit-def: $vgpr86
; %bb.2641:                             ;   in Loop: Header=BB2_2434 Depth=2
	s_and_not1_saveexec_b32 s25, s25
; %bb.2642:                             ;   in Loop: Header=BB2_2434 Depth=2
	v_cmp_lt_i32_e32 vcc_lo, -1, v86
	v_cndmask_b32_e32 v99, 0xfc, v46, vcc_lo
; %bb.2643:                             ;   in Loop: Header=BB2_2434 Depth=2
	s_or_b32 exec_lo, exec_lo, s25
.LBB2_2644:                             ;   in Loop: Header=BB2_2434 Depth=2
	s_delay_alu instid0(SALU_CYCLE_1) | instskip(SKIP_2) | instid1(VALU_DEP_1)
	s_or_b32 exec_lo, exec_lo, s7
	v_dual_lshrrev_b32 v30, 16, v15 :: v_dual_mov_b32 v38, 0
	s_mov_b32 s7, exec_lo
	v_and_b32_e32 v86, 0xff, v30
	s_delay_alu instid0(VALU_DEP_1)
	v_cmpx_ne_u16_e32 0, v86
	s_cbranch_execz .LBB2_2654
; %bb.2645:                             ;   in Loop: Header=BB2_2434 Depth=2
	v_bfrev_b32_e32 v38, 1
	s_mov_b32 s25, exec_lo
	v_cmpx_ne_u16_e32 0x80, v86
	s_cbranch_execz .LBB2_2653
; %bb.2646:                             ;   in Loop: Header=BB2_2434 Depth=2
	v_and_b32_e32 v38, 0x7c0000, v15
	v_bfe_u32 v86, v15, 16, 2
	s_delay_alu instid0(VALU_DEP_2) | instskip(SKIP_1) | instid1(SALU_CYCLE_1)
	v_cmp_ne_u32_e32 vcc_lo, 0x7c0000, v38
                                        ; implicit-def: $vgpr38
	s_and_saveexec_b32 s26, vcc_lo
	s_xor_b32 s26, exec_lo, s26
	s_cbranch_execz .LBB2_2650
; %bb.2647:                             ;   in Loop: Header=BB2_2434 Depth=2
	v_bfe_u32 v38, v15, 18, 5
	s_mov_b32 s27, exec_lo
	s_delay_alu instid0(VALU_DEP_1)
	v_cmpx_eq_u32_e32 0, v38
; %bb.2648:                             ;   in Loop: Header=BB2_2434 Depth=2
	v_clz_i32_u32_e32 v38, v86
	s_delay_alu instid0(VALU_DEP_1) | instskip(NEXT) | instid1(VALU_DEP_1)
	v_min_u32_e32 v38, 32, v38
	v_subrev_nc_u32_e32 v86, 29, v38
	v_sub_nc_u32_e32 v38, 30, v38
	s_delay_alu instid0(VALU_DEP_2) | instskip(NEXT) | instid1(VALU_DEP_1)
	v_lshlrev_b64_e32 v[86:87], v86, v[30:31]
	v_and_b32_e32 v86, 3, v86
; %bb.2649:                             ;   in Loop: Header=BB2_2434 Depth=2
	s_or_b32 exec_lo, exec_lo, s27
	v_lshlrev_b32_e32 v30, 24, v30
	s_delay_alu instid0(VALU_DEP_1) | instskip(NEXT) | instid1(VALU_DEP_1)
	v_and_b32_e32 v30, 0x80000000, v30
	v_lshl_add_u32 v30, v38, 23, v30
	s_delay_alu instid0(VALU_DEP_1) | instskip(NEXT) | instid1(VALU_DEP_1)
	v_lshl_or_b32 v30, v86, 21, v30
                                        ; implicit-def: $vgpr86
	v_add_nc_u32_e32 v38, 0x38000000, v30
                                        ; implicit-def: $vgpr30
.LBB2_2650:                             ;   in Loop: Header=BB2_2434 Depth=2
	s_and_not1_saveexec_b32 s26, s26
; %bb.2651:                             ;   in Loop: Header=BB2_2434 Depth=2
	v_bfe_i32 v30, v30, 0, 8
	s_delay_alu instid0(VALU_DEP_1) | instskip(SKIP_2) | instid1(VALU_DEP_2)
	v_cmp_lt_i16_e32 vcc_lo, -1, v30
	v_cndmask_b32_e32 v30, 0xff800000, v45, vcc_lo
	v_cmp_eq_u32_e32 vcc_lo, 0, v86
	v_cndmask_b32_e32 v38, 0x7f800001, v30, vcc_lo
; %bb.2652:                             ;   in Loop: Header=BB2_2434 Depth=2
	s_or_b32 exec_lo, exec_lo, s26
.LBB2_2653:                             ;   in Loop: Header=BB2_2434 Depth=2
	s_delay_alu instid0(SALU_CYCLE_1)
	s_or_b32 exec_lo, exec_lo, s25
.LBB2_2654:                             ;   in Loop: Header=BB2_2434 Depth=2
	s_delay_alu instid0(SALU_CYCLE_1) | instskip(SKIP_3) | instid1(VALU_DEP_1)
	s_or_b32 exec_lo, exec_lo, s7
	v_lshrrev_b32_e32 v30, 16, v11
	s_mov_b32 s25, 0
	s_mov_b32 s7, exec_lo
	v_and_b32_e32 v87, 0xff, v30
	s_delay_alu instid0(VALU_DEP_1)
	v_cmpx_lt_i16_e32 0x7f, v87
	s_xor_b32 s7, exec_lo, s7
	s_cbranch_execz .LBB2_2995
; %bb.2655:                             ;   in Loop: Header=BB2_2434 Depth=2
	s_mov_b32 s25, -1
	s_mov_b32 s26, exec_lo
	v_cmpx_eq_u16_e32 0x80, v87
; %bb.2656:                             ;   in Loop: Header=BB2_2434 Depth=2
	s_xor_b32 s25, exec_lo, -1
; %bb.2657:                             ;   in Loop: Header=BB2_2434 Depth=2
	s_or_b32 exec_lo, exec_lo, s26
	s_delay_alu instid0(SALU_CYCLE_1)
	s_and_b32 s25, s25, exec_lo
                                        ; implicit-def: $vgpr87
	s_or_saveexec_b32 s7, s7
	v_bfrev_b32_e32 v86, 1
	s_xor_b32 exec_lo, exec_lo, s7
	s_cbranch_execnz .LBB2_2996
.LBB2_2658:                             ;   in Loop: Header=BB2_2434 Depth=2
	s_or_b32 exec_lo, exec_lo, s7
	s_and_saveexec_b32 s7, s25
	s_cbranch_execz .LBB2_2660
.LBB2_2659:                             ;   in Loop: Header=BB2_2434 Depth=2
	v_and_b32_e32 v96, 3, v30
	v_bfe_u32 v115, v11, 18, 5
	s_delay_alu instid0(VALU_DEP_2) | instskip(NEXT) | instid1(VALU_DEP_2)
	v_clz_i32_u32_e32 v86, v96
	v_cmp_eq_u32_e32 vcc_lo, 0, v115
	s_delay_alu instid0(VALU_DEP_2) | instskip(NEXT) | instid1(VALU_DEP_1)
	v_min_u32_e32 v97, 32, v86
	v_subrev_nc_u32_e32 v86, 29, v97
	s_delay_alu instid0(VALU_DEP_1) | instskip(SKIP_2) | instid1(VALU_DEP_2)
	v_lshlrev_b64_e32 v[86:87], v86, v[30:31]
	v_dual_lshlrev_b32 v87, 24, v30 :: v_dual_sub_nc_u32 v97, 30, v97
	v_bfe_i32 v30, v30, 0, 8
	v_and_b32_e32 v87, 0x80000000, v87
	s_delay_alu instid0(VALU_DEP_3) | instskip(NEXT) | instid1(VALU_DEP_1)
	v_dual_cndmask_b32 v97, v115, v97, vcc_lo :: v_dual_bitop2_b32 v86, 3, v86 bitop3:0x40
	v_cndmask_b32_e32 v86, v96, v86, vcc_lo
	s_delay_alu instid0(VALU_DEP_2) | instskip(SKIP_1) | instid1(VALU_DEP_2)
	v_lshl_add_u32 v87, v97, 23, v87
	v_cmp_lt_i16_e32 vcc_lo, -1, v30
	v_lshl_or_b32 v86, v86, 21, v87
	v_cndmask_b32_e32 v30, 0xff800000, v45, vcc_lo
	v_and_b32_e32 v87, 0x7c0000, v11
	v_cmp_eq_u32_e32 vcc_lo, 0, v96
	s_delay_alu instid0(VALU_DEP_4) | instskip(NEXT) | instid1(VALU_DEP_4)
	v_add_nc_u32_e32 v86, 0x38000000, v86
	v_cndmask_b32_e32 v30, 0x7f800001, v30, vcc_lo
	s_delay_alu instid0(VALU_DEP_4) | instskip(NEXT) | instid1(VALU_DEP_2)
	v_cmp_eq_u32_e32 vcc_lo, 0x7c0000, v87
	v_cndmask_b32_e32 v86, v86, v30, vcc_lo
.LBB2_2660:                             ;   in Loop: Header=BB2_2434 Depth=2
	s_or_b32 exec_lo, exec_lo, s7
	s_delay_alu instid0(VALU_DEP_1) | instskip(NEXT) | instid1(VALU_DEP_1)
	v_dual_mul_f32 v86, v38, v86 :: v_dual_mov_b32 v97, v39
	v_and_b32_e32 v96, 0x7f800000, v86
	v_and_b32_e32 v38, 0x7fffff, v86
	v_lshrrev_b32_e32 v30, 24, v86
	s_delay_alu instid0(VALU_DEP_3) | instskip(SKIP_1) | instid1(SALU_CYCLE_1)
	v_cmp_ne_u64_e32 vcc_lo, 0x7f800000, v[96:97]
                                        ; implicit-def: $vgpr96
	s_and_saveexec_b32 s7, vcc_lo
	s_xor_b32 s25, exec_lo, s7
	s_cbranch_execz .LBB2_2674
; %bb.2661:                             ;   in Loop: Header=BB2_2434 Depth=2
	v_and_b32_e32 v96, 0x7fffffff, v86
	v_mov_b32_e32 v97, v39
	v_and_b32_e32 v30, 0x80, v30
	s_delay_alu instid0(VALU_DEP_2) | instskip(SKIP_1) | instid1(SALU_CYCLE_1)
	v_cmp_gt_u64_e32 vcc_lo, 0x47600001, v[96:97]
                                        ; implicit-def: $vgpr96
	s_and_saveexec_b32 s7, vcc_lo
	s_xor_b32 s26, exec_lo, s7
	s_cbranch_execz .LBB2_2671
; %bb.2662:                             ;   in Loop: Header=BB2_2434 Depth=2
	v_mov_b32_e32 v96, 0
	s_mov_b32 s27, exec_lo
	v_cmpx_ne_u32_e32 0, v86
	s_cbranch_execz .LBB2_2670
; %bb.2663:                             ;   in Loop: Header=BB2_2434 Depth=2
	v_bfe_u32 v115, v86, 23, 8
	v_or_b32_e32 v96, 0x800000, v38
	s_delay_alu instid0(VALU_DEP_2) | instskip(SKIP_1) | instid1(VALU_DEP_2)
	v_sub_nc_u32_e32 v86, 0x71, v115
	v_cmp_gt_u32_e32 vcc_lo, 0x72, v115
	v_cndmask_b32_e32 v86, 0, v86, vcc_lo
	v_cmp_eq_u32_e32 vcc_lo, 0, v115
	s_delay_alu instid0(VALU_DEP_2) | instskip(NEXT) | instid1(VALU_DEP_1)
	v_cndmask_b32_e64 v116, v86, 0x70, vcc_lo
	v_dual_cndmask_b32 v38, v96, v38, vcc_lo :: v_dual_add_nc_u32 v86, 21, v116
	v_add_nc_u32_e32 v97, 20, v116
	s_delay_alu instid0(VALU_DEP_2) | instskip(NEXT) | instid1(VALU_DEP_2)
	v_lshlrev_b64_e64 v[86:87], v86, -1
	v_lshlrev_b64_e64 v[96:97], v97, 1
	s_delay_alu instid0(VALU_DEP_2) | instskip(NEXT) | instid1(VALU_DEP_3)
	v_bfi_b32 v119, v87, 0, 0
	v_bfi_b32 v118, v86, 0, v38
	v_lshrrev_b64 v[86:87], v116, v[38:39]
	s_delay_alu instid0(VALU_DEP_2) | instskip(NEXT) | instid1(VALU_DEP_2)
	v_cmp_eq_u64_e64 s7, v[118:119], v[96:97]
	v_mov_b64_e32 v[96:97], v[86:87]
	s_and_saveexec_b32 s28, s7
; %bb.2664:                             ;   in Loop: Header=BB2_2434 Depth=2
	v_bfe_u32 v38, v86, 21, 1
	s_delay_alu instid0(VALU_DEP_1) | instskip(NEXT) | instid1(VALU_DEP_1)
	v_add_nc_u64_e32 v[96:97], v[86:87], v[38:39]
	v_add_nc_u64_e32 v[96:97], -1, v[96:97]
; %bb.2665:                             ;   in Loop: Header=BB2_2434 Depth=2
	s_or_b32 exec_lo, exec_lo, s28
	v_add_nc_u32_e32 v38, 0xffffff81, v115
	v_lshrrev_b32_e32 v87, 23, v86
	s_mov_b32 s7, exec_lo
	s_delay_alu instid0(VALU_DEP_2) | instskip(NEXT) | instid1(VALU_DEP_1)
	v_cndmask_b32_e64 v38, v38, 0xffffff82, vcc_lo
	v_add3_u32 v97, v116, v38, v87
	v_and_b32_e32 v38, 0x1fffff, v96
                                        ; implicit-def: $vgpr96
	s_delay_alu instid0(VALU_DEP_1) | instskip(NEXT) | instid1(VALU_DEP_1)
	v_dual_add_nc_u32 v115, 14, v97 :: v_dual_add_nc_u32 v38, v38, v86
                                        ; implicit-def: $vgpr86_vgpr87
	v_cmpx_ne_u32_e32 0, v115
	s_xor_b32 s7, exec_lo, s7
; %bb.2666:                             ;   in Loop: Header=BB2_2434 Depth=2
	s_delay_alu instid0(VALU_DEP_2) | instskip(SKIP_1) | instid1(VALU_DEP_1)
	v_cmp_lt_u64_e32 vcc_lo, 0xffffff, v[38:39]
	v_add_nc_u32_e32 v86, 15, v97
	v_cndmask_b32_e32 v96, v115, v86, vcc_lo
	v_cndmask_b32_e64 v86, 0, 1, vcc_lo
	s_delay_alu instid0(VALU_DEP_1)
	v_lshrrev_b64 v[86:87], v86, v[38:39]
; %bb.2667:                             ;   in Loop: Header=BB2_2434 Depth=2
	s_and_not1_saveexec_b32 s7, s7
; %bb.2668:                             ;   in Loop: Header=BB2_2434 Depth=2
	v_mov_b64_e32 v[86:87], v[38:39]
	v_bfe_u32 v96, v38, 23, 1
; %bb.2669:                             ;   in Loop: Header=BB2_2434 Depth=2
	s_or_b32 exec_lo, exec_lo, s7
	s_delay_alu instid0(VALU_DEP_2) | instskip(NEXT) | instid1(VALU_DEP_2)
	v_lshrrev_b64 v[86:87], 21, v[86:87]
	v_cmp_gt_i32_e32 vcc_lo, 32, v96
	v_min_i32_e32 v38, 31, v96
	v_cmp_eq_u32_e64 s7, 0, v96
	s_delay_alu instid0(VALU_DEP_2) | instskip(SKIP_1) | instid1(VALU_DEP_2)
	v_dual_cndmask_b32 v87, 0, v87 :: v_dual_lshlrev_b32 v38, 2, v38
	v_cndmask_b32_e32 v86, 3, v86, vcc_lo
	v_and_b32_e32 v38, 0xfc, v38
	s_delay_alu instid0(VALU_DEP_2) | instskip(NEXT) | instid1(VALU_DEP_2)
	v_cmp_eq_u64_e32 vcc_lo, 0, v[86:87]
	v_and_or_b32 v38, v86, 3, v38
	s_and_b32 s7, s7, vcc_lo
	s_delay_alu instid0(VALU_DEP_1) | instid1(SALU_CYCLE_1)
	v_cndmask_b32_e64 v38, v38, 0, s7
	s_delay_alu instid0(VALU_DEP_1)
	v_or_b32_e32 v96, v38, v30
.LBB2_2670:                             ;   in Loop: Header=BB2_2434 Depth=2
	s_or_b32 exec_lo, exec_lo, s27
                                        ; implicit-def: $vgpr30
.LBB2_2671:                             ;   in Loop: Header=BB2_2434 Depth=2
	s_and_not1_saveexec_b32 s7, s26
; %bb.2672:                             ;   in Loop: Header=BB2_2434 Depth=2
	v_or_b32_e32 v96, 0x7b, v30
; %bb.2673:                             ;   in Loop: Header=BB2_2434 Depth=2
	s_or_b32 exec_lo, exec_lo, s7
                                        ; implicit-def: $vgpr86
                                        ; implicit-def: $vgpr30
.LBB2_2674:                             ;   in Loop: Header=BB2_2434 Depth=2
	s_and_not1_saveexec_b32 s7, s25
	s_cbranch_execz .LBB2_2680
; %bb.2675:                             ;   in Loop: Header=BB2_2434 Depth=2
	s_mov_b32 s25, exec_lo
                                        ; implicit-def: $vgpr96
	v_cmpx_ne_u64_e32 0, v[38:39]
	s_xor_b32 s25, exec_lo, s25
; %bb.2676:                             ;   in Loop: Header=BB2_2434 Depth=2
	v_or_b32_e32 v96, 0x7f, v30
                                        ; implicit-def: $vgpr86
; %bb.2677:                             ;   in Loop: Header=BB2_2434 Depth=2
	s_and_not1_saveexec_b32 s25, s25
; %bb.2678:                             ;   in Loop: Header=BB2_2434 Depth=2
	v_cmp_lt_i32_e32 vcc_lo, -1, v86
	v_cndmask_b32_e32 v96, 0xfc, v46, vcc_lo
; %bb.2679:                             ;   in Loop: Header=BB2_2434 Depth=2
	s_or_b32 exec_lo, exec_lo, s25
.LBB2_2680:                             ;   in Loop: Header=BB2_2434 Depth=2
	s_delay_alu instid0(SALU_CYCLE_1)
	s_or_b32 exec_lo, exec_lo, s7
	v_mov_b32_e32 v38, 0
	s_mov_b32 s7, exec_lo
	v_cmpx_lt_u64_e64 s[12:13], v[14:15]
	s_cbranch_execz .LBB2_2690
; %bb.2681:                             ;   in Loop: Header=BB2_2434 Depth=2
	v_lshrrev_b32_e32 v30, 24, v15
	v_bfrev_b32_e32 v38, 1
	s_mov_b32 s25, exec_lo
	s_delay_alu instid0(VALU_DEP_2)
	v_cmpx_ne_u32_e32 0x80, v30
	s_cbranch_execz .LBB2_2689
; %bb.2682:                             ;   in Loop: Header=BB2_2434 Depth=2
	v_and_b32_e32 v38, 0x7c000000, v15
	v_bfe_u32 v86, v15, 24, 2
	s_delay_alu instid0(VALU_DEP_2) | instskip(SKIP_1) | instid1(SALU_CYCLE_1)
	v_cmp_ne_u32_e32 vcc_lo, 0x7c000000, v38
                                        ; implicit-def: $vgpr38
	s_and_saveexec_b32 s26, vcc_lo
	s_xor_b32 s26, exec_lo, s26
	s_cbranch_execz .LBB2_2686
; %bb.2683:                             ;   in Loop: Header=BB2_2434 Depth=2
	v_bfe_u32 v38, v15, 26, 5
	s_mov_b32 s27, exec_lo
	s_delay_alu instid0(VALU_DEP_1)
	v_cmpx_eq_u32_e32 0, v38
; %bb.2684:                             ;   in Loop: Header=BB2_2434 Depth=2
	v_clz_i32_u32_e32 v38, v86
	s_delay_alu instid0(VALU_DEP_1) | instskip(NEXT) | instid1(VALU_DEP_1)
	v_min_u32_e32 v38, 32, v38
	v_subrev_nc_u32_e32 v86, 29, v38
	v_sub_nc_u32_e32 v38, 30, v38
	s_delay_alu instid0(VALU_DEP_2) | instskip(NEXT) | instid1(VALU_DEP_1)
	v_lshlrev_b64_e32 v[86:87], v86, v[30:31]
	v_and_b32_e32 v86, 3, v86
; %bb.2685:                             ;   in Loop: Header=BB2_2434 Depth=2
	s_or_b32 exec_lo, exec_lo, s27
	v_and_b32_e32 v30, 0x80000000, v15
	s_delay_alu instid0(VALU_DEP_1) | instskip(NEXT) | instid1(VALU_DEP_1)
	v_lshl_add_u32 v30, v38, 23, v30
	v_lshl_or_b32 v30, v86, 21, v30
                                        ; implicit-def: $vgpr86
	s_delay_alu instid0(VALU_DEP_1)
	v_add_nc_u32_e32 v38, 0x38000000, v30
.LBB2_2686:                             ;   in Loop: Header=BB2_2434 Depth=2
	s_and_not1_saveexec_b32 s26, s26
; %bb.2687:                             ;   in Loop: Header=BB2_2434 Depth=2
	v_cmp_lt_i64_e32 vcc_lo, -1, v[14:15]
	v_cndmask_b32_e32 v14, 0xff800000, v45, vcc_lo
	v_cmp_eq_u32_e32 vcc_lo, 0, v86
	s_delay_alu instid0(VALU_DEP_2)
	v_cndmask_b32_e32 v38, 0x7f800001, v14, vcc_lo
; %bb.2688:                             ;   in Loop: Header=BB2_2434 Depth=2
	s_or_b32 exec_lo, exec_lo, s26
.LBB2_2689:                             ;   in Loop: Header=BB2_2434 Depth=2
	s_delay_alu instid0(SALU_CYCLE_1)
	s_or_b32 exec_lo, exec_lo, s25
.LBB2_2690:                             ;   in Loop: Header=BB2_2434 Depth=2
	s_delay_alu instid0(SALU_CYCLE_1) | instskip(SKIP_3) | instid1(VALU_DEP_2)
	s_or_b32 exec_lo, exec_lo, s7
	v_bfe_u32 v15, v11, 24, 2
	v_bfe_u32 v97, v11, 26, 5
	s_mov_b32 s7, exec_lo
	v_clz_i32_u32_e32 v14, v15
	s_delay_alu instid0(VALU_DEP_2) | instskip(NEXT) | instid1(VALU_DEP_2)
	v_cmp_eq_u32_e32 vcc_lo, 0, v97
	v_min_u32_e32 v30, 32, v14
	v_lshrrev_b32_e32 v14, 24, v11
	s_delay_alu instid0(VALU_DEP_2) | instskip(SKIP_1) | instid1(VALU_DEP_2)
	v_subrev_nc_u32_e32 v86, 29, v30
	v_sub_nc_u32_e32 v30, 30, v30
	v_lshlrev_b64_e32 v[86:87], v86, v[14:15]
	v_and_b32_e32 v87, 0x80000000, v11
	s_delay_alu instid0(VALU_DEP_3) | instskip(NEXT) | instid1(VALU_DEP_1)
	v_cndmask_b32_e32 v30, v97, v30, vcc_lo
	v_lshl_add_u32 v30, v30, 23, v87
	s_delay_alu instid0(VALU_DEP_4) | instskip(NEXT) | instid1(VALU_DEP_1)
	v_and_b32_e32 v86, 3, v86
	v_cndmask_b32_e32 v86, v15, v86, vcc_lo
	v_cmp_lt_i64_e32 vcc_lo, -1, v[10:11]
	s_delay_alu instid0(VALU_DEP_2) | instskip(SKIP_3) | instid1(VALU_DEP_4)
	v_lshl_or_b32 v30, v86, 21, v30
	v_and_b32_e32 v86, 0x7c000000, v11
	v_cndmask_b32_e32 v87, 0xff800000, v45, vcc_lo
	v_cmp_eq_u32_e32 vcc_lo, 0, v15
	v_add_nc_u32_e32 v30, 0x38000000, v30
	s_delay_alu instid0(VALU_DEP_3) | instskip(SKIP_1) | instid1(VALU_DEP_2)
	v_cndmask_b32_e32 v15, 0x7f800001, v87, vcc_lo
	v_cmp_eq_u32_e32 vcc_lo, 0x7c000000, v86
	v_cndmask_b32_e32 v15, v30, v15, vcc_lo
	v_cmp_ne_u32_e32 vcc_lo, 0x80, v14
                                        ; implicit-def: $vgpr30
	s_delay_alu instid0(VALU_DEP_2) | instskip(SKIP_1) | instid1(VALU_DEP_2)
	v_cndmask_b32_e32 v14, 0x80000000, v15, vcc_lo
	v_cmp_lt_u64_e32 vcc_lo, s[12:13], v[10:11]
	v_dual_mov_b32 v15, v39 :: v_dual_cndmask_b32 v10, 0, v14
	s_delay_alu instid0(VALU_DEP_1) | instskip(NEXT) | instid1(VALU_DEP_1)
	v_mul_f32_e32 v10, v10, v38
	v_and_b32_e32 v14, 0x7f800000, v10
	v_and_b32_e32 v38, 0x7fffff, v10
	v_lshrrev_b32_e32 v11, 24, v10
	s_delay_alu instid0(VALU_DEP_3)
	v_cmpx_ne_u64_e32 0x7f800000, v[14:15]
	s_xor_b32 s25, exec_lo, s7
	s_cbranch_execz .LBB2_2704
; %bb.2691:                             ;   in Loop: Header=BB2_2434 Depth=2
	v_and_b32_e32 v14, 0x7fffffff, v10
	v_mov_b32_e32 v15, v39
	v_and_b32_e32 v86, 0x80, v11
                                        ; implicit-def: $vgpr30
	s_mov_b32 s7, exec_lo
	s_delay_alu instid0(VALU_DEP_2)
	v_cmpx_gt_u64_e32 0x47600001, v[14:15]
	s_xor_b32 s26, exec_lo, s7
	s_cbranch_execz .LBB2_2701
; %bb.2692:                             ;   in Loop: Header=BB2_2434 Depth=2
	v_mov_b32_e32 v30, 0
	s_mov_b32 s27, exec_lo
	v_cmpx_ne_u32_e32 0, v10
	s_cbranch_execz .LBB2_2700
; %bb.2693:                             ;   in Loop: Header=BB2_2434 Depth=2
	v_bfe_u32 v30, v10, 23, 8
	v_or_b32_e32 v14, 0x800000, v38
	s_delay_alu instid0(VALU_DEP_2) | instskip(SKIP_1) | instid1(VALU_DEP_2)
	v_sub_nc_u32_e32 v10, 0x71, v30
	v_cmp_gt_u32_e32 vcc_lo, 0x72, v30
	v_cndmask_b32_e32 v10, 0, v10, vcc_lo
	v_cmp_eq_u32_e32 vcc_lo, 0, v30
	s_delay_alu instid0(VALU_DEP_2) | instskip(NEXT) | instid1(VALU_DEP_1)
	v_cndmask_b32_e64 v87, v10, 0x70, vcc_lo
	v_dual_cndmask_b32 v38, v14, v38, vcc_lo :: v_dual_add_nc_u32 v10, 21, v87
	v_add_nc_u32_e32 v15, 20, v87
	s_delay_alu instid0(VALU_DEP_2) | instskip(NEXT) | instid1(VALU_DEP_2)
	v_lshlrev_b64_e64 v[10:11], v10, -1
	v_lshlrev_b64_e64 v[14:15], v15, 1
	s_delay_alu instid0(VALU_DEP_2) | instskip(NEXT) | instid1(VALU_DEP_3)
	v_bfi_b32 v117, v11, 0, 0
	v_bfi_b32 v116, v10, 0, v38
	v_lshrrev_b64 v[10:11], v87, v[38:39]
	s_delay_alu instid0(VALU_DEP_2) | instskip(NEXT) | instid1(VALU_DEP_2)
	v_cmp_eq_u64_e64 s7, v[116:117], v[14:15]
	v_mov_b64_e32 v[14:15], v[10:11]
	s_and_saveexec_b32 s28, s7
; %bb.2694:                             ;   in Loop: Header=BB2_2434 Depth=2
	v_bfe_u32 v38, v10, 21, 1
	s_delay_alu instid0(VALU_DEP_1) | instskip(NEXT) | instid1(VALU_DEP_1)
	v_add_nc_u64_e32 v[14:15], v[10:11], v[38:39]
	v_add_nc_u64_e32 v[14:15], -1, v[14:15]
; %bb.2695:                             ;   in Loop: Header=BB2_2434 Depth=2
	s_or_b32 exec_lo, exec_lo, s28
	v_add_nc_u32_e32 v11, 0xffffff81, v30
	v_lshrrev_b32_e32 v15, 23, v10
	s_mov_b32 s7, exec_lo
	s_delay_alu instid0(VALU_DEP_2) | instskip(NEXT) | instid1(VALU_DEP_1)
	v_cndmask_b32_e64 v11, v11, 0xffffff82, vcc_lo
	v_add3_u32 v15, v87, v11, v15
	v_and_b32_e32 v11, 0x1fffff, v14
                                        ; implicit-def: $vgpr14
	s_delay_alu instid0(VALU_DEP_1) | instskip(NEXT) | instid1(VALU_DEP_1)
	v_dual_add_nc_u32 v30, 14, v15 :: v_dual_add_nc_u32 v38, v11, v10
                                        ; implicit-def: $vgpr10_vgpr11
	v_cmpx_ne_u32_e32 0, v30
	s_xor_b32 s7, exec_lo, s7
; %bb.2696:                             ;   in Loop: Header=BB2_2434 Depth=2
	s_delay_alu instid0(VALU_DEP_2) | instskip(SKIP_1) | instid1(VALU_DEP_1)
	v_cmp_lt_u64_e32 vcc_lo, 0xffffff, v[38:39]
	v_add_nc_u32_e32 v10, 15, v15
	v_cndmask_b32_e32 v14, v30, v10, vcc_lo
	v_cndmask_b32_e64 v10, 0, 1, vcc_lo
	s_delay_alu instid0(VALU_DEP_1)
	v_lshrrev_b64 v[10:11], v10, v[38:39]
; %bb.2697:                             ;   in Loop: Header=BB2_2434 Depth=2
	s_and_not1_saveexec_b32 s7, s7
; %bb.2698:                             ;   in Loop: Header=BB2_2434 Depth=2
	v_mov_b64_e32 v[10:11], v[38:39]
	v_bfe_u32 v14, v38, 23, 1
; %bb.2699:                             ;   in Loop: Header=BB2_2434 Depth=2
	s_or_b32 exec_lo, exec_lo, s7
	s_delay_alu instid0(VALU_DEP_2) | instskip(NEXT) | instid1(VALU_DEP_2)
	v_lshrrev_b64 v[10:11], 21, v[10:11]
	v_cmp_gt_i32_e32 vcc_lo, 32, v14
	v_min_i32_e32 v15, 31, v14
	v_cmp_eq_u32_e64 s7, 0, v14
	s_delay_alu instid0(VALU_DEP_4) | instskip(NEXT) | instid1(VALU_DEP_3)
	v_cndmask_b32_e32 v11, 0, v11, vcc_lo
	v_dual_cndmask_b32 v10, 3, v10 :: v_dual_lshlrev_b32 v15, 2, v15
	s_delay_alu instid0(VALU_DEP_1) | instskip(NEXT) | instid1(VALU_DEP_2)
	v_and_b32_e32 v15, 0xfc, v15
	v_cmp_eq_u64_e32 vcc_lo, 0, v[10:11]
	s_delay_alu instid0(VALU_DEP_2)
	v_and_or_b32 v10, v10, 3, v15
	s_and_b32 s7, s7, vcc_lo
	s_delay_alu instid0(VALU_DEP_1) | instid1(SALU_CYCLE_1)
	v_cndmask_b32_e64 v10, v10, 0, s7
	s_delay_alu instid0(VALU_DEP_1)
	v_or_b32_e32 v30, v10, v86
.LBB2_2700:                             ;   in Loop: Header=BB2_2434 Depth=2
	s_or_b32 exec_lo, exec_lo, s27
                                        ; implicit-def: $vgpr86
.LBB2_2701:                             ;   in Loop: Header=BB2_2434 Depth=2
	s_and_not1_saveexec_b32 s7, s26
; %bb.2702:                             ;   in Loop: Header=BB2_2434 Depth=2
	v_or_b32_e32 v30, 0x7b, v86
; %bb.2703:                             ;   in Loop: Header=BB2_2434 Depth=2
	s_or_b32 exec_lo, exec_lo, s7
                                        ; implicit-def: $vgpr10
                                        ; implicit-def: $vgpr11
.LBB2_2704:                             ;   in Loop: Header=BB2_2434 Depth=2
	s_and_not1_saveexec_b32 s7, s25
	s_cbranch_execz .LBB2_2710
; %bb.2705:                             ;   in Loop: Header=BB2_2434 Depth=2
	s_mov_b32 s25, exec_lo
                                        ; implicit-def: $vgpr30
	v_cmpx_ne_u64_e32 0, v[38:39]
	s_xor_b32 s25, exec_lo, s25
; %bb.2706:                             ;   in Loop: Header=BB2_2434 Depth=2
	v_or_b32_e32 v30, 0x7f, v11
                                        ; implicit-def: $vgpr10
; %bb.2707:                             ;   in Loop: Header=BB2_2434 Depth=2
	s_and_not1_saveexec_b32 s25, s25
; %bb.2708:                             ;   in Loop: Header=BB2_2434 Depth=2
	v_cmp_lt_i32_e32 vcc_lo, -1, v10
	v_cndmask_b32_e32 v30, 0xfc, v46, vcc_lo
; %bb.2709:                             ;   in Loop: Header=BB2_2434 Depth=2
	s_or_b32 exec_lo, exec_lo, s25
.LBB2_2710:                             ;   in Loop: Header=BB2_2434 Depth=2
	s_delay_alu instid0(SALU_CYCLE_1) | instskip(SKIP_1) | instid1(VALU_DEP_1)
	s_or_b32 exec_lo, exec_lo, s7
	v_and_b32_e32 v10, 0xff, v16
	v_cmp_ne_u16_e32 vcc_lo, 0, v10
	v_mov_b32_e32 v10, 0
	s_and_saveexec_b32 s7, vcc_lo
	s_cbranch_execz .LBB2_2720
; %bb.2711:                             ;   in Loop: Header=BB2_2434 Depth=2
	v_bfe_i32 v14, v16, 0, 8
	v_bfrev_b32_e32 v10, 1
	s_mov_b32 s25, exec_lo
	s_delay_alu instid0(VALU_DEP_2)
	v_cmpx_ne_u16_e32 0xff80, v14
	s_cbranch_execz .LBB2_2719
; %bb.2712:                             ;   in Loop: Header=BB2_2434 Depth=2
	v_and_b32_e32 v10, 0x7c, v16
	v_and_b32_e32 v11, 3, v16
	s_delay_alu instid0(VALU_DEP_2) | instskip(SKIP_1) | instid1(SALU_CYCLE_1)
	v_cmp_ne_u32_e32 vcc_lo, 0x7c, v10
                                        ; implicit-def: $vgpr10
	s_and_saveexec_b32 s26, vcc_lo
	s_xor_b32 s26, exec_lo, s26
	s_cbranch_execz .LBB2_2716
; %bb.2713:                             ;   in Loop: Header=BB2_2434 Depth=2
	v_bfe_u32 v10, v16, 2, 5
	s_mov_b32 s27, exec_lo
	s_delay_alu instid0(VALU_DEP_1)
	v_cmpx_eq_u32_e32 0, v10
; %bb.2714:                             ;   in Loop: Header=BB2_2434 Depth=2
	v_clz_i32_u32_e32 v10, v11
	s_delay_alu instid0(VALU_DEP_1) | instskip(NEXT) | instid1(VALU_DEP_1)
	v_min_u32_e32 v10, 32, v10
	v_subrev_nc_u32_e32 v11, 29, v10
	v_sub_nc_u32_e32 v10, 30, v10
	s_delay_alu instid0(VALU_DEP_2) | instskip(NEXT) | instid1(VALU_DEP_1)
	v_lshlrev_b64_e32 v[14:15], v11, v[16:17]
	v_and_b32_e32 v11, 3, v14
; %bb.2715:                             ;   in Loop: Header=BB2_2434 Depth=2
	s_or_b32 exec_lo, exec_lo, s27
	v_lshlrev_b32_e32 v14, 24, v16
	s_delay_alu instid0(VALU_DEP_1) | instskip(NEXT) | instid1(VALU_DEP_1)
	v_and_b32_e32 v14, 0x80000000, v14
	v_lshl_add_u32 v10, v10, 23, v14
                                        ; implicit-def: $vgpr14
	s_delay_alu instid0(VALU_DEP_1) | instskip(NEXT) | instid1(VALU_DEP_1)
	v_lshl_or_b32 v10, v11, 21, v10
                                        ; implicit-def: $vgpr11
	v_add_nc_u32_e32 v10, 0x38000000, v10
.LBB2_2716:                             ;   in Loop: Header=BB2_2434 Depth=2
	s_and_not1_saveexec_b32 s26, s26
; %bb.2717:                             ;   in Loop: Header=BB2_2434 Depth=2
	v_cmp_lt_i16_e32 vcc_lo, -1, v14
	v_cndmask_b32_e32 v10, 0xff800000, v45, vcc_lo
	v_cmp_eq_u32_e32 vcc_lo, 0, v11
	s_delay_alu instid0(VALU_DEP_2)
	v_cndmask_b32_e32 v10, 0x7f800001, v10, vcc_lo
; %bb.2718:                             ;   in Loop: Header=BB2_2434 Depth=2
	s_or_b32 exec_lo, exec_lo, s26
.LBB2_2719:                             ;   in Loop: Header=BB2_2434 Depth=2
	s_delay_alu instid0(SALU_CYCLE_1)
	s_or_b32 exec_lo, exec_lo, s25
.LBB2_2720:                             ;   in Loop: Header=BB2_2434 Depth=2
	s_delay_alu instid0(SALU_CYCLE_1) | instskip(SKIP_3) | instid1(VALU_DEP_1)
	s_or_b32 exec_lo, exec_lo, s7
	v_and_b32_e32 v14, 0xff, v12
	s_mov_b32 s25, 0
	s_mov_b32 s7, exec_lo
	v_cmpx_lt_i16_e32 0x7f, v14
	s_xor_b32 s7, exec_lo, s7
	s_cbranch_execz .LBB2_2997
; %bb.2721:                             ;   in Loop: Header=BB2_2434 Depth=2
	s_mov_b32 s25, -1
	s_mov_b32 s26, exec_lo
	v_cmpx_eq_u16_e32 0x80, v14
; %bb.2722:                             ;   in Loop: Header=BB2_2434 Depth=2
	s_xor_b32 s25, exec_lo, -1
; %bb.2723:                             ;   in Loop: Header=BB2_2434 Depth=2
	s_or_b32 exec_lo, exec_lo, s26
	s_delay_alu instid0(SALU_CYCLE_1)
	s_and_b32 s25, s25, exec_lo
                                        ; implicit-def: $vgpr14
	s_or_saveexec_b32 s7, s7
	v_bfrev_b32_e32 v11, 1
	s_xor_b32 exec_lo, exec_lo, s7
	s_cbranch_execnz .LBB2_2998
.LBB2_2724:                             ;   in Loop: Header=BB2_2434 Depth=2
	s_or_b32 exec_lo, exec_lo, s7
	s_and_saveexec_b32 s7, s25
	s_cbranch_execz .LBB2_2726
.LBB2_2725:                             ;   in Loop: Header=BB2_2434 Depth=2
	v_and_b32_e32 v11, 3, v12
	v_bfe_u32 v86, v12, 2, 5
	s_delay_alu instid0(VALU_DEP_2) | instskip(NEXT) | instid1(VALU_DEP_2)
	v_clz_i32_u32_e32 v14, v11
	v_cmp_eq_u32_e32 vcc_lo, 0, v86
	s_delay_alu instid0(VALU_DEP_2) | instskip(NEXT) | instid1(VALU_DEP_1)
	v_min_u32_e32 v38, 32, v14
	v_subrev_nc_u32_e32 v14, 29, v38
	v_sub_nc_u32_e32 v38, 30, v38
	s_delay_alu instid0(VALU_DEP_2) | instskip(NEXT) | instid1(VALU_DEP_2)
	v_lshlrev_b64_e32 v[14:15], v14, v[12:13]
	v_dual_cndmask_b32 v38, v86, v38 :: v_dual_lshlrev_b32 v15, 24, v12
	v_bfe_i32 v86, v12, 0, 8
	s_delay_alu instid0(VALU_DEP_2) | instskip(NEXT) | instid1(VALU_DEP_4)
	v_and_b32_e32 v15, 0x80000000, v15
	v_and_b32_e32 v14, 3, v14
	s_delay_alu instid0(VALU_DEP_2) | instskip(NEXT) | instid1(VALU_DEP_2)
	v_lshl_add_u32 v15, v38, 23, v15
	v_cndmask_b32_e32 v14, v11, v14, vcc_lo
	v_cmp_lt_i16_e32 vcc_lo, -1, v86
	s_delay_alu instid0(VALU_DEP_2) | instskip(SKIP_3) | instid1(VALU_DEP_4)
	v_lshl_or_b32 v14, v14, 21, v15
	v_cndmask_b32_e32 v38, 0xff800000, v45, vcc_lo
	v_and_b32_e32 v15, 0x7c, v12
	v_cmp_eq_u32_e32 vcc_lo, 0, v11
	v_add_nc_u32_e32 v14, 0x38000000, v14
	s_delay_alu instid0(VALU_DEP_4) | instskip(NEXT) | instid1(VALU_DEP_4)
	v_cndmask_b32_e32 v11, 0x7f800001, v38, vcc_lo
	v_cmp_eq_u32_e32 vcc_lo, 0x7c, v15
	s_delay_alu instid0(VALU_DEP_2)
	v_cndmask_b32_e32 v11, v14, v11, vcc_lo
.LBB2_2726:                             ;   in Loop: Header=BB2_2434 Depth=2
	s_or_b32 exec_lo, exec_lo, s7
	s_delay_alu instid0(VALU_DEP_1) | instskip(SKIP_1) | instid1(VALU_DEP_1)
	v_dual_mul_f32 v10, v10, v11 :: v_dual_mov_b32 v15, v39
                                        ; implicit-def: $vgpr97
	s_mov_b32 s7, exec_lo
	v_and_b32_e32 v14, 0x7f800000, v10
	v_and_b32_e32 v38, 0x7fffff, v10
	v_lshrrev_b32_e32 v11, 24, v10
	s_delay_alu instid0(VALU_DEP_3)
	v_cmpx_ne_u64_e32 0x7f800000, v[14:15]
	s_xor_b32 s25, exec_lo, s7
	s_cbranch_execz .LBB2_2740
; %bb.2727:                             ;   in Loop: Header=BB2_2434 Depth=2
	v_and_b32_e32 v14, 0x7fffffff, v10
	v_mov_b32_e32 v15, v39
	v_and_b32_e32 v86, 0x80, v11
                                        ; implicit-def: $vgpr97
	s_mov_b32 s7, exec_lo
	s_delay_alu instid0(VALU_DEP_2)
	v_cmpx_gt_u64_e32 0x47600001, v[14:15]
	s_xor_b32 s26, exec_lo, s7
	s_cbranch_execz .LBB2_2737
; %bb.2728:                             ;   in Loop: Header=BB2_2434 Depth=2
	v_mov_b32_e32 v97, 0
	s_mov_b32 s27, exec_lo
	v_cmpx_ne_u32_e32 0, v10
	s_cbranch_execz .LBB2_2736
; %bb.2729:                             ;   in Loop: Header=BB2_2434 Depth=2
	v_bfe_u32 v87, v10, 23, 8
	v_or_b32_e32 v14, 0x800000, v38
	s_delay_alu instid0(VALU_DEP_2) | instskip(SKIP_1) | instid1(VALU_DEP_2)
	v_sub_nc_u32_e32 v10, 0x71, v87
	v_cmp_gt_u32_e32 vcc_lo, 0x72, v87
	v_cndmask_b32_e32 v10, 0, v10, vcc_lo
	v_cmp_eq_u32_e32 vcc_lo, 0, v87
	s_delay_alu instid0(VALU_DEP_2) | instskip(NEXT) | instid1(VALU_DEP_1)
	v_cndmask_b32_e64 v97, v10, 0x70, vcc_lo
	v_dual_cndmask_b32 v38, v14, v38, vcc_lo :: v_dual_add_nc_u32 v10, 21, v97
	v_add_nc_u32_e32 v15, 20, v97
	s_delay_alu instid0(VALU_DEP_2) | instskip(NEXT) | instid1(VALU_DEP_2)
	v_lshlrev_b64_e64 v[10:11], v10, -1
	v_lshlrev_b64_e64 v[14:15], v15, 1
	s_delay_alu instid0(VALU_DEP_2) | instskip(NEXT) | instid1(VALU_DEP_3)
	v_bfi_b32 v117, v11, 0, 0
	v_bfi_b32 v116, v10, 0, v38
	v_lshrrev_b64 v[10:11], v97, v[38:39]
	s_delay_alu instid0(VALU_DEP_2) | instskip(NEXT) | instid1(VALU_DEP_2)
	v_cmp_eq_u64_e64 s7, v[116:117], v[14:15]
	v_mov_b64_e32 v[14:15], v[10:11]
	s_and_saveexec_b32 s28, s7
; %bb.2730:                             ;   in Loop: Header=BB2_2434 Depth=2
	v_bfe_u32 v38, v10, 21, 1
	s_delay_alu instid0(VALU_DEP_1) | instskip(NEXT) | instid1(VALU_DEP_1)
	v_add_nc_u64_e32 v[14:15], v[10:11], v[38:39]
	v_add_nc_u64_e32 v[14:15], -1, v[14:15]
; %bb.2731:                             ;   in Loop: Header=BB2_2434 Depth=2
	s_or_b32 exec_lo, exec_lo, s28
	v_add_nc_u32_e32 v11, 0xffffff81, v87
	v_lshrrev_b32_e32 v15, 23, v10
	s_mov_b32 s7, exec_lo
	s_delay_alu instid0(VALU_DEP_2) | instskip(NEXT) | instid1(VALU_DEP_1)
	v_cndmask_b32_e64 v11, v11, 0xffffff82, vcc_lo
	v_add3_u32 v15, v97, v11, v15
	v_and_b32_e32 v11, 0x1fffff, v14
                                        ; implicit-def: $vgpr14
	s_delay_alu instid0(VALU_DEP_1) | instskip(NEXT) | instid1(VALU_DEP_1)
	v_dual_add_nc_u32 v87, 14, v15 :: v_dual_add_nc_u32 v38, v11, v10
                                        ; implicit-def: $vgpr10_vgpr11
	v_cmpx_ne_u32_e32 0, v87
	s_xor_b32 s7, exec_lo, s7
; %bb.2732:                             ;   in Loop: Header=BB2_2434 Depth=2
	s_delay_alu instid0(VALU_DEP_2) | instskip(SKIP_1) | instid1(VALU_DEP_1)
	v_cmp_lt_u64_e32 vcc_lo, 0xffffff, v[38:39]
	v_add_nc_u32_e32 v10, 15, v15
	v_cndmask_b32_e32 v14, v87, v10, vcc_lo
	v_cndmask_b32_e64 v10, 0, 1, vcc_lo
	s_delay_alu instid0(VALU_DEP_1)
	v_lshrrev_b64 v[10:11], v10, v[38:39]
; %bb.2733:                             ;   in Loop: Header=BB2_2434 Depth=2
	s_and_not1_saveexec_b32 s7, s7
; %bb.2734:                             ;   in Loop: Header=BB2_2434 Depth=2
	v_mov_b64_e32 v[10:11], v[38:39]
	v_bfe_u32 v14, v38, 23, 1
; %bb.2735:                             ;   in Loop: Header=BB2_2434 Depth=2
	s_or_b32 exec_lo, exec_lo, s7
	s_delay_alu instid0(VALU_DEP_2) | instskip(NEXT) | instid1(VALU_DEP_2)
	v_lshrrev_b64 v[10:11], 21, v[10:11]
	v_cmp_gt_i32_e32 vcc_lo, 32, v14
	v_min_i32_e32 v15, 31, v14
	v_cmp_eq_u32_e64 s7, 0, v14
	s_delay_alu instid0(VALU_DEP_4) | instskip(NEXT) | instid1(VALU_DEP_3)
	v_cndmask_b32_e32 v11, 0, v11, vcc_lo
	v_dual_cndmask_b32 v10, 3, v10 :: v_dual_lshlrev_b32 v15, 2, v15
	s_delay_alu instid0(VALU_DEP_1) | instskip(NEXT) | instid1(VALU_DEP_2)
	v_and_b32_e32 v15, 0xfc, v15
	v_cmp_eq_u64_e32 vcc_lo, 0, v[10:11]
	s_delay_alu instid0(VALU_DEP_2)
	v_and_or_b32 v10, v10, 3, v15
	s_and_b32 s7, s7, vcc_lo
	s_delay_alu instid0(VALU_DEP_1) | instid1(SALU_CYCLE_1)
	v_cndmask_b32_e64 v10, v10, 0, s7
	s_delay_alu instid0(VALU_DEP_1)
	v_or_b32_e32 v97, v10, v86
.LBB2_2736:                             ;   in Loop: Header=BB2_2434 Depth=2
	s_or_b32 exec_lo, exec_lo, s27
                                        ; implicit-def: $vgpr86
.LBB2_2737:                             ;   in Loop: Header=BB2_2434 Depth=2
	s_and_not1_saveexec_b32 s7, s26
; %bb.2738:                             ;   in Loop: Header=BB2_2434 Depth=2
	v_or_b32_e32 v97, 0x7b, v86
; %bb.2739:                             ;   in Loop: Header=BB2_2434 Depth=2
	s_or_b32 exec_lo, exec_lo, s7
                                        ; implicit-def: $vgpr10
                                        ; implicit-def: $vgpr11
.LBB2_2740:                             ;   in Loop: Header=BB2_2434 Depth=2
	s_and_not1_saveexec_b32 s7, s25
	s_cbranch_execz .LBB2_2746
; %bb.2741:                             ;   in Loop: Header=BB2_2434 Depth=2
	s_mov_b32 s25, exec_lo
                                        ; implicit-def: $vgpr97
	v_cmpx_ne_u64_e32 0, v[38:39]
	s_xor_b32 s25, exec_lo, s25
; %bb.2742:                             ;   in Loop: Header=BB2_2434 Depth=2
	v_or_b32_e32 v97, 0x7f, v11
                                        ; implicit-def: $vgpr10
; %bb.2743:                             ;   in Loop: Header=BB2_2434 Depth=2
	s_and_not1_saveexec_b32 s25, s25
; %bb.2744:                             ;   in Loop: Header=BB2_2434 Depth=2
	v_cmp_lt_i32_e32 vcc_lo, -1, v10
	v_cndmask_b32_e32 v97, 0xfc, v46, vcc_lo
; %bb.2745:                             ;   in Loop: Header=BB2_2434 Depth=2
	s_or_b32 exec_lo, exec_lo, s25
.LBB2_2746:                             ;   in Loop: Header=BB2_2434 Depth=2
	s_delay_alu instid0(SALU_CYCLE_1) | instskip(SKIP_3) | instid1(VALU_DEP_2)
	s_or_b32 exec_lo, exec_lo, s7
	v_lshrrev_b16 v38, 8, v16
	v_mov_b32_e32 v10, 0
	s_mov_b32 s7, exec_lo
	v_cmpx_ne_u16_e32 0, v38
	s_cbranch_execz .LBB2_2756
; %bb.2747:                             ;   in Loop: Header=BB2_2434 Depth=2
	v_bfrev_b32_e32 v10, 1
	s_mov_b32 s25, exec_lo
	v_cmpx_ne_u16_e32 0x80, v38
	s_cbranch_execz .LBB2_2755
; %bb.2748:                             ;   in Loop: Header=BB2_2434 Depth=2
	v_and_b32_e32 v14, 0xffff, v38
	s_delay_alu instid0(VALU_DEP_1) | instskip(SKIP_1) | instid1(VALU_DEP_2)
	v_and_b32_e32 v10, 0x7c, v14
	v_and_b32_e32 v11, 3, v14
	v_cmp_ne_u32_e32 vcc_lo, 0x7c, v10
                                        ; implicit-def: $vgpr10
	s_and_saveexec_b32 s26, vcc_lo
	s_delay_alu instid0(SALU_CYCLE_1)
	s_xor_b32 s26, exec_lo, s26
	s_cbranch_execz .LBB2_2752
; %bb.2749:                             ;   in Loop: Header=BB2_2434 Depth=2
	v_bfe_u32 v10, v14, 2, 5
	s_mov_b32 s27, exec_lo
	s_delay_alu instid0(VALU_DEP_1)
	v_cmpx_eq_u32_e32 0, v10
; %bb.2750:                             ;   in Loop: Header=BB2_2434 Depth=2
	v_clz_i32_u32_e32 v10, v11
	s_delay_alu instid0(VALU_DEP_1) | instskip(NEXT) | instid1(VALU_DEP_1)
	v_min_u32_e32 v10, 32, v10
	v_subrev_nc_u32_e32 v11, 29, v10
	v_sub_nc_u32_e32 v10, 30, v10
	s_delay_alu instid0(VALU_DEP_2) | instskip(NEXT) | instid1(VALU_DEP_1)
	v_lshlrev_b64_e32 v[14:15], v11, v[38:39]
	v_and_b32_e32 v11, 3, v14
; %bb.2751:                             ;   in Loop: Header=BB2_2434 Depth=2
	s_or_b32 exec_lo, exec_lo, s27
	v_lshlrev_b32_e32 v14, 16, v16
	s_delay_alu instid0(VALU_DEP_1) | instskip(NEXT) | instid1(VALU_DEP_1)
	v_and_b32_e32 v14, 0x80000000, v14
	v_lshl_add_u32 v10, v10, 23, v14
	s_delay_alu instid0(VALU_DEP_1) | instskip(NEXT) | instid1(VALU_DEP_1)
	v_lshl_or_b32 v10, v11, 21, v10
                                        ; implicit-def: $vgpr11
	v_add_nc_u32_e32 v10, 0x38000000, v10
.LBB2_2752:                             ;   in Loop: Header=BB2_2434 Depth=2
	s_and_not1_saveexec_b32 s26, s26
; %bb.2753:                             ;   in Loop: Header=BB2_2434 Depth=2
	v_cmp_lt_i16_e32 vcc_lo, -1, v16
	v_cndmask_b32_e32 v10, 0xff800000, v45, vcc_lo
	v_cmp_eq_u32_e32 vcc_lo, 0, v11
	s_delay_alu instid0(VALU_DEP_2)
	v_cndmask_b32_e32 v10, 0x7f800001, v10, vcc_lo
; %bb.2754:                             ;   in Loop: Header=BB2_2434 Depth=2
	s_or_b32 exec_lo, exec_lo, s26
.LBB2_2755:                             ;   in Loop: Header=BB2_2434 Depth=2
	s_delay_alu instid0(SALU_CYCLE_1)
	s_or_b32 exec_lo, exec_lo, s25
.LBB2_2756:                             ;   in Loop: Header=BB2_2434 Depth=2
	s_delay_alu instid0(SALU_CYCLE_1) | instskip(SKIP_3) | instid1(VALU_DEP_1)
	s_or_b32 exec_lo, exec_lo, s7
	v_lshrrev_b16 v38, 8, v12
	s_mov_b32 s25, 0
	s_mov_b32 s7, exec_lo
	v_cmpx_lt_i16_e32 0x7f, v38
	s_xor_b32 s7, exec_lo, s7
	s_cbranch_execz .LBB2_2999
; %bb.2757:                             ;   in Loop: Header=BB2_2434 Depth=2
	s_mov_b32 s25, -1
	s_mov_b32 s26, exec_lo
	v_cmpx_eq_u16_e32 0x80, v38
; %bb.2758:                             ;   in Loop: Header=BB2_2434 Depth=2
	s_xor_b32 s25, exec_lo, -1
; %bb.2759:                             ;   in Loop: Header=BB2_2434 Depth=2
	s_or_b32 exec_lo, exec_lo, s26
	s_delay_alu instid0(SALU_CYCLE_1)
	s_and_b32 s25, s25, exec_lo
	s_or_saveexec_b32 s7, s7
	v_bfrev_b32_e32 v11, 1
	s_xor_b32 exec_lo, exec_lo, s7
	s_cbranch_execnz .LBB2_3000
.LBB2_2760:                             ;   in Loop: Header=BB2_2434 Depth=2
	s_or_b32 exec_lo, exec_lo, s7
	s_and_saveexec_b32 s7, s25
	s_cbranch_execz .LBB2_2762
.LBB2_2761:                             ;   in Loop: Header=BB2_2434 Depth=2
	v_and_b32_e32 v11, 0xffff, v38
	s_delay_alu instid0(VALU_DEP_1) | instskip(NEXT) | instid1(VALU_DEP_1)
	v_and_b32_e32 v86, 3, v11
	v_clz_i32_u32_e32 v14, v86
	s_delay_alu instid0(VALU_DEP_1) | instskip(NEXT) | instid1(VALU_DEP_1)
	v_min_u32_e32 v87, 32, v14
	v_subrev_nc_u32_e32 v14, 29, v87
	s_delay_alu instid0(VALU_DEP_1) | instskip(SKIP_4) | instid1(VALU_DEP_4)
	v_lshlrev_b64_e32 v[14:15], v14, v[38:39]
	v_lshlrev_b32_e32 v15, 24, v38
	v_bfe_u32 v38, v11, 2, 5
	v_sub_nc_u32_e32 v87, 30, v87
	v_and_b32_e32 v11, 0x7c, v11
	v_and_b32_e32 v15, 0x80000000, v15
	s_delay_alu instid0(VALU_DEP_4) | instskip(NEXT) | instid1(VALU_DEP_4)
	v_cmp_eq_u32_e32 vcc_lo, 0, v38
	v_dual_cndmask_b32 v38, v38, v87, vcc_lo :: v_dual_bitop2_b32 v14, 3, v14 bitop3:0x40
	s_delay_alu instid0(VALU_DEP_1) | instskip(SKIP_1) | instid1(VALU_DEP_3)
	v_cndmask_b32_e32 v14, v86, v14, vcc_lo
	v_cmp_lt_i16_e32 vcc_lo, -1, v12
	v_lshl_add_u32 v15, v38, 23, v15
	v_cndmask_b32_e32 v38, 0xff800000, v45, vcc_lo
	v_cmp_eq_u32_e32 vcc_lo, 0, v86
	s_delay_alu instid0(VALU_DEP_3) | instskip(NEXT) | instid1(VALU_DEP_3)
	v_lshl_or_b32 v14, v14, 21, v15
	v_cndmask_b32_e32 v15, 0x7f800001, v38, vcc_lo
	v_cmp_eq_u32_e32 vcc_lo, 0x7c, v11
	s_delay_alu instid0(VALU_DEP_3) | instskip(NEXT) | instid1(VALU_DEP_1)
	v_add_nc_u32_e32 v14, 0x38000000, v14
	v_cndmask_b32_e32 v11, v14, v15, vcc_lo
.LBB2_2762:                             ;   in Loop: Header=BB2_2434 Depth=2
	s_or_b32 exec_lo, exec_lo, s7
	s_delay_alu instid0(VALU_DEP_1) | instskip(SKIP_1) | instid1(VALU_DEP_1)
	v_dual_mul_f32 v10, v10, v11 :: v_dual_mov_b32 v15, v39
                                        ; implicit-def: $vgpr115
	s_mov_b32 s7, exec_lo
	v_and_b32_e32 v14, 0x7f800000, v10
	v_and_b32_e32 v38, 0x7fffff, v10
	v_lshrrev_b32_e32 v11, 24, v10
	s_delay_alu instid0(VALU_DEP_3)
	v_cmpx_ne_u64_e32 0x7f800000, v[14:15]
	s_xor_b32 s25, exec_lo, s7
	s_cbranch_execz .LBB2_2776
; %bb.2763:                             ;   in Loop: Header=BB2_2434 Depth=2
	v_and_b32_e32 v14, 0x7fffffff, v10
	v_mov_b32_e32 v15, v39
	v_and_b32_e32 v86, 0x80, v11
                                        ; implicit-def: $vgpr115
	s_mov_b32 s7, exec_lo
	s_delay_alu instid0(VALU_DEP_2)
	v_cmpx_gt_u64_e32 0x47600001, v[14:15]
	s_xor_b32 s26, exec_lo, s7
	s_cbranch_execz .LBB2_2773
; %bb.2764:                             ;   in Loop: Header=BB2_2434 Depth=2
	v_mov_b32_e32 v115, 0
	s_mov_b32 s27, exec_lo
	v_cmpx_ne_u32_e32 0, v10
	s_cbranch_execz .LBB2_2772
; %bb.2765:                             ;   in Loop: Header=BB2_2434 Depth=2
	v_bfe_u32 v87, v10, 23, 8
	v_or_b32_e32 v14, 0x800000, v38
	s_delay_alu instid0(VALU_DEP_2) | instskip(SKIP_1) | instid1(VALU_DEP_2)
	v_sub_nc_u32_e32 v10, 0x71, v87
	v_cmp_gt_u32_e32 vcc_lo, 0x72, v87
	v_cndmask_b32_e32 v10, 0, v10, vcc_lo
	v_cmp_eq_u32_e32 vcc_lo, 0, v87
	s_delay_alu instid0(VALU_DEP_2) | instskip(NEXT) | instid1(VALU_DEP_1)
	v_cndmask_b32_e64 v115, v10, 0x70, vcc_lo
	v_dual_cndmask_b32 v38, v14, v38, vcc_lo :: v_dual_add_nc_u32 v10, 21, v115
	v_add_nc_u32_e32 v15, 20, v115
	s_delay_alu instid0(VALU_DEP_2) | instskip(NEXT) | instid1(VALU_DEP_2)
	v_lshlrev_b64_e64 v[10:11], v10, -1
	v_lshlrev_b64_e64 v[14:15], v15, 1
	s_delay_alu instid0(VALU_DEP_2) | instskip(NEXT) | instid1(VALU_DEP_3)
	v_bfi_b32 v117, v11, 0, 0
	v_bfi_b32 v116, v10, 0, v38
	v_lshrrev_b64 v[10:11], v115, v[38:39]
	s_delay_alu instid0(VALU_DEP_2) | instskip(NEXT) | instid1(VALU_DEP_2)
	v_cmp_eq_u64_e64 s7, v[116:117], v[14:15]
	v_mov_b64_e32 v[14:15], v[10:11]
	s_and_saveexec_b32 s28, s7
; %bb.2766:                             ;   in Loop: Header=BB2_2434 Depth=2
	v_bfe_u32 v38, v10, 21, 1
	s_delay_alu instid0(VALU_DEP_1) | instskip(NEXT) | instid1(VALU_DEP_1)
	v_add_nc_u64_e32 v[14:15], v[10:11], v[38:39]
	v_add_nc_u64_e32 v[14:15], -1, v[14:15]
; %bb.2767:                             ;   in Loop: Header=BB2_2434 Depth=2
	s_or_b32 exec_lo, exec_lo, s28
	v_add_nc_u32_e32 v11, 0xffffff81, v87
	v_lshrrev_b32_e32 v15, 23, v10
	s_mov_b32 s7, exec_lo
	s_delay_alu instid0(VALU_DEP_2) | instskip(NEXT) | instid1(VALU_DEP_1)
	v_cndmask_b32_e64 v11, v11, 0xffffff82, vcc_lo
	v_add3_u32 v15, v115, v11, v15
	v_and_b32_e32 v11, 0x1fffff, v14
                                        ; implicit-def: $vgpr14
	s_delay_alu instid0(VALU_DEP_1) | instskip(NEXT) | instid1(VALU_DEP_1)
	v_dual_add_nc_u32 v87, 14, v15 :: v_dual_add_nc_u32 v38, v11, v10
                                        ; implicit-def: $vgpr10_vgpr11
	v_cmpx_ne_u32_e32 0, v87
	s_xor_b32 s7, exec_lo, s7
; %bb.2768:                             ;   in Loop: Header=BB2_2434 Depth=2
	s_delay_alu instid0(VALU_DEP_2) | instskip(SKIP_1) | instid1(VALU_DEP_1)
	v_cmp_lt_u64_e32 vcc_lo, 0xffffff, v[38:39]
	v_add_nc_u32_e32 v10, 15, v15
	v_cndmask_b32_e32 v14, v87, v10, vcc_lo
	v_cndmask_b32_e64 v10, 0, 1, vcc_lo
	s_delay_alu instid0(VALU_DEP_1)
	v_lshrrev_b64 v[10:11], v10, v[38:39]
; %bb.2769:                             ;   in Loop: Header=BB2_2434 Depth=2
	s_and_not1_saveexec_b32 s7, s7
; %bb.2770:                             ;   in Loop: Header=BB2_2434 Depth=2
	v_mov_b64_e32 v[10:11], v[38:39]
	v_bfe_u32 v14, v38, 23, 1
; %bb.2771:                             ;   in Loop: Header=BB2_2434 Depth=2
	s_or_b32 exec_lo, exec_lo, s7
	s_delay_alu instid0(VALU_DEP_2) | instskip(NEXT) | instid1(VALU_DEP_2)
	v_lshrrev_b64 v[10:11], 21, v[10:11]
	v_cmp_gt_i32_e32 vcc_lo, 32, v14
	v_min_i32_e32 v15, 31, v14
	v_cmp_eq_u32_e64 s7, 0, v14
	s_delay_alu instid0(VALU_DEP_4) | instskip(NEXT) | instid1(VALU_DEP_3)
	v_cndmask_b32_e32 v11, 0, v11, vcc_lo
	v_dual_cndmask_b32 v10, 3, v10 :: v_dual_lshlrev_b32 v15, 2, v15
	s_delay_alu instid0(VALU_DEP_1) | instskip(NEXT) | instid1(VALU_DEP_2)
	v_and_b32_e32 v15, 0xfc, v15
	v_cmp_eq_u64_e32 vcc_lo, 0, v[10:11]
	s_delay_alu instid0(VALU_DEP_2)
	v_and_or_b32 v10, v10, 3, v15
	s_and_b32 s7, s7, vcc_lo
	s_delay_alu instid0(VALU_DEP_1) | instid1(SALU_CYCLE_1)
	v_cndmask_b32_e64 v10, v10, 0, s7
	s_delay_alu instid0(VALU_DEP_1)
	v_or_b32_e32 v115, v10, v86
.LBB2_2772:                             ;   in Loop: Header=BB2_2434 Depth=2
	s_or_b32 exec_lo, exec_lo, s27
                                        ; implicit-def: $vgpr86
.LBB2_2773:                             ;   in Loop: Header=BB2_2434 Depth=2
	s_and_not1_saveexec_b32 s7, s26
; %bb.2774:                             ;   in Loop: Header=BB2_2434 Depth=2
	v_or_b32_e32 v115, 0x7b, v86
; %bb.2775:                             ;   in Loop: Header=BB2_2434 Depth=2
	s_or_b32 exec_lo, exec_lo, s7
                                        ; implicit-def: $vgpr10
                                        ; implicit-def: $vgpr11
.LBB2_2776:                             ;   in Loop: Header=BB2_2434 Depth=2
	s_and_not1_saveexec_b32 s7, s25
	s_cbranch_execz .LBB2_2782
; %bb.2777:                             ;   in Loop: Header=BB2_2434 Depth=2
	s_mov_b32 s25, exec_lo
                                        ; implicit-def: $vgpr115
	v_cmpx_ne_u64_e32 0, v[38:39]
	s_xor_b32 s25, exec_lo, s25
; %bb.2778:                             ;   in Loop: Header=BB2_2434 Depth=2
	v_or_b32_e32 v115, 0x7f, v11
                                        ; implicit-def: $vgpr10
; %bb.2779:                             ;   in Loop: Header=BB2_2434 Depth=2
	s_and_not1_saveexec_b32 s25, s25
; %bb.2780:                             ;   in Loop: Header=BB2_2434 Depth=2
	v_cmp_lt_i32_e32 vcc_lo, -1, v10
	v_cndmask_b32_e32 v115, 0xfc, v46, vcc_lo
; %bb.2781:                             ;   in Loop: Header=BB2_2434 Depth=2
	s_or_b32 exec_lo, exec_lo, s25
.LBB2_2782:                             ;   in Loop: Header=BB2_2434 Depth=2
	s_delay_alu instid0(SALU_CYCLE_1) | instskip(SKIP_2) | instid1(VALU_DEP_1)
	s_or_b32 exec_lo, exec_lo, s7
	v_dual_mov_b32 v11, 0 :: v_dual_lshrrev_b32 v10, 16, v16
	s_mov_b32 s7, exec_lo
	v_and_b32_e32 v14, 0xff, v10
	s_delay_alu instid0(VALU_DEP_1)
	v_cmpx_ne_u16_e32 0, v14
	s_cbranch_execz .LBB2_2792
; %bb.2783:                             ;   in Loop: Header=BB2_2434 Depth=2
	v_bfrev_b32_e32 v11, 1
	s_mov_b32 s25, exec_lo
	v_cmpx_ne_u16_e32 0x80, v14
	s_cbranch_execz .LBB2_2791
; %bb.2784:                             ;   in Loop: Header=BB2_2434 Depth=2
	v_and_b32_e32 v11, 0x7c0000, v16
	v_bfe_u32 v14, v16, 16, 2
	s_delay_alu instid0(VALU_DEP_2) | instskip(SKIP_1) | instid1(SALU_CYCLE_1)
	v_cmp_ne_u32_e32 vcc_lo, 0x7c0000, v11
                                        ; implicit-def: $vgpr11
	s_and_saveexec_b32 s26, vcc_lo
	s_xor_b32 s26, exec_lo, s26
	s_cbranch_execz .LBB2_2788
; %bb.2785:                             ;   in Loop: Header=BB2_2434 Depth=2
	v_bfe_u32 v11, v16, 18, 5
	s_mov_b32 s27, exec_lo
	s_delay_alu instid0(VALU_DEP_1)
	v_cmpx_eq_u32_e32 0, v11
; %bb.2786:                             ;   in Loop: Header=BB2_2434 Depth=2
	v_clz_i32_u32_e32 v11, v14
	s_delay_alu instid0(VALU_DEP_1) | instskip(NEXT) | instid1(VALU_DEP_1)
	v_min_u32_e32 v11, 32, v11
	v_subrev_nc_u32_e32 v14, 29, v11
	s_delay_alu instid0(VALU_DEP_1) | instskip(NEXT) | instid1(VALU_DEP_1)
	v_lshlrev_b64_e32 v[14:15], v14, v[10:11]
	v_dual_sub_nc_u32 v11, 30, v11 :: v_dual_bitop2_b32 v14, 3, v14 bitop3:0x40
; %bb.2787:                             ;   in Loop: Header=BB2_2434 Depth=2
	s_or_b32 exec_lo, exec_lo, s27
	v_lshlrev_b32_e32 v10, 24, v10
	s_delay_alu instid0(VALU_DEP_1) | instskip(NEXT) | instid1(VALU_DEP_1)
	v_and_b32_e32 v10, 0x80000000, v10
	v_lshl_add_u32 v10, v11, 23, v10
	s_delay_alu instid0(VALU_DEP_1) | instskip(NEXT) | instid1(VALU_DEP_1)
	v_lshl_or_b32 v10, v14, 21, v10
                                        ; implicit-def: $vgpr14
	v_add_nc_u32_e32 v11, 0x38000000, v10
                                        ; implicit-def: $vgpr10
.LBB2_2788:                             ;   in Loop: Header=BB2_2434 Depth=2
	s_and_not1_saveexec_b32 s26, s26
; %bb.2789:                             ;   in Loop: Header=BB2_2434 Depth=2
	v_bfe_i32 v10, v10, 0, 8
	s_delay_alu instid0(VALU_DEP_1) | instskip(SKIP_2) | instid1(VALU_DEP_2)
	v_cmp_lt_i16_e32 vcc_lo, -1, v10
	v_cndmask_b32_e32 v10, 0xff800000, v45, vcc_lo
	v_cmp_eq_u32_e32 vcc_lo, 0, v14
	v_cndmask_b32_e32 v11, 0x7f800001, v10, vcc_lo
; %bb.2790:                             ;   in Loop: Header=BB2_2434 Depth=2
	s_or_b32 exec_lo, exec_lo, s26
.LBB2_2791:                             ;   in Loop: Header=BB2_2434 Depth=2
	s_delay_alu instid0(SALU_CYCLE_1)
	s_or_b32 exec_lo, exec_lo, s25
.LBB2_2792:                             ;   in Loop: Header=BB2_2434 Depth=2
	s_delay_alu instid0(SALU_CYCLE_1) | instskip(SKIP_3) | instid1(VALU_DEP_1)
	s_or_b32 exec_lo, exec_lo, s7
	v_lshrrev_b32_e32 v10, 16, v12
	s_mov_b32 s25, 0
	s_mov_b32 s7, exec_lo
	v_and_b32_e32 v15, 0xff, v10
	s_delay_alu instid0(VALU_DEP_1)
	v_cmpx_lt_i16_e32 0x7f, v15
	s_xor_b32 s7, exec_lo, s7
	s_cbranch_execz .LBB2_3001
; %bb.2793:                             ;   in Loop: Header=BB2_2434 Depth=2
	s_mov_b32 s25, -1
	s_mov_b32 s26, exec_lo
	v_cmpx_eq_u16_e32 0x80, v15
; %bb.2794:                             ;   in Loop: Header=BB2_2434 Depth=2
	s_xor_b32 s25, exec_lo, -1
; %bb.2795:                             ;   in Loop: Header=BB2_2434 Depth=2
	s_or_b32 exec_lo, exec_lo, s26
	s_delay_alu instid0(SALU_CYCLE_1)
	s_and_b32 s25, s25, exec_lo
                                        ; implicit-def: $vgpr15
	s_or_saveexec_b32 s7, s7
	v_bfrev_b32_e32 v14, 1
	s_xor_b32 exec_lo, exec_lo, s7
	s_cbranch_execnz .LBB2_3002
.LBB2_2796:                             ;   in Loop: Header=BB2_2434 Depth=2
	s_or_b32 exec_lo, exec_lo, s7
	s_and_saveexec_b32 s7, s25
	s_cbranch_execz .LBB2_2798
.LBB2_2797:                             ;   in Loop: Header=BB2_2434 Depth=2
	v_and_b32_e32 v38, 3, v10
	v_bfe_u32 v87, v12, 18, 5
	s_delay_alu instid0(VALU_DEP_2) | instskip(NEXT) | instid1(VALU_DEP_2)
	v_clz_i32_u32_e32 v14, v38
	v_cmp_eq_u32_e32 vcc_lo, 0, v87
	s_delay_alu instid0(VALU_DEP_2) | instskip(NEXT) | instid1(VALU_DEP_1)
	v_min_u32_e32 v86, 32, v14
	v_subrev_nc_u32_e32 v14, 29, v86
	v_sub_nc_u32_e32 v86, 30, v86
	s_delay_alu instid0(VALU_DEP_2) | instskip(SKIP_1) | instid1(VALU_DEP_3)
	v_lshlrev_b64_e32 v[14:15], v14, v[10:11]
	v_lshlrev_b32_e32 v15, 24, v10
	v_cndmask_b32_e32 v86, v87, v86, vcc_lo
	v_bfe_i32 v10, v10, 0, 8
	s_delay_alu instid0(VALU_DEP_3) | instskip(SKIP_1) | instid1(VALU_DEP_2)
	v_and_b32_e32 v15, 0x80000000, v15
	v_and_b32_e32 v14, 3, v14
	v_lshl_add_u32 v15, v86, 23, v15
	s_delay_alu instid0(VALU_DEP_2) | instskip(SKIP_1) | instid1(VALU_DEP_2)
	v_cndmask_b32_e32 v14, v38, v14, vcc_lo
	v_cmp_lt_i16_e32 vcc_lo, -1, v10
	v_lshl_or_b32 v14, v14, 21, v15
	v_cndmask_b32_e32 v10, 0xff800000, v45, vcc_lo
	v_and_b32_e32 v15, 0x7c0000, v12
	v_cmp_eq_u32_e32 vcc_lo, 0, v38
	s_delay_alu instid0(VALU_DEP_4) | instskip(NEXT) | instid1(VALU_DEP_4)
	v_add_nc_u32_e32 v14, 0x38000000, v14
	v_cndmask_b32_e32 v10, 0x7f800001, v10, vcc_lo
	s_delay_alu instid0(VALU_DEP_4) | instskip(NEXT) | instid1(VALU_DEP_2)
	v_cmp_eq_u32_e32 vcc_lo, 0x7c0000, v15
	v_cndmask_b32_e32 v14, v14, v10, vcc_lo
.LBB2_2798:                             ;   in Loop: Header=BB2_2434 Depth=2
	s_or_b32 exec_lo, exec_lo, s7
	s_delay_alu instid0(VALU_DEP_1) | instskip(SKIP_2) | instid1(VALU_DEP_2)
	v_mul_f32_e32 v10, v11, v14
	v_mov_b32_e32 v15, v39
                                        ; implicit-def: $vgpr116
	s_mov_b32 s7, exec_lo
	v_and_b32_e32 v14, 0x7f800000, v10
	v_and_b32_e32 v38, 0x7fffff, v10
	v_lshrrev_b32_e32 v11, 24, v10
	s_delay_alu instid0(VALU_DEP_3)
	v_cmpx_ne_u64_e32 0x7f800000, v[14:15]
	s_xor_b32 s25, exec_lo, s7
	s_cbranch_execz .LBB2_2812
; %bb.2799:                             ;   in Loop: Header=BB2_2434 Depth=2
	v_and_b32_e32 v14, 0x7fffffff, v10
	v_mov_b32_e32 v15, v39
	v_and_b32_e32 v86, 0x80, v11
                                        ; implicit-def: $vgpr116
	s_mov_b32 s7, exec_lo
	s_delay_alu instid0(VALU_DEP_2)
	v_cmpx_gt_u64_e32 0x47600001, v[14:15]
	s_xor_b32 s26, exec_lo, s7
	s_cbranch_execz .LBB2_2809
; %bb.2800:                             ;   in Loop: Header=BB2_2434 Depth=2
	v_mov_b32_e32 v116, 0
	s_mov_b32 s27, exec_lo
	v_cmpx_ne_u32_e32 0, v10
	s_cbranch_execz .LBB2_2808
; %bb.2801:                             ;   in Loop: Header=BB2_2434 Depth=2
	v_bfe_u32 v87, v10, 23, 8
	v_or_b32_e32 v14, 0x800000, v38
	s_delay_alu instid0(VALU_DEP_2) | instskip(SKIP_1) | instid1(VALU_DEP_2)
	v_sub_nc_u32_e32 v10, 0x71, v87
	v_cmp_gt_u32_e32 vcc_lo, 0x72, v87
	v_cndmask_b32_e32 v10, 0, v10, vcc_lo
	v_cmp_eq_u32_e32 vcc_lo, 0, v87
	s_delay_alu instid0(VALU_DEP_2) | instskip(NEXT) | instid1(VALU_DEP_1)
	v_cndmask_b32_e64 v116, v10, 0x70, vcc_lo
	v_dual_cndmask_b32 v38, v14, v38, vcc_lo :: v_dual_add_nc_u32 v10, 21, v116
	v_add_nc_u32_e32 v15, 20, v116
	s_delay_alu instid0(VALU_DEP_2) | instskip(NEXT) | instid1(VALU_DEP_2)
	v_lshlrev_b64_e64 v[10:11], v10, -1
	v_lshlrev_b64_e64 v[14:15], v15, 1
	s_delay_alu instid0(VALU_DEP_2) | instskip(NEXT) | instid1(VALU_DEP_3)
	v_bfi_b32 v119, v11, 0, 0
	v_bfi_b32 v118, v10, 0, v38
	v_lshrrev_b64 v[10:11], v116, v[38:39]
	s_delay_alu instid0(VALU_DEP_2) | instskip(NEXT) | instid1(VALU_DEP_2)
	v_cmp_eq_u64_e64 s7, v[118:119], v[14:15]
	v_mov_b64_e32 v[14:15], v[10:11]
	s_and_saveexec_b32 s28, s7
; %bb.2802:                             ;   in Loop: Header=BB2_2434 Depth=2
	v_bfe_u32 v38, v10, 21, 1
	s_delay_alu instid0(VALU_DEP_1) | instskip(NEXT) | instid1(VALU_DEP_1)
	v_add_nc_u64_e32 v[14:15], v[10:11], v[38:39]
	v_add_nc_u64_e32 v[14:15], -1, v[14:15]
; %bb.2803:                             ;   in Loop: Header=BB2_2434 Depth=2
	s_or_b32 exec_lo, exec_lo, s28
	v_add_nc_u32_e32 v11, 0xffffff81, v87
	v_lshrrev_b32_e32 v15, 23, v10
	s_mov_b32 s7, exec_lo
	s_delay_alu instid0(VALU_DEP_2) | instskip(NEXT) | instid1(VALU_DEP_1)
	v_cndmask_b32_e64 v11, v11, 0xffffff82, vcc_lo
	v_add3_u32 v15, v116, v11, v15
	v_and_b32_e32 v11, 0x1fffff, v14
                                        ; implicit-def: $vgpr14
	s_delay_alu instid0(VALU_DEP_1) | instskip(NEXT) | instid1(VALU_DEP_1)
	v_dual_add_nc_u32 v87, 14, v15 :: v_dual_add_nc_u32 v38, v11, v10
                                        ; implicit-def: $vgpr10_vgpr11
	v_cmpx_ne_u32_e32 0, v87
	s_xor_b32 s7, exec_lo, s7
; %bb.2804:                             ;   in Loop: Header=BB2_2434 Depth=2
	s_delay_alu instid0(VALU_DEP_2) | instskip(SKIP_1) | instid1(VALU_DEP_1)
	v_cmp_lt_u64_e32 vcc_lo, 0xffffff, v[38:39]
	v_add_nc_u32_e32 v10, 15, v15
	v_cndmask_b32_e32 v14, v87, v10, vcc_lo
	v_cndmask_b32_e64 v10, 0, 1, vcc_lo
	s_delay_alu instid0(VALU_DEP_1)
	v_lshrrev_b64 v[10:11], v10, v[38:39]
; %bb.2805:                             ;   in Loop: Header=BB2_2434 Depth=2
	s_and_not1_saveexec_b32 s7, s7
; %bb.2806:                             ;   in Loop: Header=BB2_2434 Depth=2
	v_mov_b64_e32 v[10:11], v[38:39]
	v_bfe_u32 v14, v38, 23, 1
; %bb.2807:                             ;   in Loop: Header=BB2_2434 Depth=2
	s_or_b32 exec_lo, exec_lo, s7
	s_delay_alu instid0(VALU_DEP_2) | instskip(NEXT) | instid1(VALU_DEP_2)
	v_lshrrev_b64 v[10:11], 21, v[10:11]
	v_cmp_gt_i32_e32 vcc_lo, 32, v14
	v_min_i32_e32 v15, 31, v14
	v_cmp_eq_u32_e64 s7, 0, v14
	s_delay_alu instid0(VALU_DEP_4) | instskip(NEXT) | instid1(VALU_DEP_3)
	v_cndmask_b32_e32 v11, 0, v11, vcc_lo
	v_dual_cndmask_b32 v10, 3, v10 :: v_dual_lshlrev_b32 v15, 2, v15
	s_delay_alu instid0(VALU_DEP_1) | instskip(NEXT) | instid1(VALU_DEP_2)
	v_and_b32_e32 v15, 0xfc, v15
	v_cmp_eq_u64_e32 vcc_lo, 0, v[10:11]
	s_delay_alu instid0(VALU_DEP_2)
	v_and_or_b32 v10, v10, 3, v15
	s_and_b32 s7, s7, vcc_lo
	s_delay_alu instid0(VALU_DEP_1) | instid1(SALU_CYCLE_1)
	v_cndmask_b32_e64 v10, v10, 0, s7
	s_delay_alu instid0(VALU_DEP_1)
	v_or_b32_e32 v116, v10, v86
.LBB2_2808:                             ;   in Loop: Header=BB2_2434 Depth=2
	s_or_b32 exec_lo, exec_lo, s27
                                        ; implicit-def: $vgpr86
.LBB2_2809:                             ;   in Loop: Header=BB2_2434 Depth=2
	s_and_not1_saveexec_b32 s7, s26
; %bb.2810:                             ;   in Loop: Header=BB2_2434 Depth=2
	v_or_b32_e32 v116, 0x7b, v86
; %bb.2811:                             ;   in Loop: Header=BB2_2434 Depth=2
	s_or_b32 exec_lo, exec_lo, s7
                                        ; implicit-def: $vgpr10
                                        ; implicit-def: $vgpr11
.LBB2_2812:                             ;   in Loop: Header=BB2_2434 Depth=2
	s_and_not1_saveexec_b32 s7, s25
	s_cbranch_execz .LBB2_2818
; %bb.2813:                             ;   in Loop: Header=BB2_2434 Depth=2
	s_mov_b32 s25, exec_lo
                                        ; implicit-def: $vgpr116
	v_cmpx_ne_u64_e32 0, v[38:39]
	s_xor_b32 s25, exec_lo, s25
; %bb.2814:                             ;   in Loop: Header=BB2_2434 Depth=2
	v_or_b32_e32 v116, 0x7f, v11
                                        ; implicit-def: $vgpr10
; %bb.2815:                             ;   in Loop: Header=BB2_2434 Depth=2
	s_and_not1_saveexec_b32 s25, s25
; %bb.2816:                             ;   in Loop: Header=BB2_2434 Depth=2
	v_cmp_lt_i32_e32 vcc_lo, -1, v10
	v_cndmask_b32_e32 v116, 0xfc, v46, vcc_lo
; %bb.2817:                             ;   in Loop: Header=BB2_2434 Depth=2
	s_or_b32 exec_lo, exec_lo, s25
.LBB2_2818:                             ;   in Loop: Header=BB2_2434 Depth=2
	s_delay_alu instid0(SALU_CYCLE_1)
	s_or_b32 exec_lo, exec_lo, s7
	v_mov_b32_e32 v11, 0
	s_mov_b32 s7, exec_lo
	v_cmpx_lt_u32_e32 0xffffff, v16
	s_cbranch_execz .LBB2_2828
; %bb.2819:                             ;   in Loop: Header=BB2_2434 Depth=2
	v_lshrrev_b32_e32 v10, 24, v16
	v_bfrev_b32_e32 v11, 1
	s_mov_b32 s25, exec_lo
	s_delay_alu instid0(VALU_DEP_2)
	v_cmpx_ne_u32_e32 0x80, v10
	s_cbranch_execz .LBB2_2827
; %bb.2820:                             ;   in Loop: Header=BB2_2434 Depth=2
	v_and_b32_e32 v11, 0x7c000000, v16
	v_bfe_u32 v14, v16, 24, 2
	s_delay_alu instid0(VALU_DEP_2) | instskip(SKIP_1) | instid1(SALU_CYCLE_1)
	v_cmp_ne_u32_e32 vcc_lo, 0x7c000000, v11
                                        ; implicit-def: $vgpr11
	s_and_saveexec_b32 s26, vcc_lo
	s_xor_b32 s26, exec_lo, s26
	s_cbranch_execz .LBB2_2824
; %bb.2821:                             ;   in Loop: Header=BB2_2434 Depth=2
	v_bfe_u32 v11, v16, 26, 5
	s_mov_b32 s27, exec_lo
	s_delay_alu instid0(VALU_DEP_1)
	v_cmpx_eq_u32_e32 0, v11
; %bb.2822:                             ;   in Loop: Header=BB2_2434 Depth=2
	v_clz_i32_u32_e32 v11, v14
	s_delay_alu instid0(VALU_DEP_1) | instskip(NEXT) | instid1(VALU_DEP_1)
	v_min_u32_e32 v14, 32, v11
	v_subrev_nc_u32_e32 v11, 29, v14
	s_delay_alu instid0(VALU_DEP_1) | instskip(SKIP_1) | instid1(VALU_DEP_2)
	v_lshlrev_b64_e32 v[10:11], v11, v[10:11]
	v_sub_nc_u32_e32 v11, 30, v14
	v_and_b32_e32 v14, 3, v10
; %bb.2823:                             ;   in Loop: Header=BB2_2434 Depth=2
	s_or_b32 exec_lo, exec_lo, s27
	v_and_b32_e32 v10, 0x80000000, v16
	s_delay_alu instid0(VALU_DEP_1) | instskip(NEXT) | instid1(VALU_DEP_1)
	v_lshl_add_u32 v10, v11, 23, v10
	v_lshl_or_b32 v10, v14, 21, v10
                                        ; implicit-def: $vgpr14
	s_delay_alu instid0(VALU_DEP_1)
	v_add_nc_u32_e32 v11, 0x38000000, v10
.LBB2_2824:                             ;   in Loop: Header=BB2_2434 Depth=2
	s_and_not1_saveexec_b32 s26, s26
; %bb.2825:                             ;   in Loop: Header=BB2_2434 Depth=2
	v_cmp_lt_i32_e32 vcc_lo, -1, v16
	v_cndmask_b32_e32 v10, 0xff800000, v45, vcc_lo
	v_cmp_eq_u32_e32 vcc_lo, 0, v14
	s_delay_alu instid0(VALU_DEP_2)
	v_cndmask_b32_e32 v11, 0x7f800001, v10, vcc_lo
; %bb.2826:                             ;   in Loop: Header=BB2_2434 Depth=2
	s_or_b32 exec_lo, exec_lo, s26
.LBB2_2827:                             ;   in Loop: Header=BB2_2434 Depth=2
	s_delay_alu instid0(SALU_CYCLE_1)
	s_or_b32 exec_lo, exec_lo, s25
.LBB2_2828:                             ;   in Loop: Header=BB2_2434 Depth=2
	s_delay_alu instid0(SALU_CYCLE_1) | instskip(SKIP_3) | instid1(VALU_DEP_2)
	s_or_b32 exec_lo, exec_lo, s7
	v_bfe_u32 v38, v12, 24, 2
	v_bfe_u32 v87, v12, 26, 5
                                        ; implicit-def: $vgpr117
	s_mov_b32 s7, exec_lo
	v_clz_i32_u32_e32 v10, v38
	s_delay_alu instid0(VALU_DEP_2) | instskip(NEXT) | instid1(VALU_DEP_2)
	v_cmp_eq_u32_e32 vcc_lo, 0, v87
	v_min_u32_e32 v86, 32, v10
	v_lshrrev_b32_e32 v10, 24, v12
	s_delay_alu instid0(VALU_DEP_2) | instskip(NEXT) | instid1(VALU_DEP_1)
	v_subrev_nc_u32_e32 v14, 29, v86
	v_lshlrev_b64_e32 v[14:15], v14, v[10:11]
	v_sub_nc_u32_e32 v15, 30, v86
	v_and_b32_e32 v86, 0x80000000, v12
	s_delay_alu instid0(VALU_DEP_2) | instskip(NEXT) | instid1(VALU_DEP_1)
	v_dual_cndmask_b32 v15, v87, v15, vcc_lo :: v_dual_bitop2_b32 v14, 3, v14 bitop3:0x40
	v_lshl_add_u32 v15, v15, 23, v86
	s_delay_alu instid0(VALU_DEP_2) | instskip(SKIP_1) | instid1(VALU_DEP_2)
	v_cndmask_b32_e32 v14, v38, v14, vcc_lo
	v_cmp_lt_i32_e32 vcc_lo, -1, v12
	v_lshl_or_b32 v14, v14, 21, v15
	v_cndmask_b32_e32 v86, 0xff800000, v45, vcc_lo
	v_and_b32_e32 v15, 0x7c000000, v12
	v_cmp_eq_u32_e32 vcc_lo, 0, v38
	s_delay_alu instid0(VALU_DEP_4) | instskip(NEXT) | instid1(VALU_DEP_4)
	v_add_nc_u32_e32 v14, 0x38000000, v14
	v_cndmask_b32_e32 v38, 0x7f800001, v86, vcc_lo
	s_delay_alu instid0(VALU_DEP_4) | instskip(NEXT) | instid1(VALU_DEP_2)
	v_cmp_eq_u32_e32 vcc_lo, 0x7c000000, v15
	v_dual_mov_b32 v15, v39 :: v_dual_cndmask_b32 v14, v14, v38
	v_cmp_ne_u32_e32 vcc_lo, 0x80, v10
	s_delay_alu instid0(VALU_DEP_2) | instskip(SKIP_1) | instid1(VALU_DEP_2)
	v_cndmask_b32_e32 v10, 0x80000000, v14, vcc_lo
	v_cmp_lt_u32_e32 vcc_lo, 0xffffff, v12
	v_cndmask_b32_e32 v10, 0, v10, vcc_lo
	s_delay_alu instid0(VALU_DEP_1) | instskip(NEXT) | instid1(VALU_DEP_1)
	v_mul_f32_e32 v10, v10, v11
	v_and_b32_e32 v14, 0x7f800000, v10
	v_and_b32_e32 v38, 0x7fffff, v10
	v_lshrrev_b32_e32 v11, 24, v10
	s_delay_alu instid0(VALU_DEP_3)
	v_cmpx_ne_u64_e32 0x7f800000, v[14:15]
	s_xor_b32 s25, exec_lo, s7
	s_cbranch_execz .LBB2_2842
; %bb.2829:                             ;   in Loop: Header=BB2_2434 Depth=2
	v_and_b32_e32 v14, 0x7fffffff, v10
	v_mov_b32_e32 v15, v39
	v_and_b32_e32 v86, 0x80, v11
                                        ; implicit-def: $vgpr117
	s_mov_b32 s7, exec_lo
	s_delay_alu instid0(VALU_DEP_2)
	v_cmpx_gt_u64_e32 0x47600001, v[14:15]
	s_xor_b32 s26, exec_lo, s7
	s_cbranch_execz .LBB2_2839
; %bb.2830:                             ;   in Loop: Header=BB2_2434 Depth=2
	v_mov_b32_e32 v117, 0
	s_mov_b32 s27, exec_lo
	v_cmpx_ne_u32_e32 0, v10
	s_cbranch_execz .LBB2_2838
; %bb.2831:                             ;   in Loop: Header=BB2_2434 Depth=2
	v_bfe_u32 v87, v10, 23, 8
	v_or_b32_e32 v14, 0x800000, v38
	s_delay_alu instid0(VALU_DEP_2) | instskip(SKIP_1) | instid1(VALU_DEP_2)
	v_sub_nc_u32_e32 v10, 0x71, v87
	v_cmp_gt_u32_e32 vcc_lo, 0x72, v87
	v_cndmask_b32_e32 v10, 0, v10, vcc_lo
	v_cmp_eq_u32_e32 vcc_lo, 0, v87
	s_delay_alu instid0(VALU_DEP_2) | instskip(NEXT) | instid1(VALU_DEP_1)
	v_cndmask_b32_e64 v117, v10, 0x70, vcc_lo
	v_dual_cndmask_b32 v38, v14, v38, vcc_lo :: v_dual_add_nc_u32 v10, 21, v117
	v_add_nc_u32_e32 v15, 20, v117
	s_delay_alu instid0(VALU_DEP_2) | instskip(NEXT) | instid1(VALU_DEP_2)
	v_lshlrev_b64_e64 v[10:11], v10, -1
	v_lshlrev_b64_e64 v[14:15], v15, 1
	s_delay_alu instid0(VALU_DEP_2) | instskip(NEXT) | instid1(VALU_DEP_3)
	v_bfi_b32 v119, v11, 0, 0
	v_bfi_b32 v118, v10, 0, v38
	v_lshrrev_b64 v[10:11], v117, v[38:39]
	s_delay_alu instid0(VALU_DEP_2) | instskip(NEXT) | instid1(VALU_DEP_2)
	v_cmp_eq_u64_e64 s7, v[118:119], v[14:15]
	v_mov_b64_e32 v[14:15], v[10:11]
	s_and_saveexec_b32 s28, s7
; %bb.2832:                             ;   in Loop: Header=BB2_2434 Depth=2
	v_bfe_u32 v38, v10, 21, 1
	s_delay_alu instid0(VALU_DEP_1) | instskip(NEXT) | instid1(VALU_DEP_1)
	v_add_nc_u64_e32 v[14:15], v[10:11], v[38:39]
	v_add_nc_u64_e32 v[14:15], -1, v[14:15]
; %bb.2833:                             ;   in Loop: Header=BB2_2434 Depth=2
	s_or_b32 exec_lo, exec_lo, s28
	v_add_nc_u32_e32 v11, 0xffffff81, v87
	v_lshrrev_b32_e32 v15, 23, v10
	s_mov_b32 s7, exec_lo
	s_delay_alu instid0(VALU_DEP_2) | instskip(NEXT) | instid1(VALU_DEP_1)
	v_cndmask_b32_e64 v11, v11, 0xffffff82, vcc_lo
	v_add3_u32 v15, v117, v11, v15
	v_and_b32_e32 v11, 0x1fffff, v14
                                        ; implicit-def: $vgpr14
	s_delay_alu instid0(VALU_DEP_1) | instskip(NEXT) | instid1(VALU_DEP_1)
	v_dual_add_nc_u32 v87, 14, v15 :: v_dual_add_nc_u32 v38, v11, v10
                                        ; implicit-def: $vgpr10_vgpr11
	v_cmpx_ne_u32_e32 0, v87
	s_xor_b32 s7, exec_lo, s7
; %bb.2834:                             ;   in Loop: Header=BB2_2434 Depth=2
	s_delay_alu instid0(VALU_DEP_2) | instskip(SKIP_1) | instid1(VALU_DEP_1)
	v_cmp_lt_u64_e32 vcc_lo, 0xffffff, v[38:39]
	v_add_nc_u32_e32 v10, 15, v15
	v_cndmask_b32_e32 v14, v87, v10, vcc_lo
	v_cndmask_b32_e64 v10, 0, 1, vcc_lo
	s_delay_alu instid0(VALU_DEP_1)
	v_lshrrev_b64 v[10:11], v10, v[38:39]
; %bb.2835:                             ;   in Loop: Header=BB2_2434 Depth=2
	s_and_not1_saveexec_b32 s7, s7
; %bb.2836:                             ;   in Loop: Header=BB2_2434 Depth=2
	v_mov_b64_e32 v[10:11], v[38:39]
	v_bfe_u32 v14, v38, 23, 1
; %bb.2837:                             ;   in Loop: Header=BB2_2434 Depth=2
	s_or_b32 exec_lo, exec_lo, s7
	s_delay_alu instid0(VALU_DEP_2) | instskip(NEXT) | instid1(VALU_DEP_2)
	v_lshrrev_b64 v[10:11], 21, v[10:11]
	v_cmp_gt_i32_e32 vcc_lo, 32, v14
	v_min_i32_e32 v15, 31, v14
	v_cmp_eq_u32_e64 s7, 0, v14
	s_delay_alu instid0(VALU_DEP_4) | instskip(NEXT) | instid1(VALU_DEP_3)
	v_cndmask_b32_e32 v11, 0, v11, vcc_lo
	v_dual_cndmask_b32 v10, 3, v10 :: v_dual_lshlrev_b32 v15, 2, v15
	s_delay_alu instid0(VALU_DEP_1) | instskip(NEXT) | instid1(VALU_DEP_2)
	v_and_b32_e32 v15, 0xfc, v15
	v_cmp_eq_u64_e32 vcc_lo, 0, v[10:11]
	s_delay_alu instid0(VALU_DEP_2)
	v_and_or_b32 v10, v10, 3, v15
	s_and_b32 s7, s7, vcc_lo
	s_delay_alu instid0(VALU_DEP_1) | instid1(SALU_CYCLE_1)
	v_cndmask_b32_e64 v10, v10, 0, s7
	s_delay_alu instid0(VALU_DEP_1)
	v_or_b32_e32 v117, v10, v86
.LBB2_2838:                             ;   in Loop: Header=BB2_2434 Depth=2
	s_or_b32 exec_lo, exec_lo, s27
                                        ; implicit-def: $vgpr86
.LBB2_2839:                             ;   in Loop: Header=BB2_2434 Depth=2
	s_and_not1_saveexec_b32 s7, s26
; %bb.2840:                             ;   in Loop: Header=BB2_2434 Depth=2
	v_or_b32_e32 v117, 0x7b, v86
; %bb.2841:                             ;   in Loop: Header=BB2_2434 Depth=2
	s_or_b32 exec_lo, exec_lo, s7
                                        ; implicit-def: $vgpr10
                                        ; implicit-def: $vgpr11
.LBB2_2842:                             ;   in Loop: Header=BB2_2434 Depth=2
	s_and_not1_saveexec_b32 s7, s25
	s_cbranch_execz .LBB2_2848
; %bb.2843:                             ;   in Loop: Header=BB2_2434 Depth=2
	s_mov_b32 s25, exec_lo
                                        ; implicit-def: $vgpr117
	v_cmpx_ne_u64_e32 0, v[38:39]
	s_xor_b32 s25, exec_lo, s25
; %bb.2844:                             ;   in Loop: Header=BB2_2434 Depth=2
	v_or_b32_e32 v117, 0x7f, v11
                                        ; implicit-def: $vgpr10
; %bb.2845:                             ;   in Loop: Header=BB2_2434 Depth=2
	s_and_not1_saveexec_b32 s25, s25
; %bb.2846:                             ;   in Loop: Header=BB2_2434 Depth=2
	v_cmp_lt_i32_e32 vcc_lo, -1, v10
	v_cndmask_b32_e32 v117, 0xfc, v46, vcc_lo
; %bb.2847:                             ;   in Loop: Header=BB2_2434 Depth=2
	s_or_b32 exec_lo, exec_lo, s25
.LBB2_2848:                             ;   in Loop: Header=BB2_2434 Depth=2
	s_delay_alu instid0(SALU_CYCLE_1) | instskip(SKIP_3) | instid1(VALU_DEP_2)
	s_or_b32 exec_lo, exec_lo, s7
	v_and_b32_e32 v10, 0xff, v17
	v_dual_mov_b32 v38, v17 :: v_dual_mov_b32 v14, 0
	s_mov_b32 s7, exec_lo
	v_cmpx_ne_u16_e32 0, v10
	s_cbranch_execz .LBB2_2858
; %bb.2849:                             ;   in Loop: Header=BB2_2434 Depth=2
	v_bfrev_b32_e32 v14, 1
	s_mov_b32 s25, exec_lo
	v_cmpx_ne_u16_e32 0x80, v10
	s_cbranch_execz .LBB2_2857
; %bb.2850:                             ;   in Loop: Header=BB2_2434 Depth=2
	v_and_b32_e32 v11, 0x7c, v17
	v_and_b32_e32 v10, 3, v17
	s_mov_b32 s26, exec_lo
                                        ; implicit-def: $vgpr14
	s_delay_alu instid0(VALU_DEP_2)
	v_cmpx_ne_u32_e32 0x7c, v11
	s_xor_b32 s26, exec_lo, s26
	s_cbranch_execz .LBB2_2854
; %bb.2851:                             ;   in Loop: Header=BB2_2434 Depth=2
	v_bfe_u32 v11, v17, 2, 5
	s_mov_b32 s27, exec_lo
	s_delay_alu instid0(VALU_DEP_1)
	v_cmpx_eq_u32_e32 0, v11
; %bb.2852:                             ;   in Loop: Header=BB2_2434 Depth=2
	v_clz_i32_u32_e32 v10, v10
	s_delay_alu instid0(VALU_DEP_1) | instskip(NEXT) | instid1(VALU_DEP_1)
	v_min_u32_e32 v14, 32, v10
	v_subrev_nc_u32_e32 v10, 29, v14
	s_delay_alu instid0(VALU_DEP_1) | instskip(SKIP_1) | instid1(VALU_DEP_2)
	v_lshlrev_b64_e32 v[10:11], v10, v[38:39]
	v_sub_nc_u32_e32 v11, 30, v14
	v_and_b32_e32 v10, 3, v10
; %bb.2853:                             ;   in Loop: Header=BB2_2434 Depth=2
	s_or_b32 exec_lo, exec_lo, s27
	v_lshlrev_b32_e32 v14, 24, v17
	s_delay_alu instid0(VALU_DEP_1) | instskip(NEXT) | instid1(VALU_DEP_1)
	v_and_b32_e32 v14, 0x80000000, v14
	v_lshl_add_u32 v11, v11, 23, v14
	s_delay_alu instid0(VALU_DEP_1) | instskip(NEXT) | instid1(VALU_DEP_1)
	v_lshl_or_b32 v10, v10, 21, v11
	v_add_nc_u32_e32 v14, 0x38000000, v10
                                        ; implicit-def: $vgpr10
.LBB2_2854:                             ;   in Loop: Header=BB2_2434 Depth=2
	s_and_not1_saveexec_b32 s26, s26
; %bb.2855:                             ;   in Loop: Header=BB2_2434 Depth=2
	v_bfe_i32 v11, v17, 0, 8
	s_delay_alu instid0(VALU_DEP_1) | instskip(SKIP_2) | instid1(VALU_DEP_2)
	v_cmp_lt_i16_e32 vcc_lo, -1, v11
	v_cndmask_b32_e32 v11, 0xff800000, v45, vcc_lo
	v_cmp_eq_u32_e32 vcc_lo, 0, v10
	v_cndmask_b32_e32 v14, 0x7f800001, v11, vcc_lo
; %bb.2856:                             ;   in Loop: Header=BB2_2434 Depth=2
	s_or_b32 exec_lo, exec_lo, s26
.LBB2_2857:                             ;   in Loop: Header=BB2_2434 Depth=2
	s_delay_alu instid0(SALU_CYCLE_1)
	s_or_b32 exec_lo, exec_lo, s25
.LBB2_2858:                             ;   in Loop: Header=BB2_2434 Depth=2
	s_delay_alu instid0(SALU_CYCLE_1) | instskip(SKIP_4) | instid1(VALU_DEP_2)
	s_or_b32 exec_lo, exec_lo, s7
	v_and_b32_e32 v11, 0xff, v13
	v_mov_b32_e32 v10, v13
	s_mov_b32 s25, 0
	s_mov_b32 s7, exec_lo
	v_cmpx_lt_i16_e32 0x7f, v11
	s_xor_b32 s7, exec_lo, s7
	s_cbranch_execz .LBB2_3003
; %bb.2859:                             ;   in Loop: Header=BB2_2434 Depth=2
	s_mov_b32 s25, -1
	s_mov_b32 s26, exec_lo
	v_cmpx_eq_u16_e32 0x80, v11
; %bb.2860:                             ;   in Loop: Header=BB2_2434 Depth=2
	s_xor_b32 s25, exec_lo, -1
; %bb.2861:                             ;   in Loop: Header=BB2_2434 Depth=2
	s_or_b32 exec_lo, exec_lo, s26
	s_delay_alu instid0(SALU_CYCLE_1)
	s_and_b32 s25, s25, exec_lo
                                        ; implicit-def: $vgpr11
	s_or_saveexec_b32 s7, s7
	v_bfrev_b32_e32 v15, 1
	s_xor_b32 exec_lo, exec_lo, s7
	s_cbranch_execnz .LBB2_3004
.LBB2_2862:                             ;   in Loop: Header=BB2_2434 Depth=2
	s_or_b32 exec_lo, exec_lo, s7
	v_mov_b32_e32 v11, v39
	s_and_saveexec_b32 s7, s25
	s_cbranch_execz .LBB2_2864
.LBB2_2863:                             ;   in Loop: Header=BB2_2434 Depth=2
	v_and_b32_e32 v15, 3, v13
	s_delay_alu instid0(VALU_DEP_1) | instskip(NEXT) | instid1(VALU_DEP_1)
	v_clz_i32_u32_e32 v86, v15
	v_min_u32_e32 v118, 32, v86
	s_delay_alu instid0(VALU_DEP_1) | instskip(SKIP_1) | instid1(VALU_DEP_2)
	v_subrev_nc_u32_e32 v86, 29, v118
	v_sub_nc_u32_e32 v118, 30, v118
	v_lshlrev_b64_e32 v[86:87], v86, v[10:11]
	v_bfe_u32 v87, v13, 2, 5
	v_lshlrev_b32_e32 v11, 24, v13
	s_delay_alu instid0(VALU_DEP_2) | instskip(NEXT) | instid1(VALU_DEP_2)
	v_cmp_eq_u32_e32 vcc_lo, 0, v87
	v_and_b32_e32 v11, 0x80000000, v11
	v_and_b32_e32 v86, 3, v86
	v_cndmask_b32_e32 v87, v87, v118, vcc_lo
	v_bfe_i32 v118, v13, 0, 8
	s_delay_alu instid0(VALU_DEP_3) | instskip(NEXT) | instid1(VALU_DEP_3)
	v_cndmask_b32_e32 v86, v15, v86, vcc_lo
	v_lshl_add_u32 v11, v87, 23, v11
	s_delay_alu instid0(VALU_DEP_3) | instskip(NEXT) | instid1(VALU_DEP_2)
	v_cmp_lt_i16_e32 vcc_lo, -1, v118
	v_lshl_or_b32 v11, v86, 21, v11
	v_cndmask_b32_e32 v87, 0xff800000, v45, vcc_lo
	v_and_b32_e32 v86, 0x7c, v13
	v_cmp_eq_u32_e32 vcc_lo, 0, v15
	s_delay_alu instid0(VALU_DEP_4) | instskip(NEXT) | instid1(VALU_DEP_4)
	v_add_nc_u32_e32 v11, 0x38000000, v11
	v_cndmask_b32_e32 v15, 0x7f800001, v87, vcc_lo
	s_delay_alu instid0(VALU_DEP_4) | instskip(NEXT) | instid1(VALU_DEP_2)
	v_cmp_eq_u32_e32 vcc_lo, 0x7c, v86
	v_cndmask_b32_e32 v15, v11, v15, vcc_lo
.LBB2_2864:                             ;   in Loop: Header=BB2_2434 Depth=2
	s_or_b32 exec_lo, exec_lo, s7
	s_delay_alu instid0(VALU_DEP_1) | instskip(SKIP_2) | instid1(VALU_DEP_2)
	v_dual_mul_f32 v87, v14, v15 :: v_dual_mov_b32 v119, v39
	v_mov_b32_e32 v15, v39
                                        ; implicit-def: $vgpr86
	s_mov_b32 s7, exec_lo
	v_and_b32_e32 v118, 0x7f800000, v87
	v_and_b32_e32 v14, 0x7fffff, v87
	v_lshrrev_b32_e32 v11, 24, v87
	s_delay_alu instid0(VALU_DEP_3)
	v_cmpx_ne_u64_e32 0x7f800000, v[118:119]
	s_xor_b32 s25, exec_lo, s7
	s_cbranch_execz .LBB2_2878
; %bb.2865:                             ;   in Loop: Header=BB2_2434 Depth=2
	v_and_b32_e32 v118, 0x7fffffff, v87
	v_mov_b32_e32 v119, v39
	v_and_b32_e32 v11, 0x80, v11
                                        ; implicit-def: $vgpr86
	s_mov_b32 s7, exec_lo
	s_delay_alu instid0(VALU_DEP_2)
	v_cmpx_gt_u64_e32 0x47600001, v[118:119]
	s_xor_b32 s26, exec_lo, s7
	s_cbranch_execz .LBB2_2875
; %bb.2866:                             ;   in Loop: Header=BB2_2434 Depth=2
	v_mov_b32_e32 v86, 0
	s_mov_b32 s27, exec_lo
	v_cmpx_ne_u32_e32 0, v87
	s_cbranch_execz .LBB2_2874
; %bb.2867:                             ;   in Loop: Header=BB2_2434 Depth=2
	v_bfe_u32 v118, v87, 23, 8
	v_or_b32_e32 v40, 0x800000, v14
	s_delay_alu instid0(VALU_DEP_2) | instskip(SKIP_1) | instid1(VALU_DEP_2)
	v_sub_nc_u32_e32 v86, 0x71, v118
	v_cmp_gt_u32_e32 vcc_lo, 0x72, v118
	v_cndmask_b32_e32 v86, 0, v86, vcc_lo
	v_cmp_eq_u32_e32 vcc_lo, 0, v118
	s_delay_alu instid0(VALU_DEP_2) | instskip(NEXT) | instid1(VALU_DEP_1)
	v_cndmask_b32_e64 v119, v86, 0x70, vcc_lo
	v_dual_cndmask_b32 v14, v40, v14, vcc_lo :: v_dual_add_nc_u32 v86, 21, v119
	v_add_nc_u32_e32 v41, 20, v119
	s_delay_alu instid0(VALU_DEP_2) | instskip(NEXT) | instid1(VALU_DEP_2)
	v_lshlrev_b64_e64 v[86:87], v86, -1
	v_lshlrev_b64_e64 v[40:41], v41, 1
	s_delay_alu instid0(VALU_DEP_2) | instskip(SKIP_1) | instid1(VALU_DEP_4)
	v_bfi_b32 v86, v86, 0, v14
	v_lshrrev_b64 v[14:15], v119, v[14:15]
	v_bfi_b32 v87, v87, 0, 0
	s_delay_alu instid0(VALU_DEP_1) | instskip(NEXT) | instid1(VALU_DEP_3)
	v_cmp_eq_u64_e64 s7, v[86:87], v[40:41]
	v_mov_b64_e32 v[86:87], v[14:15]
	s_and_saveexec_b32 s28, s7
; %bb.2868:                             ;   in Loop: Header=BB2_2434 Depth=2
	v_bfe_u32 v86, v14, 21, 1
	v_mov_b32_e32 v87, v39
	s_delay_alu instid0(VALU_DEP_1) | instskip(NEXT) | instid1(VALU_DEP_1)
	v_add_nc_u64_e32 v[86:87], v[14:15], v[86:87]
	v_add_nc_u64_e32 v[86:87], -1, v[86:87]
; %bb.2869:                             ;   in Loop: Header=BB2_2434 Depth=2
	s_or_b32 exec_lo, exec_lo, s28
	v_add_nc_u32_e32 v15, 0xffffff81, v118
	v_lshrrev_b32_e32 v87, 23, v14
	s_mov_b32 s7, exec_lo
	s_delay_alu instid0(VALU_DEP_2) | instskip(NEXT) | instid1(VALU_DEP_1)
	v_cndmask_b32_e64 v15, v15, 0xffffff82, vcc_lo
	v_add3_u32 v87, v119, v15, v87
	v_and_b32_e32 v15, 0x1fffff, v86
                                        ; implicit-def: $vgpr86
	s_delay_alu instid0(VALU_DEP_1) | instskip(SKIP_1) | instid1(VALU_DEP_2)
	v_dual_add_nc_u32 v118, 14, v87 :: v_dual_add_nc_u32 v14, v15, v14
	v_mov_b32_e32 v15, v39
	v_cmpx_ne_u32_e32 0, v118
	s_xor_b32 s7, exec_lo, s7
; %bb.2870:                             ;   in Loop: Header=BB2_2434 Depth=2
	s_delay_alu instid0(VALU_DEP_2) | instskip(SKIP_2) | instid1(VALU_DEP_2)
	v_cmp_lt_u64_e32 vcc_lo, 0xffffff, v[14:15]
	v_add_nc_u32_e32 v86, 15, v87
	v_cndmask_b32_e64 v87, 0, 1, vcc_lo
	v_cndmask_b32_e32 v86, v118, v86, vcc_lo
	s_delay_alu instid0(VALU_DEP_2)
	v_lshrrev_b64 v[14:15], v87, v[14:15]
; %bb.2871:                             ;   in Loop: Header=BB2_2434 Depth=2
	s_and_not1_saveexec_b32 s7, s7
; %bb.2872:                             ;   in Loop: Header=BB2_2434 Depth=2
	s_delay_alu instid0(VALU_DEP_1)
	v_bfe_u32 v86, v14, 23, 1
; %bb.2873:                             ;   in Loop: Header=BB2_2434 Depth=2
	s_or_b32 exec_lo, exec_lo, s7
	s_delay_alu instid0(VALU_DEP_2) | instskip(NEXT) | instid1(VALU_DEP_2)
	v_lshrrev_b64 v[14:15], 21, v[14:15]
	v_cmp_gt_i32_e32 vcc_lo, 32, v86
	v_min_i32_e32 v87, 31, v86
	v_cmp_eq_u32_e64 s7, 0, v86
	s_delay_alu instid0(VALU_DEP_4) | instskip(NEXT) | instid1(VALU_DEP_3)
	v_cndmask_b32_e32 v15, 0, v15, vcc_lo
	v_dual_cndmask_b32 v14, 3, v14 :: v_dual_lshlrev_b32 v87, 2, v87
	s_delay_alu instid0(VALU_DEP_1) | instskip(NEXT) | instid1(VALU_DEP_2)
	v_and_b32_e32 v87, 0xfc, v87
	v_cmp_eq_u64_e32 vcc_lo, 0, v[14:15]
	s_delay_alu instid0(VALU_DEP_2)
	v_and_or_b32 v14, v14, 3, v87
	s_and_b32 s7, s7, vcc_lo
	s_delay_alu instid0(VALU_DEP_1) | instid1(SALU_CYCLE_1)
	v_cndmask_b32_e64 v14, v14, 0, s7
	s_delay_alu instid0(VALU_DEP_1)
	v_or_b32_e32 v86, v14, v11
.LBB2_2874:                             ;   in Loop: Header=BB2_2434 Depth=2
	s_or_b32 exec_lo, exec_lo, s27
                                        ; implicit-def: $vgpr11
.LBB2_2875:                             ;   in Loop: Header=BB2_2434 Depth=2
	s_and_not1_saveexec_b32 s7, s26
; %bb.2876:                             ;   in Loop: Header=BB2_2434 Depth=2
	v_or_b32_e32 v86, 0x7b, v11
; %bb.2877:                             ;   in Loop: Header=BB2_2434 Depth=2
	s_or_b32 exec_lo, exec_lo, s7
                                        ; implicit-def: $vgpr87
                                        ; implicit-def: $vgpr14_vgpr15
                                        ; implicit-def: $vgpr11
.LBB2_2878:                             ;   in Loop: Header=BB2_2434 Depth=2
	s_and_not1_saveexec_b32 s7, s25
	s_cbranch_execz .LBB2_2884
; %bb.2879:                             ;   in Loop: Header=BB2_2434 Depth=2
	s_mov_b32 s25, exec_lo
                                        ; implicit-def: $vgpr86
	v_cmpx_ne_u64_e32 0, v[14:15]
	s_xor_b32 s25, exec_lo, s25
; %bb.2880:                             ;   in Loop: Header=BB2_2434 Depth=2
	v_or_b32_e32 v86, 0x7f, v11
                                        ; implicit-def: $vgpr87
; %bb.2881:                             ;   in Loop: Header=BB2_2434 Depth=2
	s_and_not1_saveexec_b32 s25, s25
; %bb.2882:                             ;   in Loop: Header=BB2_2434 Depth=2
	v_cmp_lt_i32_e32 vcc_lo, -1, v87
	v_cndmask_b32_e32 v86, 0xfc, v46, vcc_lo
; %bb.2883:                             ;   in Loop: Header=BB2_2434 Depth=2
	s_or_b32 exec_lo, exec_lo, s25
.LBB2_2884:                             ;   in Loop: Header=BB2_2434 Depth=2
	s_delay_alu instid0(SALU_CYCLE_1) | instskip(SKIP_3) | instid1(VALU_DEP_2)
	s_or_b32 exec_lo, exec_lo, s7
	v_lshrrev_b16 v14, 8, v38
	v_mov_b32_e32 v11, 0
	s_mov_b32 s7, exec_lo
	v_cmpx_ne_u16_e32 0, v14
	s_cbranch_execz .LBB2_2894
; %bb.2885:                             ;   in Loop: Header=BB2_2434 Depth=2
	v_bfrev_b32_e32 v11, 1
	s_mov_b32 s25, exec_lo
	v_cmpx_ne_u16_e32 0x80, v14
	s_cbranch_execz .LBB2_2893
; %bb.2886:                             ;   in Loop: Header=BB2_2434 Depth=2
	v_and_b32_e32 v87, 0xffff, v14
	s_delay_alu instid0(VALU_DEP_1) | instskip(SKIP_1) | instid1(VALU_DEP_2)
	v_and_b32_e32 v11, 0x7c, v87
	v_and_b32_e32 v15, 3, v87
	v_cmp_ne_u32_e32 vcc_lo, 0x7c, v11
                                        ; implicit-def: $vgpr11
	s_and_saveexec_b32 s26, vcc_lo
	s_delay_alu instid0(SALU_CYCLE_1)
	s_xor_b32 s26, exec_lo, s26
	s_cbranch_execz .LBB2_2890
; %bb.2887:                             ;   in Loop: Header=BB2_2434 Depth=2
	v_bfe_u32 v11, v87, 2, 5
	s_mov_b32 s27, exec_lo
	s_delay_alu instid0(VALU_DEP_1)
	v_cmpx_eq_u32_e32 0, v11
	s_cbranch_execz .LBB2_2889
; %bb.2888:                             ;   in Loop: Header=BB2_2434 Depth=2
	v_clz_i32_u32_e32 v11, v15
	s_delay_alu instid0(VALU_DEP_1) | instskip(SKIP_1) | instid1(VALU_DEP_2)
	v_min_u32_e32 v11, 32, v11
	v_mov_b32_e32 v15, v39
	v_subrev_nc_u32_e32 v87, 29, v11
	v_sub_nc_u32_e32 v11, 30, v11
	s_delay_alu instid0(VALU_DEP_2) | instskip(NEXT) | instid1(VALU_DEP_1)
	v_lshlrev_b64_e32 v[14:15], v87, v[14:15]
	v_and_b32_e32 v15, 3, v14
.LBB2_2889:                             ;   in Loop: Header=BB2_2434 Depth=2
	s_or_b32 exec_lo, exec_lo, s27
	v_lshlrev_b32_e32 v14, 16, v38
	s_delay_alu instid0(VALU_DEP_1) | instskip(NEXT) | instid1(VALU_DEP_1)
	v_and_b32_e32 v14, 0x80000000, v14
	v_lshl_add_u32 v11, v11, 23, v14
	s_delay_alu instid0(VALU_DEP_1) | instskip(NEXT) | instid1(VALU_DEP_1)
	v_lshl_or_b32 v11, v15, 21, v11
                                        ; implicit-def: $vgpr15
	v_add_nc_u32_e32 v11, 0x38000000, v11
.LBB2_2890:                             ;   in Loop: Header=BB2_2434 Depth=2
	s_and_not1_saveexec_b32 s26, s26
; %bb.2891:                             ;   in Loop: Header=BB2_2434 Depth=2
	v_cmp_lt_i16_e32 vcc_lo, -1, v38
	v_cndmask_b32_e32 v11, 0xff800000, v45, vcc_lo
	v_cmp_eq_u32_e32 vcc_lo, 0, v15
	s_delay_alu instid0(VALU_DEP_2)
	v_cndmask_b32_e32 v11, 0x7f800001, v11, vcc_lo
; %bb.2892:                             ;   in Loop: Header=BB2_2434 Depth=2
	s_or_b32 exec_lo, exec_lo, s26
.LBB2_2893:                             ;   in Loop: Header=BB2_2434 Depth=2
	s_delay_alu instid0(SALU_CYCLE_1)
	s_or_b32 exec_lo, exec_lo, s25
.LBB2_2894:                             ;   in Loop: Header=BB2_2434 Depth=2
	s_delay_alu instid0(SALU_CYCLE_1) | instskip(SKIP_3) | instid1(VALU_DEP_1)
	s_or_b32 exec_lo, exec_lo, s7
	v_lshrrev_b16 v38, 8, v10
	s_mov_b32 s25, 0
	s_mov_b32 s7, exec_lo
	v_cmpx_lt_i16_e32 0x7f, v38
	s_xor_b32 s7, exec_lo, s7
	s_cbranch_execz .LBB2_3005
; %bb.2895:                             ;   in Loop: Header=BB2_2434 Depth=2
	s_mov_b32 s25, -1
	s_mov_b32 s26, exec_lo
	v_cmpx_eq_u16_e32 0x80, v38
; %bb.2896:                             ;   in Loop: Header=BB2_2434 Depth=2
	s_xor_b32 s25, exec_lo, -1
; %bb.2897:                             ;   in Loop: Header=BB2_2434 Depth=2
	s_or_b32 exec_lo, exec_lo, s26
	s_delay_alu instid0(SALU_CYCLE_1)
	s_and_b32 s25, s25, exec_lo
	s_or_saveexec_b32 s7, s7
	v_bfrev_b32_e32 v14, 1
	s_xor_b32 exec_lo, exec_lo, s7
	s_cbranch_execnz .LBB2_3006
.LBB2_2898:                             ;   in Loop: Header=BB2_2434 Depth=2
	s_or_b32 exec_lo, exec_lo, s7
	s_and_saveexec_b32 s7, s25
	s_cbranch_execz .LBB2_2900
.LBB2_2899:                             ;   in Loop: Header=BB2_2434 Depth=2
	v_and_b32_e32 v87, 0xffff, v38
	s_delay_alu instid0(VALU_DEP_1) | instskip(NEXT) | instid1(VALU_DEP_1)
	v_and_b32_e32 v118, 3, v87
	v_clz_i32_u32_e32 v14, v118
	s_delay_alu instid0(VALU_DEP_1) | instskip(NEXT) | instid1(VALU_DEP_1)
	v_min_u32_e32 v119, 32, v14
	v_subrev_nc_u32_e32 v14, 29, v119
	s_delay_alu instid0(VALU_DEP_1) | instskip(SKIP_3) | instid1(VALU_DEP_3)
	v_lshlrev_b64_e32 v[14:15], v14, v[38:39]
	v_lshlrev_b32_e32 v15, 24, v38
	v_bfe_u32 v38, v87, 2, 5
	v_sub_nc_u32_e32 v119, 30, v119
	v_and_b32_e32 v15, 0x80000000, v15
	s_delay_alu instid0(VALU_DEP_3) | instskip(NEXT) | instid1(VALU_DEP_3)
	v_cmp_eq_u32_e32 vcc_lo, 0, v38
	v_dual_cndmask_b32 v38, v38, v119, vcc_lo :: v_dual_bitop2_b32 v14, 3, v14 bitop3:0x40
	s_delay_alu instid0(VALU_DEP_1) | instskip(SKIP_1) | instid1(VALU_DEP_3)
	v_cndmask_b32_e32 v14, v118, v14, vcc_lo
	v_cmp_lt_i16_e32 vcc_lo, -1, v10
	v_lshl_add_u32 v15, v38, 23, v15
	v_cndmask_b32_e32 v10, 0xff800000, v45, vcc_lo
	v_cmp_eq_u32_e32 vcc_lo, 0, v118
	s_delay_alu instid0(VALU_DEP_3) | instskip(SKIP_1) | instid1(VALU_DEP_4)
	v_lshl_or_b32 v14, v14, 21, v15
	v_and_b32_e32 v15, 0x7c, v87
	v_cndmask_b32_e32 v10, 0x7f800001, v10, vcc_lo
	s_delay_alu instid0(VALU_DEP_3) | instskip(NEXT) | instid1(VALU_DEP_3)
	v_add_nc_u32_e32 v14, 0x38000000, v14
	v_cmp_eq_u32_e32 vcc_lo, 0x7c, v15
	s_delay_alu instid0(VALU_DEP_2)
	v_cndmask_b32_e32 v14, v14, v10, vcc_lo
.LBB2_2900:                             ;   in Loop: Header=BB2_2434 Depth=2
	s_or_b32 exec_lo, exec_lo, s7
	s_delay_alu instid0(VALU_DEP_1) | instskip(SKIP_2) | instid1(VALU_DEP_2)
	v_mul_f32_e32 v10, v11, v14
	v_mov_b32_e32 v15, v39
                                        ; implicit-def: $vgpr87
	s_mov_b32 s7, exec_lo
	v_and_b32_e32 v14, 0x7f800000, v10
	v_and_b32_e32 v38, 0x7fffff, v10
	v_lshrrev_b32_e32 v11, 24, v10
	s_delay_alu instid0(VALU_DEP_3)
	v_cmpx_ne_u64_e32 0x7f800000, v[14:15]
	s_xor_b32 s25, exec_lo, s7
	s_cbranch_execz .LBB2_2914
; %bb.2901:                             ;   in Loop: Header=BB2_2434 Depth=2
	v_and_b32_e32 v14, 0x7fffffff, v10
	v_mov_b32_e32 v15, v39
	v_and_b32_e32 v118, 0x80, v11
                                        ; implicit-def: $vgpr87
	s_mov_b32 s7, exec_lo
	s_delay_alu instid0(VALU_DEP_2)
	v_cmpx_gt_u64_e32 0x47600001, v[14:15]
	s_xor_b32 s26, exec_lo, s7
	s_cbranch_execz .LBB2_2911
; %bb.2902:                             ;   in Loop: Header=BB2_2434 Depth=2
	v_mov_b32_e32 v87, 0
	s_mov_b32 s27, exec_lo
	v_cmpx_ne_u32_e32 0, v10
	s_cbranch_execz .LBB2_2910
; %bb.2903:                             ;   in Loop: Header=BB2_2434 Depth=2
	v_bfe_u32 v87, v10, 23, 8
	v_or_b32_e32 v14, 0x800000, v38
	s_delay_alu instid0(VALU_DEP_2) | instskip(SKIP_1) | instid1(VALU_DEP_2)
	v_sub_nc_u32_e32 v10, 0x71, v87
	v_cmp_gt_u32_e32 vcc_lo, 0x72, v87
	v_cndmask_b32_e32 v10, 0, v10, vcc_lo
	v_cmp_eq_u32_e32 vcc_lo, 0, v87
	s_delay_alu instid0(VALU_DEP_2) | instskip(NEXT) | instid1(VALU_DEP_1)
	v_cndmask_b32_e64 v119, v10, 0x70, vcc_lo
	v_dual_cndmask_b32 v38, v14, v38, vcc_lo :: v_dual_add_nc_u32 v10, 21, v119
	v_add_nc_u32_e32 v15, 20, v119
	s_delay_alu instid0(VALU_DEP_2) | instskip(NEXT) | instid1(VALU_DEP_2)
	v_lshlrev_b64_e64 v[10:11], v10, -1
	v_lshlrev_b64_e64 v[14:15], v15, 1
	s_delay_alu instid0(VALU_DEP_2) | instskip(NEXT) | instid1(VALU_DEP_3)
	v_bfi_b32 v41, v11, 0, 0
	v_bfi_b32 v40, v10, 0, v38
	v_lshrrev_b64 v[10:11], v119, v[38:39]
	s_delay_alu instid0(VALU_DEP_2) | instskip(NEXT) | instid1(VALU_DEP_2)
	v_cmp_eq_u64_e64 s7, v[40:41], v[14:15]
	v_mov_b64_e32 v[14:15], v[10:11]
	s_and_saveexec_b32 s28, s7
; %bb.2904:                             ;   in Loop: Header=BB2_2434 Depth=2
	v_bfe_u32 v38, v10, 21, 1
	s_delay_alu instid0(VALU_DEP_1) | instskip(NEXT) | instid1(VALU_DEP_1)
	v_add_nc_u64_e32 v[14:15], v[10:11], v[38:39]
	v_add_nc_u64_e32 v[14:15], -1, v[14:15]
; %bb.2905:                             ;   in Loop: Header=BB2_2434 Depth=2
	s_or_b32 exec_lo, exec_lo, s28
	v_add_nc_u32_e32 v11, 0xffffff81, v87
	v_lshrrev_b32_e32 v15, 23, v10
	s_mov_b32 s7, exec_lo
	s_delay_alu instid0(VALU_DEP_2) | instskip(NEXT) | instid1(VALU_DEP_1)
	v_cndmask_b32_e64 v11, v11, 0xffffff82, vcc_lo
	v_add3_u32 v15, v119, v11, v15
	v_and_b32_e32 v11, 0x1fffff, v14
                                        ; implicit-def: $vgpr14
	s_delay_alu instid0(VALU_DEP_1) | instskip(NEXT) | instid1(VALU_DEP_1)
	v_dual_add_nc_u32 v87, 14, v15 :: v_dual_add_nc_u32 v38, v11, v10
                                        ; implicit-def: $vgpr10_vgpr11
	v_cmpx_ne_u32_e32 0, v87
	s_xor_b32 s7, exec_lo, s7
; %bb.2906:                             ;   in Loop: Header=BB2_2434 Depth=2
	s_delay_alu instid0(VALU_DEP_2) | instskip(SKIP_1) | instid1(VALU_DEP_1)
	v_cmp_lt_u64_e32 vcc_lo, 0xffffff, v[38:39]
	v_add_nc_u32_e32 v10, 15, v15
	v_cndmask_b32_e32 v14, v87, v10, vcc_lo
	v_cndmask_b32_e64 v10, 0, 1, vcc_lo
	s_delay_alu instid0(VALU_DEP_1)
	v_lshrrev_b64 v[10:11], v10, v[38:39]
; %bb.2907:                             ;   in Loop: Header=BB2_2434 Depth=2
	s_and_not1_saveexec_b32 s7, s7
; %bb.2908:                             ;   in Loop: Header=BB2_2434 Depth=2
	v_mov_b64_e32 v[10:11], v[38:39]
	v_bfe_u32 v14, v38, 23, 1
; %bb.2909:                             ;   in Loop: Header=BB2_2434 Depth=2
	s_or_b32 exec_lo, exec_lo, s7
	s_delay_alu instid0(VALU_DEP_2) | instskip(NEXT) | instid1(VALU_DEP_2)
	v_lshrrev_b64 v[10:11], 21, v[10:11]
	v_cmp_gt_i32_e32 vcc_lo, 32, v14
	v_min_i32_e32 v15, 31, v14
	v_cmp_eq_u32_e64 s7, 0, v14
	s_delay_alu instid0(VALU_DEP_4) | instskip(NEXT) | instid1(VALU_DEP_3)
	v_cndmask_b32_e32 v11, 0, v11, vcc_lo
	v_dual_cndmask_b32 v10, 3, v10 :: v_dual_lshlrev_b32 v15, 2, v15
	s_delay_alu instid0(VALU_DEP_1) | instskip(NEXT) | instid1(VALU_DEP_2)
	v_and_b32_e32 v15, 0xfc, v15
	v_cmp_eq_u64_e32 vcc_lo, 0, v[10:11]
	s_delay_alu instid0(VALU_DEP_2)
	v_and_or_b32 v10, v10, 3, v15
	s_and_b32 s7, s7, vcc_lo
	s_delay_alu instid0(VALU_DEP_1) | instid1(SALU_CYCLE_1)
	v_cndmask_b32_e64 v10, v10, 0, s7
	s_delay_alu instid0(VALU_DEP_1)
	v_or_b32_e32 v87, v10, v118
.LBB2_2910:                             ;   in Loop: Header=BB2_2434 Depth=2
	s_or_b32 exec_lo, exec_lo, s27
                                        ; implicit-def: $vgpr118
.LBB2_2911:                             ;   in Loop: Header=BB2_2434 Depth=2
	s_and_not1_saveexec_b32 s7, s26
; %bb.2912:                             ;   in Loop: Header=BB2_2434 Depth=2
	v_or_b32_e32 v87, 0x7b, v118
; %bb.2913:                             ;   in Loop: Header=BB2_2434 Depth=2
	s_or_b32 exec_lo, exec_lo, s7
                                        ; implicit-def: $vgpr10
                                        ; implicit-def: $vgpr11
.LBB2_2914:                             ;   in Loop: Header=BB2_2434 Depth=2
	s_and_not1_saveexec_b32 s7, s25
	s_cbranch_execz .LBB2_2920
; %bb.2915:                             ;   in Loop: Header=BB2_2434 Depth=2
	s_mov_b32 s25, exec_lo
                                        ; implicit-def: $vgpr87
	v_cmpx_ne_u64_e32 0, v[38:39]
	s_xor_b32 s25, exec_lo, s25
; %bb.2916:                             ;   in Loop: Header=BB2_2434 Depth=2
	v_or_b32_e32 v87, 0x7f, v11
                                        ; implicit-def: $vgpr10
; %bb.2917:                             ;   in Loop: Header=BB2_2434 Depth=2
	s_and_not1_saveexec_b32 s25, s25
; %bb.2918:                             ;   in Loop: Header=BB2_2434 Depth=2
	v_cmp_lt_i32_e32 vcc_lo, -1, v10
	v_cndmask_b32_e32 v87, 0xfc, v46, vcc_lo
; %bb.2919:                             ;   in Loop: Header=BB2_2434 Depth=2
	s_or_b32 exec_lo, exec_lo, s25
.LBB2_2920:                             ;   in Loop: Header=BB2_2434 Depth=2
	s_delay_alu instid0(SALU_CYCLE_1) | instskip(SKIP_2) | instid1(VALU_DEP_1)
	s_or_b32 exec_lo, exec_lo, s7
	v_dual_mov_b32 v11, 0 :: v_dual_lshrrev_b32 v10, 16, v17
	s_mov_b32 s7, exec_lo
	v_and_b32_e32 v14, 0xff, v10
	s_delay_alu instid0(VALU_DEP_1)
	v_cmpx_ne_u16_e32 0, v14
	s_cbranch_execz .LBB2_2930
; %bb.2921:                             ;   in Loop: Header=BB2_2434 Depth=2
	v_bfrev_b32_e32 v11, 1
	s_mov_b32 s25, exec_lo
	v_cmpx_ne_u16_e32 0x80, v14
	s_cbranch_execz .LBB2_2929
; %bb.2922:                             ;   in Loop: Header=BB2_2434 Depth=2
	v_and_b32_e32 v11, 0x7c0000, v17
	v_bfe_u32 v14, v17, 16, 2
	s_delay_alu instid0(VALU_DEP_2) | instskip(SKIP_1) | instid1(SALU_CYCLE_1)
	v_cmp_ne_u32_e32 vcc_lo, 0x7c0000, v11
                                        ; implicit-def: $vgpr11
	s_and_saveexec_b32 s26, vcc_lo
	s_xor_b32 s26, exec_lo, s26
	s_cbranch_execz .LBB2_2926
; %bb.2923:                             ;   in Loop: Header=BB2_2434 Depth=2
	v_bfe_u32 v11, v17, 18, 5
	s_mov_b32 s27, exec_lo
	s_delay_alu instid0(VALU_DEP_1)
	v_cmpx_eq_u32_e32 0, v11
; %bb.2924:                             ;   in Loop: Header=BB2_2434 Depth=2
	v_clz_i32_u32_e32 v11, v14
	s_delay_alu instid0(VALU_DEP_1) | instskip(NEXT) | instid1(VALU_DEP_1)
	v_min_u32_e32 v11, 32, v11
	v_subrev_nc_u32_e32 v14, 29, v11
	s_delay_alu instid0(VALU_DEP_1) | instskip(NEXT) | instid1(VALU_DEP_1)
	v_lshlrev_b64_e32 v[14:15], v14, v[10:11]
	v_dual_sub_nc_u32 v11, 30, v11 :: v_dual_bitop2_b32 v14, 3, v14 bitop3:0x40
; %bb.2925:                             ;   in Loop: Header=BB2_2434 Depth=2
	s_or_b32 exec_lo, exec_lo, s27
	v_lshlrev_b32_e32 v10, 24, v10
	s_delay_alu instid0(VALU_DEP_1) | instskip(NEXT) | instid1(VALU_DEP_1)
	v_and_b32_e32 v10, 0x80000000, v10
	v_lshl_add_u32 v10, v11, 23, v10
	s_delay_alu instid0(VALU_DEP_1) | instskip(NEXT) | instid1(VALU_DEP_1)
	v_lshl_or_b32 v10, v14, 21, v10
                                        ; implicit-def: $vgpr14
	v_add_nc_u32_e32 v11, 0x38000000, v10
                                        ; implicit-def: $vgpr10
.LBB2_2926:                             ;   in Loop: Header=BB2_2434 Depth=2
	s_and_not1_saveexec_b32 s26, s26
; %bb.2927:                             ;   in Loop: Header=BB2_2434 Depth=2
	v_bfe_i32 v10, v10, 0, 8
	s_delay_alu instid0(VALU_DEP_1) | instskip(SKIP_2) | instid1(VALU_DEP_2)
	v_cmp_lt_i16_e32 vcc_lo, -1, v10
	v_cndmask_b32_e32 v10, 0xff800000, v45, vcc_lo
	v_cmp_eq_u32_e32 vcc_lo, 0, v14
	v_cndmask_b32_e32 v11, 0x7f800001, v10, vcc_lo
; %bb.2928:                             ;   in Loop: Header=BB2_2434 Depth=2
	s_or_b32 exec_lo, exec_lo, s26
.LBB2_2929:                             ;   in Loop: Header=BB2_2434 Depth=2
	s_delay_alu instid0(SALU_CYCLE_1)
	s_or_b32 exec_lo, exec_lo, s25
.LBB2_2930:                             ;   in Loop: Header=BB2_2434 Depth=2
	s_delay_alu instid0(SALU_CYCLE_1) | instskip(SKIP_3) | instid1(VALU_DEP_1)
	s_or_b32 exec_lo, exec_lo, s7
	v_lshrrev_b32_e32 v10, 16, v13
	s_mov_b32 s25, 0
	s_mov_b32 s7, exec_lo
	v_and_b32_e32 v15, 0xff, v10
	s_delay_alu instid0(VALU_DEP_1)
	v_cmpx_lt_i16_e32 0x7f, v15
	s_xor_b32 s7, exec_lo, s7
	s_cbranch_execz .LBB2_3007
; %bb.2931:                             ;   in Loop: Header=BB2_2434 Depth=2
	s_mov_b32 s25, -1
	s_mov_b32 s26, exec_lo
	v_cmpx_eq_u16_e32 0x80, v15
; %bb.2932:                             ;   in Loop: Header=BB2_2434 Depth=2
	s_xor_b32 s25, exec_lo, -1
; %bb.2933:                             ;   in Loop: Header=BB2_2434 Depth=2
	s_or_b32 exec_lo, exec_lo, s26
	s_delay_alu instid0(SALU_CYCLE_1)
	s_and_b32 s25, s25, exec_lo
                                        ; implicit-def: $vgpr15
	s_or_saveexec_b32 s7, s7
	v_bfrev_b32_e32 v14, 1
	s_xor_b32 exec_lo, exec_lo, s7
	s_cbranch_execnz .LBB2_3008
.LBB2_2934:                             ;   in Loop: Header=BB2_2434 Depth=2
	s_or_b32 exec_lo, exec_lo, s7
	s_and_saveexec_b32 s7, s25
	s_cbranch_execz .LBB2_2936
.LBB2_2935:                             ;   in Loop: Header=BB2_2434 Depth=2
	v_and_b32_e32 v38, 3, v10
	v_bfe_u32 v119, v13, 18, 5
	s_delay_alu instid0(VALU_DEP_2) | instskip(NEXT) | instid1(VALU_DEP_2)
	v_clz_i32_u32_e32 v14, v38
	v_cmp_eq_u32_e32 vcc_lo, 0, v119
	s_delay_alu instid0(VALU_DEP_2) | instskip(NEXT) | instid1(VALU_DEP_1)
	v_min_u32_e32 v118, 32, v14
	v_subrev_nc_u32_e32 v14, 29, v118
	v_sub_nc_u32_e32 v118, 30, v118
	s_delay_alu instid0(VALU_DEP_2) | instskip(SKIP_1) | instid1(VALU_DEP_3)
	v_lshlrev_b64_e32 v[14:15], v14, v[10:11]
	v_lshlrev_b32_e32 v15, 24, v10
	v_cndmask_b32_e32 v118, v119, v118, vcc_lo
	v_bfe_i32 v10, v10, 0, 8
	s_delay_alu instid0(VALU_DEP_3) | instskip(SKIP_1) | instid1(VALU_DEP_2)
	v_and_b32_e32 v15, 0x80000000, v15
	v_and_b32_e32 v14, 3, v14
	v_lshl_add_u32 v15, v118, 23, v15
	s_delay_alu instid0(VALU_DEP_2) | instskip(SKIP_1) | instid1(VALU_DEP_2)
	v_cndmask_b32_e32 v14, v38, v14, vcc_lo
	v_cmp_lt_i16_e32 vcc_lo, -1, v10
	v_lshl_or_b32 v14, v14, 21, v15
	v_cndmask_b32_e32 v10, 0xff800000, v45, vcc_lo
	v_and_b32_e32 v15, 0x7c0000, v13
	v_cmp_eq_u32_e32 vcc_lo, 0, v38
	s_delay_alu instid0(VALU_DEP_4) | instskip(NEXT) | instid1(VALU_DEP_4)
	v_add_nc_u32_e32 v14, 0x38000000, v14
	v_cndmask_b32_e32 v10, 0x7f800001, v10, vcc_lo
	s_delay_alu instid0(VALU_DEP_4) | instskip(NEXT) | instid1(VALU_DEP_2)
	v_cmp_eq_u32_e32 vcc_lo, 0x7c0000, v15
	v_cndmask_b32_e32 v14, v14, v10, vcc_lo
.LBB2_2936:                             ;   in Loop: Header=BB2_2434 Depth=2
	s_or_b32 exec_lo, exec_lo, s7
	s_delay_alu instid0(VALU_DEP_1) | instskip(NEXT) | instid1(VALU_DEP_1)
	v_mul_f32_e32 v10, v11, v14
	v_dual_mov_b32 v15, v39 :: v_dual_lshrrev_b32 v11, 24, v10
	v_and_b32_e32 v14, 0x7f800000, v10
	v_and_b32_e32 v38, 0x7fffff, v10
	s_delay_alu instid0(VALU_DEP_2) | instskip(SKIP_1) | instid1(SALU_CYCLE_1)
	v_cmp_ne_u64_e32 vcc_lo, 0x7f800000, v[14:15]
                                        ; implicit-def: $vgpr14
	s_and_saveexec_b32 s7, vcc_lo
	s_xor_b32 s25, exec_lo, s7
	s_cbranch_execz .LBB2_2950
; %bb.2937:                             ;   in Loop: Header=BB2_2434 Depth=2
	v_and_b32_e32 v14, 0x7fffffff, v10
	v_mov_b32_e32 v15, v39
	v_and_b32_e32 v118, 0x80, v11
	s_delay_alu instid0(VALU_DEP_2) | instskip(SKIP_1) | instid1(SALU_CYCLE_1)
	v_cmp_gt_u64_e32 vcc_lo, 0x47600001, v[14:15]
                                        ; implicit-def: $vgpr14
	s_and_saveexec_b32 s7, vcc_lo
	s_xor_b32 s26, exec_lo, s7
	s_cbranch_execz .LBB2_2947
; %bb.2938:                             ;   in Loop: Header=BB2_2434 Depth=2
	v_mov_b32_e32 v14, 0
	s_mov_b32 s27, exec_lo
	v_cmpx_ne_u32_e32 0, v10
	s_cbranch_execz .LBB2_2946
; %bb.2939:                             ;   in Loop: Header=BB2_2434 Depth=2
	v_bfe_u32 v119, v10, 23, 8
	v_or_b32_e32 v14, 0x800000, v38
	s_delay_alu instid0(VALU_DEP_2) | instskip(SKIP_1) | instid1(VALU_DEP_2)
	v_sub_nc_u32_e32 v10, 0x71, v119
	v_cmp_gt_u32_e32 vcc_lo, 0x72, v119
	v_cndmask_b32_e32 v10, 0, v10, vcc_lo
	v_cmp_eq_u32_e32 vcc_lo, 0, v119
	s_delay_alu instid0(VALU_DEP_2) | instskip(NEXT) | instid1(VALU_DEP_1)
	v_cndmask_b32_e64 v40, v10, 0x70, vcc_lo
	v_dual_cndmask_b32 v38, v14, v38, vcc_lo :: v_dual_add_nc_u32 v10, 21, v40
	v_add_nc_u32_e32 v15, 20, v40
	s_delay_alu instid0(VALU_DEP_2) | instskip(NEXT) | instid1(VALU_DEP_2)
	v_lshlrev_b64_e64 v[10:11], v10, -1
	v_lshlrev_b64_e64 v[14:15], v15, 1
	s_delay_alu instid0(VALU_DEP_2) | instskip(NEXT) | instid1(VALU_DEP_3)
	v_bfi_b32 v61, v11, 0, 0
	v_bfi_b32 v60, v10, 0, v38
	v_lshrrev_b64 v[10:11], v40, v[38:39]
	s_delay_alu instid0(VALU_DEP_2) | instskip(NEXT) | instid1(VALU_DEP_2)
	v_cmp_eq_u64_e64 s7, v[60:61], v[14:15]
	v_mov_b64_e32 v[14:15], v[10:11]
	s_and_saveexec_b32 s28, s7
; %bb.2940:                             ;   in Loop: Header=BB2_2434 Depth=2
	v_bfe_u32 v38, v10, 21, 1
	s_delay_alu instid0(VALU_DEP_1) | instskip(NEXT) | instid1(VALU_DEP_1)
	v_add_nc_u64_e32 v[14:15], v[10:11], v[38:39]
	v_add_nc_u64_e32 v[14:15], -1, v[14:15]
; %bb.2941:                             ;   in Loop: Header=BB2_2434 Depth=2
	s_or_b32 exec_lo, exec_lo, s28
	v_add_nc_u32_e32 v11, 0xffffff81, v119
	v_lshrrev_b32_e32 v15, 23, v10
	s_mov_b32 s7, exec_lo
	s_delay_alu instid0(VALU_DEP_2) | instskip(NEXT) | instid1(VALU_DEP_1)
	v_cndmask_b32_e64 v11, v11, 0xffffff82, vcc_lo
	v_add3_u32 v15, v40, v11, v15
	v_and_b32_e32 v11, 0x1fffff, v14
                                        ; implicit-def: $vgpr14
	s_delay_alu instid0(VALU_DEP_1) | instskip(NEXT) | instid1(VALU_DEP_1)
	v_dual_add_nc_u32 v119, 14, v15 :: v_dual_add_nc_u32 v38, v11, v10
                                        ; implicit-def: $vgpr10_vgpr11
	v_cmpx_ne_u32_e32 0, v119
	s_xor_b32 s7, exec_lo, s7
; %bb.2942:                             ;   in Loop: Header=BB2_2434 Depth=2
	s_delay_alu instid0(VALU_DEP_2) | instskip(SKIP_1) | instid1(VALU_DEP_1)
	v_cmp_lt_u64_e32 vcc_lo, 0xffffff, v[38:39]
	v_add_nc_u32_e32 v10, 15, v15
	v_cndmask_b32_e32 v14, v119, v10, vcc_lo
	v_cndmask_b32_e64 v10, 0, 1, vcc_lo
	s_delay_alu instid0(VALU_DEP_1)
	v_lshrrev_b64 v[10:11], v10, v[38:39]
; %bb.2943:                             ;   in Loop: Header=BB2_2434 Depth=2
	s_and_not1_saveexec_b32 s7, s7
; %bb.2944:                             ;   in Loop: Header=BB2_2434 Depth=2
	v_mov_b64_e32 v[10:11], v[38:39]
	v_bfe_u32 v14, v38, 23, 1
; %bb.2945:                             ;   in Loop: Header=BB2_2434 Depth=2
	s_or_b32 exec_lo, exec_lo, s7
	s_delay_alu instid0(VALU_DEP_2) | instskip(NEXT) | instid1(VALU_DEP_2)
	v_lshrrev_b64 v[10:11], 21, v[10:11]
	v_cmp_gt_i32_e32 vcc_lo, 32, v14
	v_min_i32_e32 v15, 31, v14
	v_cmp_eq_u32_e64 s7, 0, v14
	s_delay_alu instid0(VALU_DEP_4) | instskip(NEXT) | instid1(VALU_DEP_3)
	v_cndmask_b32_e32 v11, 0, v11, vcc_lo
	v_dual_cndmask_b32 v10, 3, v10 :: v_dual_lshlrev_b32 v15, 2, v15
	s_delay_alu instid0(VALU_DEP_1) | instskip(NEXT) | instid1(VALU_DEP_2)
	v_and_b32_e32 v15, 0xfc, v15
	v_cmp_eq_u64_e32 vcc_lo, 0, v[10:11]
	s_delay_alu instid0(VALU_DEP_2)
	v_and_or_b32 v10, v10, 3, v15
	s_and_b32 s7, s7, vcc_lo
	s_delay_alu instid0(VALU_DEP_1) | instid1(SALU_CYCLE_1)
	v_cndmask_b32_e64 v10, v10, 0, s7
	s_delay_alu instid0(VALU_DEP_1)
	v_or_b32_e32 v14, v10, v118
.LBB2_2946:                             ;   in Loop: Header=BB2_2434 Depth=2
	s_or_b32 exec_lo, exec_lo, s27
                                        ; implicit-def: $vgpr118
.LBB2_2947:                             ;   in Loop: Header=BB2_2434 Depth=2
	s_and_not1_saveexec_b32 s7, s26
; %bb.2948:                             ;   in Loop: Header=BB2_2434 Depth=2
	v_or_b32_e32 v14, 0x7b, v118
; %bb.2949:                             ;   in Loop: Header=BB2_2434 Depth=2
	s_or_b32 exec_lo, exec_lo, s7
                                        ; implicit-def: $vgpr10
                                        ; implicit-def: $vgpr11
.LBB2_2950:                             ;   in Loop: Header=BB2_2434 Depth=2
	s_and_not1_saveexec_b32 s7, s25
	s_cbranch_execz .LBB2_2956
; %bb.2951:                             ;   in Loop: Header=BB2_2434 Depth=2
	s_mov_b32 s25, exec_lo
                                        ; implicit-def: $vgpr14
	v_cmpx_ne_u64_e32 0, v[38:39]
	s_xor_b32 s25, exec_lo, s25
; %bb.2952:                             ;   in Loop: Header=BB2_2434 Depth=2
	v_or_b32_e32 v14, 0x7f, v11
                                        ; implicit-def: $vgpr10
; %bb.2953:                             ;   in Loop: Header=BB2_2434 Depth=2
	s_and_not1_saveexec_b32 s25, s25
; %bb.2954:                             ;   in Loop: Header=BB2_2434 Depth=2
	v_cmp_lt_i32_e32 vcc_lo, -1, v10
	v_cndmask_b32_e32 v14, 0xfc, v46, vcc_lo
; %bb.2955:                             ;   in Loop: Header=BB2_2434 Depth=2
	s_or_b32 exec_lo, exec_lo, s25
.LBB2_2956:                             ;   in Loop: Header=BB2_2434 Depth=2
	s_delay_alu instid0(SALU_CYCLE_1)
	s_or_b32 exec_lo, exec_lo, s7
	v_mov_b32_e32 v11, 0
	s_mov_b32 s7, exec_lo
	v_cmpx_lt_u64_e64 s[12:13], v[16:17]
	s_cbranch_execz .LBB2_2966
; %bb.2957:                             ;   in Loop: Header=BB2_2434 Depth=2
	v_lshrrev_b32_e32 v10, 24, v17
	v_bfrev_b32_e32 v11, 1
	s_mov_b32 s25, exec_lo
	s_delay_alu instid0(VALU_DEP_2)
	v_cmpx_ne_u32_e32 0x80, v10
	s_cbranch_execz .LBB2_2965
; %bb.2958:                             ;   in Loop: Header=BB2_2434 Depth=2
	v_and_b32_e32 v11, 0x7c000000, v17
	v_bfe_u32 v15, v17, 24, 2
	s_delay_alu instid0(VALU_DEP_2) | instskip(SKIP_1) | instid1(SALU_CYCLE_1)
	v_cmp_ne_u32_e32 vcc_lo, 0x7c000000, v11
                                        ; implicit-def: $vgpr11
	s_and_saveexec_b32 s26, vcc_lo
	s_xor_b32 s26, exec_lo, s26
	s_cbranch_execz .LBB2_2962
; %bb.2959:                             ;   in Loop: Header=BB2_2434 Depth=2
	v_bfe_u32 v11, v17, 26, 5
	s_mov_b32 s27, exec_lo
	s_delay_alu instid0(VALU_DEP_1)
	v_cmpx_eq_u32_e32 0, v11
; %bb.2960:                             ;   in Loop: Header=BB2_2434 Depth=2
	v_clz_i32_u32_e32 v11, v15
	s_delay_alu instid0(VALU_DEP_1) | instskip(NEXT) | instid1(VALU_DEP_1)
	v_min_u32_e32 v15, 32, v11
	v_subrev_nc_u32_e32 v11, 29, v15
	s_delay_alu instid0(VALU_DEP_1) | instskip(NEXT) | instid1(VALU_DEP_1)
	v_lshlrev_b64_e32 v[10:11], v11, v[10:11]
	v_dual_sub_nc_u32 v11, 30, v15 :: v_dual_bitop2_b32 v15, 3, v10 bitop3:0x40
; %bb.2961:                             ;   in Loop: Header=BB2_2434 Depth=2
	s_or_b32 exec_lo, exec_lo, s27
	v_and_b32_e32 v10, 0x80000000, v17
                                        ; implicit-def: $vgpr16_vgpr17
	s_delay_alu instid0(VALU_DEP_1) | instskip(NEXT) | instid1(VALU_DEP_1)
	v_lshl_add_u32 v10, v11, 23, v10
	v_lshl_or_b32 v10, v15, 21, v10
                                        ; implicit-def: $vgpr15
	s_delay_alu instid0(VALU_DEP_1)
	v_add_nc_u32_e32 v11, 0x38000000, v10
.LBB2_2962:                             ;   in Loop: Header=BB2_2434 Depth=2
	s_and_not1_saveexec_b32 s26, s26
; %bb.2963:                             ;   in Loop: Header=BB2_2434 Depth=2
	v_cmp_lt_i64_e32 vcc_lo, -1, v[16:17]
	v_cndmask_b32_e32 v10, 0xff800000, v45, vcc_lo
	v_cmp_eq_u32_e32 vcc_lo, 0, v15
	s_delay_alu instid0(VALU_DEP_2)
	v_cndmask_b32_e32 v11, 0x7f800001, v10, vcc_lo
; %bb.2964:                             ;   in Loop: Header=BB2_2434 Depth=2
	s_or_b32 exec_lo, exec_lo, s26
.LBB2_2965:                             ;   in Loop: Header=BB2_2434 Depth=2
	s_delay_alu instid0(SALU_CYCLE_1)
	s_or_b32 exec_lo, exec_lo, s25
.LBB2_2966:                             ;   in Loop: Header=BB2_2434 Depth=2
	s_delay_alu instid0(SALU_CYCLE_1) | instskip(SKIP_2) | instid1(VALU_DEP_2)
	s_or_b32 exec_lo, exec_lo, s7
	v_bfe_u32 v15, v13, 24, 2
	v_bfe_u32 v118, v13, 26, 5
	v_clz_i32_u32_e32 v10, v15
	s_delay_alu instid0(VALU_DEP_2) | instskip(NEXT) | instid1(VALU_DEP_2)
	v_cmp_eq_u32_e32 vcc_lo, 0, v118
	v_min_u32_e32 v38, 32, v10
	v_lshrrev_b32_e32 v10, 24, v13
	s_delay_alu instid0(VALU_DEP_2) | instskip(NEXT) | instid1(VALU_DEP_1)
	v_subrev_nc_u32_e32 v16, 29, v38
	v_lshlrev_b64_e32 v[16:17], v16, v[10:11]
	v_sub_nc_u32_e32 v17, 30, v38
	v_and_b32_e32 v38, 0x80000000, v13
	s_delay_alu instid0(VALU_DEP_2) | instskip(NEXT) | instid1(VALU_DEP_1)
	v_dual_cndmask_b32 v17, v118, v17, vcc_lo :: v_dual_bitop2_b32 v16, 3, v16 bitop3:0x40
	v_lshl_add_u32 v17, v17, 23, v38
	s_delay_alu instid0(VALU_DEP_2) | instskip(SKIP_1) | instid1(VALU_DEP_2)
	v_cndmask_b32_e32 v16, v15, v16, vcc_lo
	v_cmp_lt_i64_e32 vcc_lo, -1, v[12:13]
	v_lshl_or_b32 v16, v16, 21, v17
	v_and_b32_e32 v17, 0x7c000000, v13
	v_cndmask_b32_e32 v38, 0xff800000, v45, vcc_lo
	v_cmp_eq_u32_e32 vcc_lo, 0, v15
	s_delay_alu instid0(VALU_DEP_4) | instskip(NEXT) | instid1(VALU_DEP_3)
	v_add_nc_u32_e32 v16, 0x38000000, v16
	v_cndmask_b32_e32 v15, 0x7f800001, v38, vcc_lo
	v_cmp_eq_u32_e32 vcc_lo, 0x7c000000, v17
	s_delay_alu instid0(VALU_DEP_2) | instskip(SKIP_1) | instid1(VALU_DEP_2)
	v_cndmask_b32_e32 v15, v16, v15, vcc_lo
	v_cmp_ne_u32_e32 vcc_lo, 0x80, v10
	v_cndmask_b32_e32 v10, 0x80000000, v15, vcc_lo
	v_cmp_lt_u64_e32 vcc_lo, s[12:13], v[12:13]
	s_delay_alu instid0(VALU_DEP_2) | instskip(NEXT) | instid1(VALU_DEP_1)
	v_dual_mov_b32 v13, v39 :: v_dual_cndmask_b32 v10, 0, v10
	v_mul_f32_e32 v11, v10, v11
                                        ; implicit-def: $vgpr10
	s_delay_alu instid0(VALU_DEP_1) | instskip(SKIP_1) | instid1(VALU_DEP_2)
	v_and_b32_e32 v12, 0x7f800000, v11
	v_and_b32_e32 v38, 0x7fffff, v11
	v_cmp_ne_u64_e32 vcc_lo, 0x7f800000, v[12:13]
	v_lshrrev_b32_e32 v12, 24, v11
	s_and_saveexec_b32 s7, vcc_lo
	s_delay_alu instid0(SALU_CYCLE_1)
	s_xor_b32 s25, exec_lo, s7
	s_cbranch_execz .LBB2_2980
; %bb.2967:                             ;   in Loop: Header=BB2_2434 Depth=2
	v_and_b32_e32 v16, 0x7fffffff, v11
	v_mov_b32_e32 v17, v39
	v_and_b32_e32 v15, 0x80, v12
                                        ; implicit-def: $vgpr10
	s_mov_b32 s7, exec_lo
	s_delay_alu instid0(VALU_DEP_2)
	v_cmpx_gt_u64_e32 0x47600001, v[16:17]
	s_xor_b32 s26, exec_lo, s7
	s_cbranch_execz .LBB2_2977
; %bb.2968:                             ;   in Loop: Header=BB2_2434 Depth=2
	v_mov_b32_e32 v10, 0
	s_mov_b32 s27, exec_lo
	v_cmpx_ne_u32_e32 0, v11
	s_cbranch_execz .LBB2_2976
; %bb.2969:                             ;   in Loop: Header=BB2_2434 Depth=2
	v_bfe_u32 v16, v11, 23, 8
	v_or_b32_e32 v12, 0x800000, v38
	s_delay_alu instid0(VALU_DEP_2) | instskip(SKIP_1) | instid1(VALU_DEP_2)
	v_sub_nc_u32_e32 v10, 0x71, v16
	v_cmp_gt_u32_e32 vcc_lo, 0x72, v16
	v_cndmask_b32_e32 v10, 0, v10, vcc_lo
	v_cmp_eq_u32_e32 vcc_lo, 0, v16
	s_delay_alu instid0(VALU_DEP_2) | instskip(NEXT) | instid1(VALU_DEP_1)
	v_cndmask_b32_e64 v17, v10, 0x70, vcc_lo
	v_dual_cndmask_b32 v38, v12, v38, vcc_lo :: v_dual_add_nc_u32 v10, 21, v17
	v_add_nc_u32_e32 v13, 20, v17
	s_delay_alu instid0(VALU_DEP_2) | instskip(NEXT) | instid1(VALU_DEP_2)
	v_lshlrev_b64_e64 v[10:11], v10, -1
	v_lshlrev_b64_e64 v[12:13], v13, 1
	s_delay_alu instid0(VALU_DEP_2) | instskip(NEXT) | instid1(VALU_DEP_3)
	v_bfi_b32 v119, v11, 0, 0
	v_bfi_b32 v118, v10, 0, v38
	v_lshrrev_b64 v[10:11], v17, v[38:39]
	s_delay_alu instid0(VALU_DEP_2) | instskip(NEXT) | instid1(VALU_DEP_2)
	v_cmp_eq_u64_e64 s7, v[118:119], v[12:13]
	v_mov_b64_e32 v[12:13], v[10:11]
	s_and_saveexec_b32 s28, s7
; %bb.2970:                             ;   in Loop: Header=BB2_2434 Depth=2
	v_bfe_u32 v38, v10, 21, 1
	s_delay_alu instid0(VALU_DEP_1) | instskip(NEXT) | instid1(VALU_DEP_1)
	v_add_nc_u64_e32 v[12:13], v[10:11], v[38:39]
	v_add_nc_u64_e32 v[12:13], -1, v[12:13]
; %bb.2971:                             ;   in Loop: Header=BB2_2434 Depth=2
	s_or_b32 exec_lo, exec_lo, s28
	v_add_nc_u32_e32 v11, 0xffffff81, v16
	v_lshrrev_b32_e32 v13, 23, v10
	s_mov_b32 s7, exec_lo
	s_delay_alu instid0(VALU_DEP_2) | instskip(NEXT) | instid1(VALU_DEP_1)
	v_cndmask_b32_e64 v11, v11, 0xffffff82, vcc_lo
	v_add3_u32 v13, v17, v11, v13
	v_and_b32_e32 v11, 0x1fffff, v12
                                        ; implicit-def: $vgpr12
	s_delay_alu instid0(VALU_DEP_1) | instskip(NEXT) | instid1(VALU_DEP_1)
	v_dual_add_nc_u32 v16, 14, v13 :: v_dual_add_nc_u32 v38, v11, v10
                                        ; implicit-def: $vgpr10_vgpr11
	v_cmpx_ne_u32_e32 0, v16
	s_xor_b32 s7, exec_lo, s7
; %bb.2972:                             ;   in Loop: Header=BB2_2434 Depth=2
	s_delay_alu instid0(VALU_DEP_2) | instskip(SKIP_1) | instid1(VALU_DEP_1)
	v_cmp_lt_u64_e32 vcc_lo, 0xffffff, v[38:39]
	v_add_nc_u32_e32 v10, 15, v13
	v_cndmask_b32_e32 v12, v16, v10, vcc_lo
	v_cndmask_b32_e64 v10, 0, 1, vcc_lo
	s_delay_alu instid0(VALU_DEP_1)
	v_lshrrev_b64 v[10:11], v10, v[38:39]
; %bb.2973:                             ;   in Loop: Header=BB2_2434 Depth=2
	s_and_not1_saveexec_b32 s7, s7
; %bb.2974:                             ;   in Loop: Header=BB2_2434 Depth=2
	v_mov_b64_e32 v[10:11], v[38:39]
	v_bfe_u32 v12, v38, 23, 1
; %bb.2975:                             ;   in Loop: Header=BB2_2434 Depth=2
	s_or_b32 exec_lo, exec_lo, s7
	s_delay_alu instid0(VALU_DEP_2) | instskip(NEXT) | instid1(VALU_DEP_2)
	v_lshrrev_b64 v[10:11], 21, v[10:11]
	v_cmp_gt_i32_e32 vcc_lo, 32, v12
	v_min_i32_e32 v13, 31, v12
	v_cmp_eq_u32_e64 s7, 0, v12
	s_delay_alu instid0(VALU_DEP_2) | instskip(SKIP_1) | instid1(VALU_DEP_2)
	v_dual_cndmask_b32 v11, 0, v11, vcc_lo :: v_dual_lshlrev_b32 v13, 2, v13
	v_cndmask_b32_e32 v10, 3, v10, vcc_lo
	v_and_b32_e32 v13, 0xfc, v13
	s_delay_alu instid0(VALU_DEP_2) | instskip(NEXT) | instid1(VALU_DEP_2)
	v_cmp_eq_u64_e32 vcc_lo, 0, v[10:11]
	v_and_or_b32 v10, v10, 3, v13
	s_and_b32 s7, s7, vcc_lo
	s_delay_alu instid0(VALU_DEP_1) | instid1(SALU_CYCLE_1)
	v_cndmask_b32_e64 v10, v10, 0, s7
	s_delay_alu instid0(VALU_DEP_1)
	v_or_b32_e32 v10, v10, v15
.LBB2_2976:                             ;   in Loop: Header=BB2_2434 Depth=2
	s_or_b32 exec_lo, exec_lo, s27
                                        ; implicit-def: $vgpr15
.LBB2_2977:                             ;   in Loop: Header=BB2_2434 Depth=2
	s_and_not1_saveexec_b32 s7, s26
; %bb.2978:                             ;   in Loop: Header=BB2_2434 Depth=2
	v_or_b32_e32 v10, 0x7b, v15
; %bb.2979:                             ;   in Loop: Header=BB2_2434 Depth=2
	s_or_b32 exec_lo, exec_lo, s7
                                        ; implicit-def: $vgpr11
                                        ; implicit-def: $vgpr12
.LBB2_2980:                             ;   in Loop: Header=BB2_2434 Depth=2
	s_and_not1_saveexec_b32 s7, s25
	s_cbranch_execz .LBB2_2433
; %bb.2981:                             ;   in Loop: Header=BB2_2434 Depth=2
	s_mov_b32 s25, exec_lo
                                        ; implicit-def: $vgpr10
	v_cmpx_ne_u64_e32 0, v[38:39]
	s_xor_b32 s25, exec_lo, s25
; %bb.2982:                             ;   in Loop: Header=BB2_2434 Depth=2
	v_or_b32_e32 v10, 0x7f, v12
                                        ; implicit-def: $vgpr11
; %bb.2983:                             ;   in Loop: Header=BB2_2434 Depth=2
	s_and_not1_saveexec_b32 s25, s25
	s_cbranch_execz .LBB2_2432
; %bb.2984:                             ;   in Loop: Header=BB2_2434 Depth=2
	v_cmp_lt_i32_e32 vcc_lo, -1, v11
	v_cndmask_b32_e32 v10, 0xfc, v46, vcc_lo
	s_branch .LBB2_2432
.LBB2_2985:                             ;   in Loop: Header=BB2_2434 Depth=2
	s_or_saveexec_b32 s7, s7
	v_bfrev_b32_e32 v38, 1
	s_xor_b32 exec_lo, exec_lo, s7
	s_cbranch_execz .LBB2_2448
.LBB2_2986:                             ;   in Loop: Header=BB2_2434 Depth=2
	v_cmp_ne_u16_e32 vcc_lo, 0, v86
	v_mov_b32_e32 v38, 0
	s_and_not1_b32 s25, s25, exec_lo
	s_and_b32 s26, vcc_lo, exec_lo
	s_delay_alu instid0(SALU_CYCLE_1)
	s_or_b32 s25, s25, s26
	s_or_b32 exec_lo, exec_lo, s7
	s_and_saveexec_b32 s7, s25
	s_cbranch_execnz .LBB2_2449
	s_branch .LBB2_2450
.LBB2_2987:                             ;   in Loop: Header=BB2_2434 Depth=2
	s_or_saveexec_b32 s7, s7
	v_bfrev_b32_e32 v86, 1
	s_xor_b32 exec_lo, exec_lo, s7
	s_cbranch_execz .LBB2_2484
.LBB2_2988:                             ;   in Loop: Header=BB2_2434 Depth=2
	v_cmp_ne_u16_e32 vcc_lo, 0, v38
	v_mov_b32_e32 v86, 0
	s_and_not1_b32 s25, s25, exec_lo
	s_and_b32 s26, vcc_lo, exec_lo
	s_delay_alu instid0(SALU_CYCLE_1)
	s_or_b32 s25, s25, s26
	s_or_b32 exec_lo, exec_lo, s7
	s_and_saveexec_b32 s7, s25
	s_cbranch_execnz .LBB2_2485
	s_branch .LBB2_2486
.LBB2_2989:                             ;   in Loop: Header=BB2_2434 Depth=2
	s_or_saveexec_b32 s7, s7
	v_bfrev_b32_e32 v86, 1
	s_xor_b32 exec_lo, exec_lo, s7
	s_cbranch_execz .LBB2_2520
.LBB2_2990:                             ;   in Loop: Header=BB2_2434 Depth=2
	v_cmp_ne_u16_e32 vcc_lo, 0, v87
	v_mov_b32_e32 v86, 0
	s_and_not1_b32 s25, s25, exec_lo
	s_and_b32 s26, vcc_lo, exec_lo
	s_delay_alu instid0(SALU_CYCLE_1)
	s_or_b32 s25, s25, s26
	s_or_b32 exec_lo, exec_lo, s7
	s_and_saveexec_b32 s7, s25
	s_cbranch_execnz .LBB2_2521
	s_branch .LBB2_2522
.LBB2_2991:                             ;   in Loop: Header=BB2_2434 Depth=2
	s_or_saveexec_b32 s7, s7
	v_bfrev_b32_e32 v96, 1
	s_xor_b32 exec_lo, exec_lo, s7
	s_cbranch_execz .LBB2_2586
.LBB2_2992:                             ;   in Loop: Header=BB2_2434 Depth=2
	v_cmp_ne_u16_e32 vcc_lo, 0, v87
	v_mov_b32_e32 v96, 0
	s_and_not1_b32 s25, s25, exec_lo
	s_and_b32 s26, vcc_lo, exec_lo
	s_delay_alu instid0(SALU_CYCLE_1)
	s_or_b32 s25, s25, s26
	s_or_b32 exec_lo, exec_lo, s7
	v_mov_b32_e32 v87, v39
	s_and_saveexec_b32 s7, s25
	s_cbranch_execnz .LBB2_2587
	s_branch .LBB2_2588
.LBB2_2993:                             ;   in Loop: Header=BB2_2434 Depth=2
	s_or_saveexec_b32 s7, s7
	v_bfrev_b32_e32 v87, 1
	s_xor_b32 exec_lo, exec_lo, s7
	s_cbranch_execz .LBB2_2622
.LBB2_2994:                             ;   in Loop: Header=BB2_2434 Depth=2
	v_cmp_ne_u16_e32 vcc_lo, 0, v38
	v_mov_b32_e32 v87, 0
	s_and_not1_b32 s25, s25, exec_lo
	s_and_b32 s26, vcc_lo, exec_lo
	s_delay_alu instid0(SALU_CYCLE_1)
	s_or_b32 s25, s25, s26
	s_or_b32 exec_lo, exec_lo, s7
	s_and_saveexec_b32 s7, s25
	s_cbranch_execnz .LBB2_2623
	s_branch .LBB2_2624
.LBB2_2995:                             ;   in Loop: Header=BB2_2434 Depth=2
	s_or_saveexec_b32 s7, s7
	v_bfrev_b32_e32 v86, 1
	s_xor_b32 exec_lo, exec_lo, s7
	s_cbranch_execz .LBB2_2658
.LBB2_2996:                             ;   in Loop: Header=BB2_2434 Depth=2
	v_cmp_ne_u16_e32 vcc_lo, 0, v87
	v_mov_b32_e32 v86, 0
	s_and_not1_b32 s25, s25, exec_lo
	s_and_b32 s26, vcc_lo, exec_lo
	s_delay_alu instid0(SALU_CYCLE_1)
	s_or_b32 s25, s25, s26
	s_or_b32 exec_lo, exec_lo, s7
	s_and_saveexec_b32 s7, s25
	s_cbranch_execnz .LBB2_2659
	s_branch .LBB2_2660
.LBB2_2997:                             ;   in Loop: Header=BB2_2434 Depth=2
	s_or_saveexec_b32 s7, s7
	v_bfrev_b32_e32 v11, 1
	s_xor_b32 exec_lo, exec_lo, s7
	s_cbranch_execz .LBB2_2724
.LBB2_2998:                             ;   in Loop: Header=BB2_2434 Depth=2
	v_cmp_ne_u16_e32 vcc_lo, 0, v14
	v_mov_b32_e32 v11, 0
	s_and_not1_b32 s25, s25, exec_lo
	s_and_b32 s26, vcc_lo, exec_lo
	s_delay_alu instid0(SALU_CYCLE_1)
	s_or_b32 s25, s25, s26
	s_or_b32 exec_lo, exec_lo, s7
	s_and_saveexec_b32 s7, s25
	s_cbranch_execnz .LBB2_2725
	s_branch .LBB2_2726
.LBB2_2999:                             ;   in Loop: Header=BB2_2434 Depth=2
	s_or_saveexec_b32 s7, s7
	v_bfrev_b32_e32 v11, 1
	s_xor_b32 exec_lo, exec_lo, s7
	s_cbranch_execz .LBB2_2760
.LBB2_3000:                             ;   in Loop: Header=BB2_2434 Depth=2
	v_cmp_ne_u16_e32 vcc_lo, 0, v38
	v_mov_b32_e32 v11, 0
	s_and_not1_b32 s25, s25, exec_lo
	s_and_b32 s26, vcc_lo, exec_lo
	s_delay_alu instid0(SALU_CYCLE_1)
	s_or_b32 s25, s25, s26
	s_or_b32 exec_lo, exec_lo, s7
	s_and_saveexec_b32 s7, s25
	s_cbranch_execnz .LBB2_2761
	s_branch .LBB2_2762
.LBB2_3001:                             ;   in Loop: Header=BB2_2434 Depth=2
	s_or_saveexec_b32 s7, s7
	v_bfrev_b32_e32 v14, 1
	s_xor_b32 exec_lo, exec_lo, s7
	s_cbranch_execz .LBB2_2796
.LBB2_3002:                             ;   in Loop: Header=BB2_2434 Depth=2
	v_cmp_ne_u16_e32 vcc_lo, 0, v15
	v_mov_b32_e32 v14, 0
	s_and_not1_b32 s25, s25, exec_lo
	s_and_b32 s26, vcc_lo, exec_lo
	s_delay_alu instid0(SALU_CYCLE_1)
	s_or_b32 s25, s25, s26
	s_or_b32 exec_lo, exec_lo, s7
	s_and_saveexec_b32 s7, s25
	s_cbranch_execnz .LBB2_2797
	s_branch .LBB2_2798
.LBB2_3003:                             ;   in Loop: Header=BB2_2434 Depth=2
	s_or_saveexec_b32 s7, s7
	v_bfrev_b32_e32 v15, 1
	s_xor_b32 exec_lo, exec_lo, s7
	s_cbranch_execz .LBB2_2862
.LBB2_3004:                             ;   in Loop: Header=BB2_2434 Depth=2
	v_cmp_ne_u16_e32 vcc_lo, 0, v11
	v_mov_b32_e32 v15, 0
	s_and_not1_b32 s25, s25, exec_lo
	s_and_b32 s26, vcc_lo, exec_lo
	s_delay_alu instid0(SALU_CYCLE_1)
	s_or_b32 s25, s25, s26
	s_or_b32 exec_lo, exec_lo, s7
	v_mov_b32_e32 v11, v39
	s_and_saveexec_b32 s7, s25
	s_cbranch_execnz .LBB2_2863
	s_branch .LBB2_2864
.LBB2_3005:                             ;   in Loop: Header=BB2_2434 Depth=2
	s_or_saveexec_b32 s7, s7
	v_bfrev_b32_e32 v14, 1
	s_xor_b32 exec_lo, exec_lo, s7
	s_cbranch_execz .LBB2_2898
.LBB2_3006:                             ;   in Loop: Header=BB2_2434 Depth=2
	v_cmp_ne_u16_e32 vcc_lo, 0, v38
	v_mov_b32_e32 v14, 0
	s_and_not1_b32 s25, s25, exec_lo
	s_and_b32 s26, vcc_lo, exec_lo
	s_delay_alu instid0(SALU_CYCLE_1)
	s_or_b32 s25, s25, s26
	s_or_b32 exec_lo, exec_lo, s7
	s_and_saveexec_b32 s7, s25
	s_cbranch_execnz .LBB2_2899
	s_branch .LBB2_2900
.LBB2_3007:                             ;   in Loop: Header=BB2_2434 Depth=2
	s_or_saveexec_b32 s7, s7
	v_bfrev_b32_e32 v14, 1
	s_xor_b32 exec_lo, exec_lo, s7
	s_cbranch_execz .LBB2_2934
.LBB2_3008:                             ;   in Loop: Header=BB2_2434 Depth=2
	v_cmp_ne_u16_e32 vcc_lo, 0, v15
	v_mov_b32_e32 v14, 0
	s_and_not1_b32 s25, s25, exec_lo
	s_and_b32 s26, vcc_lo, exec_lo
	s_delay_alu instid0(SALU_CYCLE_1)
	s_or_b32 s25, s25, s26
	s_or_b32 exec_lo, exec_lo, s7
	s_and_saveexec_b32 s7, s25
	s_cbranch_execnz .LBB2_2935
	s_branch .LBB2_2936
.LBB2_3009:                             ;   in Loop: Header=BB2_1777 Depth=1
	s_or_b32 exec_lo, exec_lo, s24
.LBB2_3010:                             ;   in Loop: Header=BB2_1777 Depth=1
	s_delay_alu instid0(SALU_CYCLE_1) | instskip(SKIP_3) | instid1(VALU_DEP_1)
	s_or_b32 exec_lo, exec_lo, s23
	v_cmp_lt_i32_e32 vcc_lo, 0, v101
	s_mov_b32 s23, exec_lo
	v_cndmask_b32_e32 v10, 0, v36, vcc_lo
	v_sub_nc_u32_e32 v10, v10, v101
	s_delay_alu instid0(VALU_DEP_1)
	v_lshl_add_u32 v30, v10, 5, v100
.LBB2_3011:                             ;   in Loop: Header=BB2_1777 Depth=1
	s_or_b32 exec_lo, exec_lo, s10
	s_and_saveexec_b32 s10, s23
	s_cbranch_execz .LBB2_3416
.LBB2_3012:                             ;   in Loop: Header=BB2_1777 Depth=1
	s_delay_alu instid0(VALU_DEP_1) | instskip(SKIP_1) | instid1(VALU_DEP_1)
	v_dual_ashrrev_i32 v10, 31, v30 :: v_dual_lshrrev_b32 v11, 8, v59
	s_mov_b32 s23, exec_lo
	v_lshrrev_b32_e32 v10, 27, v10
	s_delay_alu instid0(VALU_DEP_1) | instskip(NEXT) | instid1(VALU_DEP_1)
	v_add_nc_u32_e32 v10, v30, v10
	v_ashrrev_i32_e32 v60, 5, v10
	s_delay_alu instid0(VALU_DEP_1) | instskip(NEXT) | instid1(VALU_DEP_1)
	v_sub_nc_u32_e32 v61, v11, v60
	v_cmpx_lt_i32_e32 0, v61
	s_cbranch_execz .LBB2_3368
; %bb.3013:                             ;   in Loop: Header=BB2_1777 Depth=1
	v_and_b32_e32 v10, 0xffffffe0, v10
	s_trap 2
	ds_load_b64 v[12:13], v0
	v_lshlrev_b32_e32 v11, 8, v60
	v_add_nc_u64_e32 v[16:17], 0xe0, v[70:71]
	v_sub_nc_u32_e32 v10, v30, v10
	s_mov_b32 s24, 0
	s_delay_alu instid0(VALU_DEP_1) | instskip(NEXT) | instid1(VALU_DEP_1)
	v_add3_u32 v14, v58, v10, v11
	v_ashrrev_i32_e32 v15, 31, v14
	s_delay_alu instid0(VALU_DEP_1)
	v_add_nc_u64_e32 v[10:11], v[14:15], v[68:69]
	s_wait_dscnt 0x0
	v_add_nc_u64_e32 v[12:13], v[12:13], v[14:15]
	v_add_nc_u64_e32 v[14:15], v[16:17], v[14:15]
	s_branch .LBB2_3016
.LBB2_3014:                             ;   in Loop: Header=BB2_3016 Depth=2
	s_or_b32 exec_lo, exec_lo, s25
.LBB2_3015:                             ;   in Loop: Header=BB2_3016 Depth=2
	s_delay_alu instid0(SALU_CYCLE_1)
	s_or_b32 exec_lo, exec_lo, s7
	v_sub_nc_u32_e32 v61, v61, v36
	s_clause 0x7
	flat_store_b8 v[14:15], v119 offset:-224 th:TH_STORE_NT
	flat_store_b8 v[14:15], v115 offset:-192 th:TH_STORE_NT
	;; [unrolled: 1-line block ×7, first 2 shown]
	flat_store_b8 v[14:15], v17 th:TH_STORE_NT
	v_add_nc_u64_e32 v[10:11], v[10:11], v[52:53]
	v_add_nc_u64_e32 v[12:13], v[12:13], v[52:53]
	s_wait_xcnt 0x0
	v_add_nc_u64_e32 v[14:15], v[14:15], v[52:53]
	v_cmp_gt_i32_e32 vcc_lo, 1, v61
	s_or_b32 s24, vcc_lo, s24
	s_delay_alu instid0(SALU_CYCLE_1)
	s_and_not1_b32 exec_lo, exec_lo, s24
	s_cbranch_execz .LBB2_3367
.LBB2_3016:                             ;   Parent Loop BB2_1777 Depth=1
                                        ; =>  This Inner Loop Header: Depth=2
	s_clause 0x7
	flat_load_i8 v38, v[10:11] th:TH_LOAD_NT
	flat_load_i8 v116, v[10:11] offset:32 th:TH_LOAD_NT
	flat_load_i8 v112, v[10:11] offset:64 th:TH_LOAD_NT
	;; [unrolled: 1-line block ×7, first 2 shown]
	s_clause 0x7
	flat_load_i8 v118, v[12:13] th:TH_LOAD_NT
	flat_load_i8 v114, v[12:13] offset:32 th:TH_LOAD_NT
	flat_load_i8 v102, v[12:13] offset:64 th:TH_LOAD_NT
	;; [unrolled: 1-line block ×7, first 2 shown]
	v_dual_mov_b32 v17, 0 :: v_dual_mov_b32 v69, 0
	s_mov_b32 s7, exec_lo
	s_wait_loadcnt_dscnt 0xf0f
	s_wait_xcnt 0x0
	v_cmpx_ne_u16_e32 0, v38
	s_cbranch_execz .LBB2_3026
; %bb.3017:                             ;   in Loop: Header=BB2_3016 Depth=2
	v_bfrev_b32_e32 v69, 1
	s_mov_b32 s25, exec_lo
	v_cmpx_ne_u16_e32 0xff80, v38
	s_cbranch_execz .LBB2_3025
; %bb.3018:                             ;   in Loop: Header=BB2_3016 Depth=2
	v_and_b32_e32 v69, 0x7c, v38
	v_and_b32_e32 v71, 3, v38
	s_delay_alu instid0(VALU_DEP_2) | instskip(SKIP_1) | instid1(SALU_CYCLE_1)
	v_cmp_ne_u32_e32 vcc_lo, 0x7c, v69
                                        ; implicit-def: $vgpr69
	s_and_saveexec_b32 s26, vcc_lo
	s_xor_b32 s26, exec_lo, s26
	s_cbranch_execz .LBB2_3022
; %bb.3019:                             ;   in Loop: Header=BB2_3016 Depth=2
	v_and_b32_e32 v69, 0xff, v38
	s_mov_b32 s27, exec_lo
	s_delay_alu instid0(VALU_DEP_1) | instskip(NEXT) | instid1(VALU_DEP_1)
	v_bfe_u32 v69, v69, 2, 5
	v_cmpx_eq_u32_e32 0, v69
; %bb.3020:                             ;   in Loop: Header=BB2_3016 Depth=2
	v_clz_i32_u32_e32 v69, v71
	s_delay_alu instid0(VALU_DEP_1) | instskip(NEXT) | instid1(VALU_DEP_1)
	v_min_u32_e32 v69, 32, v69
	v_subrev_nc_u32_e32 v71, 29, v69
	s_delay_alu instid0(VALU_DEP_1) | instskip(NEXT) | instid1(VALU_DEP_1)
	v_lshlrev_b64_e32 v[40:41], v71, v[38:39]
	v_dual_sub_nc_u32 v69, 30, v69 :: v_dual_bitop2_b32 v71, 3, v40 bitop3:0x40
; %bb.3021:                             ;   in Loop: Header=BB2_3016 Depth=2
	s_or_b32 exec_lo, exec_lo, s27
	v_bfe_i32 v38, v38, 0, 16
	s_delay_alu instid0(VALU_DEP_1) | instskip(NEXT) | instid1(VALU_DEP_1)
	v_and_b32_e32 v38, 0x80000000, v38
	v_lshl_add_u32 v38, v69, 23, v38
	s_delay_alu instid0(VALU_DEP_1) | instskip(NEXT) | instid1(VALU_DEP_1)
	v_lshl_or_b32 v38, v71, 21, v38
                                        ; implicit-def: $vgpr71
	v_add_nc_u32_e32 v69, 0x38000000, v38
.LBB2_3022:                             ;   in Loop: Header=BB2_3016 Depth=2
	s_and_not1_saveexec_b32 s26, s26
; %bb.3023:                             ;   in Loop: Header=BB2_3016 Depth=2
	v_cmp_lt_i16_e32 vcc_lo, -1, v38
	v_cndmask_b32_e32 v38, 0xff800000, v45, vcc_lo
	v_cmp_eq_u32_e32 vcc_lo, 0, v71
	s_delay_alu instid0(VALU_DEP_2)
	v_cndmask_b32_e32 v69, 0x7f800001, v38, vcc_lo
; %bb.3024:                             ;   in Loop: Header=BB2_3016 Depth=2
	s_or_b32 exec_lo, exec_lo, s26
.LBB2_3025:                             ;   in Loop: Header=BB2_3016 Depth=2
	s_delay_alu instid0(SALU_CYCLE_1)
	s_or_b32 exec_lo, exec_lo, s25
.LBB2_3026:                             ;   in Loop: Header=BB2_3016 Depth=2
	s_delay_alu instid0(SALU_CYCLE_1) | instskip(NEXT) | instid1(SALU_CYCLE_1)
	s_or_b32 exec_lo, exec_lo, s7
	s_mov_b32 s7, exec_lo
	s_wait_loadcnt_dscnt 0x707
	v_cmpx_ne_u16_e32 0, v118
	s_cbranch_execz .LBB2_3036
; %bb.3027:                             ;   in Loop: Header=BB2_3016 Depth=2
	v_bfrev_b32_e32 v17, 1
	s_mov_b32 s25, exec_lo
	v_cmpx_ne_u16_e32 0xff80, v118
	s_cbranch_execz .LBB2_3035
; %bb.3028:                             ;   in Loop: Header=BB2_3016 Depth=2
	v_and_b32_e32 v17, 0x7c, v118
	v_and_b32_e32 v38, 3, v118
	s_delay_alu instid0(VALU_DEP_2) | instskip(SKIP_1) | instid1(SALU_CYCLE_1)
	v_cmp_ne_u32_e32 vcc_lo, 0x7c, v17
                                        ; implicit-def: $vgpr17
	s_and_saveexec_b32 s26, vcc_lo
	s_xor_b32 s26, exec_lo, s26
	s_cbranch_execz .LBB2_3032
; %bb.3029:                             ;   in Loop: Header=BB2_3016 Depth=2
	v_and_b32_e32 v17, 0xff, v118
	s_mov_b32 s27, exec_lo
	s_delay_alu instid0(VALU_DEP_1) | instskip(NEXT) | instid1(VALU_DEP_1)
	v_bfe_u32 v17, v17, 2, 5
	v_cmpx_eq_u32_e32 0, v17
	s_cbranch_execz .LBB2_3031
; %bb.3030:                             ;   in Loop: Header=BB2_3016 Depth=2
	v_clz_i32_u32_e32 v17, v38
	s_delay_alu instid0(VALU_DEP_1) | instskip(SKIP_1) | instid1(VALU_DEP_2)
	v_min_u32_e32 v17, 32, v17
	v_mov_b32_e32 v119, v39
	v_subrev_nc_u32_e32 v38, 29, v17
	v_sub_nc_u32_e32 v17, 30, v17
	s_delay_alu instid0(VALU_DEP_2) | instskip(NEXT) | instid1(VALU_DEP_1)
	v_lshlrev_b64_e32 v[40:41], v38, v[118:119]
	v_and_b32_e32 v38, 3, v40
.LBB2_3031:                             ;   in Loop: Header=BB2_3016 Depth=2
	s_or_b32 exec_lo, exec_lo, s27
	v_bfe_i32 v71, v118, 0, 16
                                        ; implicit-def: $vgpr118
	s_delay_alu instid0(VALU_DEP_1) | instskip(NEXT) | instid1(VALU_DEP_1)
	v_and_b32_e32 v71, 0x80000000, v71
	v_lshl_add_u32 v17, v17, 23, v71
	s_delay_alu instid0(VALU_DEP_1) | instskip(NEXT) | instid1(VALU_DEP_1)
	v_lshl_or_b32 v17, v38, 21, v17
                                        ; implicit-def: $vgpr38
	v_add_nc_u32_e32 v17, 0x38000000, v17
.LBB2_3032:                             ;   in Loop: Header=BB2_3016 Depth=2
	s_and_not1_saveexec_b32 s26, s26
; %bb.3033:                             ;   in Loop: Header=BB2_3016 Depth=2
	v_cmp_lt_i16_e32 vcc_lo, -1, v118
	v_cndmask_b32_e32 v17, 0xff800000, v45, vcc_lo
	v_cmp_eq_u32_e32 vcc_lo, 0, v38
	s_delay_alu instid0(VALU_DEP_2)
	v_cndmask_b32_e32 v17, 0x7f800001, v17, vcc_lo
; %bb.3034:                             ;   in Loop: Header=BB2_3016 Depth=2
	s_or_b32 exec_lo, exec_lo, s26
.LBB2_3035:                             ;   in Loop: Header=BB2_3016 Depth=2
	s_delay_alu instid0(SALU_CYCLE_1)
	s_or_b32 exec_lo, exec_lo, s25
.LBB2_3036:                             ;   in Loop: Header=BB2_3016 Depth=2
	s_delay_alu instid0(SALU_CYCLE_1) | instskip(NEXT) | instid1(VALU_DEP_1)
	s_or_b32 exec_lo, exec_lo, s7
	v_dual_mul_f32 v69, v69, v17 :: v_dual_mov_b32 v119, v39
	s_delay_alu instid0(VALU_DEP_1) | instskip(SKIP_1) | instid1(VALU_DEP_2)
	v_and_b32_e32 v118, 0x7f800000, v69
	v_and_b32_e32 v38, 0x7fffff, v69
	v_cmp_ne_u64_e32 vcc_lo, 0x7f800000, v[118:119]
                                        ; implicit-def: $vgpr119
	s_and_saveexec_b32 s7, vcc_lo
	s_delay_alu instid0(SALU_CYCLE_1)
	s_xor_b32 s25, exec_lo, s7
	s_cbranch_execz .LBB2_3054
; %bb.3037:                             ;   in Loop: Header=BB2_3016 Depth=2
	v_and_b32_e32 v118, 0x7fffffff, v69
	v_dual_mov_b32 v119, v39 :: v_dual_lshrrev_b32 v17, 24, v69
	s_delay_alu instid0(VALU_DEP_1) | instskip(NEXT) | instid1(VALU_DEP_2)
	v_cmp_gt_u64_e32 vcc_lo, 0x47600001, v[118:119]
	v_and_b32_e32 v17, 0x80, v17
                                        ; implicit-def: $vgpr119
	s_and_saveexec_b32 s7, vcc_lo
	s_delay_alu instid0(SALU_CYCLE_1)
	s_xor_b32 s26, exec_lo, s7
	s_cbranch_execz .LBB2_3051
; %bb.3038:                             ;   in Loop: Header=BB2_3016 Depth=2
	v_mov_b32_e32 v119, 0
	s_mov_b32 s27, exec_lo
	v_cmpx_ne_u32_e32 0, v69
	s_cbranch_execz .LBB2_3050
; %bb.3039:                             ;   in Loop: Header=BB2_3016 Depth=2
	v_bfe_u32 v69, v69, 23, 8
	v_or_b32_e32 v83, 0x800000, v38
	s_delay_alu instid0(VALU_DEP_2) | instskip(SKIP_1) | instid1(VALU_DEP_2)
	v_sub_nc_u32_e32 v71, 0x71, v69
	v_cmp_gt_u32_e32 vcc_lo, 0x72, v69
	v_cndmask_b32_e32 v71, 0, v71, vcc_lo
	v_cmp_eq_u32_e32 vcc_lo, 0, v69
	s_delay_alu instid0(VALU_DEP_2) | instskip(NEXT) | instid1(VALU_DEP_1)
	v_cndmask_b32_e64 v71, v71, 0x70, vcc_lo
	v_dual_cndmask_b32 v38, v83, v38 :: v_dual_add_nc_u32 v81, 21, v71
	s_delay_alu instid0(VALU_DEP_1) | instskip(SKIP_1) | instid1(VALU_DEP_1)
	v_lshlrev_b64_e64 v[118:119], v81, -1
	v_add_nc_u32_e32 v81, 20, v71
	v_lshlrev_b64_e64 v[40:41], v81, 1
	s_delay_alu instid0(VALU_DEP_3) | instskip(NEXT) | instid1(VALU_DEP_4)
	v_bfi_b32 v63, v119, 0, 0
	v_bfi_b32 v62, v118, 0, v38
	v_lshrrev_b64 v[118:119], v71, v[38:39]
	s_delay_alu instid0(VALU_DEP_2) | instskip(NEXT) | instid1(VALU_DEP_2)
	v_cmp_eq_u64_e64 s7, v[62:63], v[40:41]
	v_mov_b64_e32 v[40:41], v[118:119]
	s_and_saveexec_b32 s28, s7
; %bb.3040:                             ;   in Loop: Header=BB2_3016 Depth=2
	v_bfe_u32 v38, v118, 21, 1
	s_delay_alu instid0(VALU_DEP_1) | instskip(NEXT) | instid1(VALU_DEP_1)
	v_add_nc_u64_e32 v[40:41], v[118:119], v[38:39]
	v_add_nc_u64_e32 v[40:41], -1, v[40:41]
; %bb.3041:                             ;   in Loop: Header=BB2_3016 Depth=2
	s_or_b32 exec_lo, exec_lo, s28
	v_add_nc_u32_e32 v38, 0xffffff81, v69
	v_lshrrev_b32_e32 v69, 23, v118
	s_mov_b32 s7, exec_lo
	s_delay_alu instid0(VALU_DEP_2) | instskip(NEXT) | instid1(VALU_DEP_1)
	v_cndmask_b32_e64 v38, v38, 0xffffff82, vcc_lo
	v_add3_u32 v71, v71, v38, v69
	v_and_b32_e32 v38, 0x1fffff, v40
                                        ; implicit-def: $vgpr69
	s_delay_alu instid0(VALU_DEP_1) | instskip(NEXT) | instid1(VALU_DEP_1)
	v_dual_add_nc_u32 v81, 14, v71 :: v_dual_add_nc_u32 v38, v38, v118
                                        ; implicit-def: $vgpr118_vgpr119
	v_cmpx_ne_u32_e32 0, v81
	s_xor_b32 s7, exec_lo, s7
; %bb.3042:                             ;   in Loop: Header=BB2_3016 Depth=2
	s_delay_alu instid0(VALU_DEP_2) | instskip(SKIP_2) | instid1(VALU_DEP_2)
	v_cmp_lt_u64_e32 vcc_lo, 0xffffff, v[38:39]
	v_add_nc_u32_e32 v69, 15, v71
	v_cndmask_b32_e64 v71, 0, 1, vcc_lo
	v_cndmask_b32_e32 v69, v81, v69, vcc_lo
	s_delay_alu instid0(VALU_DEP_2)
	v_lshrrev_b64 v[118:119], v71, v[38:39]
; %bb.3043:                             ;   in Loop: Header=BB2_3016 Depth=2
	s_and_not1_saveexec_b32 s7, s7
; %bb.3044:                             ;   in Loop: Header=BB2_3016 Depth=2
	v_mov_b64_e32 v[118:119], v[38:39]
	v_bfe_u32 v69, v38, 23, 1
; %bb.3045:                             ;   in Loop: Header=BB2_3016 Depth=2
	s_or_b32 exec_lo, exec_lo, s7
	s_delay_alu instid0(VALU_DEP_2) | instskip(NEXT) | instid1(VALU_DEP_2)
	v_lshrrev_b64 v[118:119], 21, v[118:119]
	v_cmp_gt_i32_e32 vcc_lo, 32, v69
	v_cmp_ne_u32_e64 s7, 0, v69
	s_delay_alu instid0(VALU_DEP_3) | instskip(NEXT) | instid1(VALU_DEP_1)
	v_dual_cndmask_b32 v119, 0, v119 :: v_dual_cndmask_b32 v118, 3, v118
	v_cmp_ne_u64_e32 vcc_lo, 0, v[118:119]
                                        ; implicit-def: $vgpr119
	s_or_b32 s7, s7, vcc_lo
	s_delay_alu instid0(SALU_CYCLE_1) | instskip(NEXT) | instid1(SALU_CYCLE_1)
	s_and_saveexec_b32 s28, s7
	s_xor_b32 s7, exec_lo, s28
; %bb.3046:                             ;   in Loop: Header=BB2_3016 Depth=2
	v_min_i32_e32 v38, 31, v69
	s_delay_alu instid0(VALU_DEP_1) | instskip(NEXT) | instid1(VALU_DEP_1)
	v_lshl_or_b32 v17, v38, 2, v17
	v_and_or_b32 v119, v118, 3, v17
                                        ; implicit-def: $vgpr17
; %bb.3047:                             ;   in Loop: Header=BB2_3016 Depth=2
	s_and_not1_saveexec_b32 s7, s7
; %bb.3048:                             ;   in Loop: Header=BB2_3016 Depth=2
	v_mov_b32_e32 v119, v17
; %bb.3049:                             ;   in Loop: Header=BB2_3016 Depth=2
	s_or_b32 exec_lo, exec_lo, s7
.LBB2_3050:                             ;   in Loop: Header=BB2_3016 Depth=2
	s_delay_alu instid0(SALU_CYCLE_1)
	s_or_b32 exec_lo, exec_lo, s27
                                        ; implicit-def: $vgpr17
.LBB2_3051:                             ;   in Loop: Header=BB2_3016 Depth=2
	s_and_not1_saveexec_b32 s7, s26
; %bb.3052:                             ;   in Loop: Header=BB2_3016 Depth=2
	v_or_b32_e32 v119, 0x7b, v17
; %bb.3053:                             ;   in Loop: Header=BB2_3016 Depth=2
	s_or_b32 exec_lo, exec_lo, s7
                                        ; implicit-def: $vgpr69
.LBB2_3054:                             ;   in Loop: Header=BB2_3016 Depth=2
	s_and_not1_saveexec_b32 s7, s25
	s_cbranch_execz .LBB2_3060
; %bb.3055:                             ;   in Loop: Header=BB2_3016 Depth=2
	s_mov_b32 s25, exec_lo
                                        ; implicit-def: $vgpr119
	v_cmpx_ne_u64_e32 0, v[38:39]
	s_xor_b32 s25, exec_lo, s25
; %bb.3056:                             ;   in Loop: Header=BB2_3016 Depth=2
	v_lshrrev_b32_e32 v17, 24, v69
                                        ; implicit-def: $vgpr69
	s_delay_alu instid0(VALU_DEP_1)
	v_or_b32_e32 v119, 0x7f, v17
; %bb.3057:                             ;   in Loop: Header=BB2_3016 Depth=2
	s_and_not1_saveexec_b32 s25, s25
; %bb.3058:                             ;   in Loop: Header=BB2_3016 Depth=2
	v_cmp_lt_i32_e32 vcc_lo, -1, v69
	v_cndmask_b32_e64 v119, -4, 0x7c, vcc_lo
; %bb.3059:                             ;   in Loop: Header=BB2_3016 Depth=2
	s_or_b32 exec_lo, exec_lo, s25
.LBB2_3060:                             ;   in Loop: Header=BB2_3016 Depth=2
	s_delay_alu instid0(SALU_CYCLE_1)
	s_or_b32 exec_lo, exec_lo, s7
	v_dual_mov_b32 v17, 0 :: v_dual_mov_b32 v38, 0
	s_mov_b32 s7, exec_lo
	v_cmpx_ne_u16_e32 0, v116
	s_cbranch_execz .LBB2_3070
; %bb.3061:                             ;   in Loop: Header=BB2_3016 Depth=2
	v_bfrev_b32_e32 v38, 1
	s_mov_b32 s25, exec_lo
	v_cmpx_ne_u16_e32 0xff80, v116
	s_cbranch_execz .LBB2_3069
; %bb.3062:                             ;   in Loop: Header=BB2_3016 Depth=2
	v_and_b32_e32 v38, 0x7c, v116
	v_and_b32_e32 v69, 3, v116
	s_delay_alu instid0(VALU_DEP_2) | instskip(SKIP_1) | instid1(SALU_CYCLE_1)
	v_cmp_ne_u32_e32 vcc_lo, 0x7c, v38
                                        ; implicit-def: $vgpr38
	s_and_saveexec_b32 s26, vcc_lo
	s_xor_b32 s26, exec_lo, s26
	s_cbranch_execz .LBB2_3066
; %bb.3063:                             ;   in Loop: Header=BB2_3016 Depth=2
	v_and_b32_e32 v38, 0xff, v116
	s_mov_b32 s27, exec_lo
	s_delay_alu instid0(VALU_DEP_1) | instskip(NEXT) | instid1(VALU_DEP_1)
	v_bfe_u32 v38, v38, 2, 5
	v_cmpx_eq_u32_e32 0, v38
	s_cbranch_execz .LBB2_3065
; %bb.3064:                             ;   in Loop: Header=BB2_3016 Depth=2
	v_clz_i32_u32_e32 v38, v69
	s_delay_alu instid0(VALU_DEP_1) | instskip(SKIP_1) | instid1(VALU_DEP_2)
	v_min_u32_e32 v38, 32, v38
	v_mov_b32_e32 v117, v39
	v_subrev_nc_u32_e32 v69, 29, v38
	v_sub_nc_u32_e32 v38, 30, v38
	s_delay_alu instid0(VALU_DEP_2) | instskip(NEXT) | instid1(VALU_DEP_1)
	v_lshlrev_b64_e32 v[40:41], v69, v[116:117]
	v_and_b32_e32 v69, 3, v40
.LBB2_3065:                             ;   in Loop: Header=BB2_3016 Depth=2
	s_or_b32 exec_lo, exec_lo, s27
	v_bfe_i32 v71, v116, 0, 16
                                        ; implicit-def: $vgpr116
	s_delay_alu instid0(VALU_DEP_1) | instskip(NEXT) | instid1(VALU_DEP_1)
	v_and_b32_e32 v71, 0x80000000, v71
	v_lshl_add_u32 v38, v38, 23, v71
	s_delay_alu instid0(VALU_DEP_1) | instskip(NEXT) | instid1(VALU_DEP_1)
	v_lshl_or_b32 v38, v69, 21, v38
                                        ; implicit-def: $vgpr69
	v_add_nc_u32_e32 v38, 0x38000000, v38
.LBB2_3066:                             ;   in Loop: Header=BB2_3016 Depth=2
	s_and_not1_saveexec_b32 s26, s26
; %bb.3067:                             ;   in Loop: Header=BB2_3016 Depth=2
	v_cmp_lt_i16_e32 vcc_lo, -1, v116
	v_cndmask_b32_e32 v38, 0xff800000, v45, vcc_lo
	v_cmp_eq_u32_e32 vcc_lo, 0, v69
	s_delay_alu instid0(VALU_DEP_2)
	v_cndmask_b32_e32 v38, 0x7f800001, v38, vcc_lo
; %bb.3068:                             ;   in Loop: Header=BB2_3016 Depth=2
	s_or_b32 exec_lo, exec_lo, s26
.LBB2_3069:                             ;   in Loop: Header=BB2_3016 Depth=2
	s_delay_alu instid0(SALU_CYCLE_1)
	s_or_b32 exec_lo, exec_lo, s25
.LBB2_3070:                             ;   in Loop: Header=BB2_3016 Depth=2
	s_delay_alu instid0(SALU_CYCLE_1) | instskip(NEXT) | instid1(SALU_CYCLE_1)
	s_or_b32 exec_lo, exec_lo, s7
	s_mov_b32 s7, exec_lo
	s_wait_loadcnt_dscnt 0x606
	v_cmpx_ne_u16_e32 0, v114
	s_cbranch_execz .LBB2_3080
; %bb.3071:                             ;   in Loop: Header=BB2_3016 Depth=2
	v_bfrev_b32_e32 v17, 1
	s_mov_b32 s25, exec_lo
	v_cmpx_ne_u16_e32 0xff80, v114
	s_cbranch_execz .LBB2_3079
; %bb.3072:                             ;   in Loop: Header=BB2_3016 Depth=2
	v_and_b32_e32 v17, 0x7c, v114
	v_and_b32_e32 v69, 3, v114
	s_delay_alu instid0(VALU_DEP_2) | instskip(SKIP_1) | instid1(SALU_CYCLE_1)
	v_cmp_ne_u32_e32 vcc_lo, 0x7c, v17
                                        ; implicit-def: $vgpr17
	s_and_saveexec_b32 s26, vcc_lo
	s_xor_b32 s26, exec_lo, s26
	s_cbranch_execz .LBB2_3076
; %bb.3073:                             ;   in Loop: Header=BB2_3016 Depth=2
	v_and_b32_e32 v17, 0xff, v114
	s_mov_b32 s27, exec_lo
	s_delay_alu instid0(VALU_DEP_1) | instskip(NEXT) | instid1(VALU_DEP_1)
	v_bfe_u32 v17, v17, 2, 5
	v_cmpx_eq_u32_e32 0, v17
	s_cbranch_execz .LBB2_3075
; %bb.3074:                             ;   in Loop: Header=BB2_3016 Depth=2
	v_clz_i32_u32_e32 v17, v69
	s_delay_alu instid0(VALU_DEP_1) | instskip(SKIP_1) | instid1(VALU_DEP_2)
	v_min_u32_e32 v17, 32, v17
	v_mov_b32_e32 v115, v39
	v_subrev_nc_u32_e32 v69, 29, v17
	v_sub_nc_u32_e32 v17, 30, v17
	s_delay_alu instid0(VALU_DEP_2) | instskip(NEXT) | instid1(VALU_DEP_1)
	v_lshlrev_b64_e32 v[116:117], v69, v[114:115]
	v_and_b32_e32 v69, 3, v116
.LBB2_3075:                             ;   in Loop: Header=BB2_3016 Depth=2
	s_or_b32 exec_lo, exec_lo, s27
	v_bfe_i32 v71, v114, 0, 16
                                        ; implicit-def: $vgpr114
	s_delay_alu instid0(VALU_DEP_1) | instskip(NEXT) | instid1(VALU_DEP_1)
	v_and_b32_e32 v71, 0x80000000, v71
	v_lshl_add_u32 v17, v17, 23, v71
	s_delay_alu instid0(VALU_DEP_1) | instskip(NEXT) | instid1(VALU_DEP_1)
	v_lshl_or_b32 v17, v69, 21, v17
                                        ; implicit-def: $vgpr69
	v_add_nc_u32_e32 v17, 0x38000000, v17
.LBB2_3076:                             ;   in Loop: Header=BB2_3016 Depth=2
	s_and_not1_saveexec_b32 s26, s26
; %bb.3077:                             ;   in Loop: Header=BB2_3016 Depth=2
	v_cmp_lt_i16_e32 vcc_lo, -1, v114
	v_cndmask_b32_e32 v17, 0xff800000, v45, vcc_lo
	v_cmp_eq_u32_e32 vcc_lo, 0, v69
	s_delay_alu instid0(VALU_DEP_2)
	v_cndmask_b32_e32 v17, 0x7f800001, v17, vcc_lo
; %bb.3078:                             ;   in Loop: Header=BB2_3016 Depth=2
	s_or_b32 exec_lo, exec_lo, s26
.LBB2_3079:                             ;   in Loop: Header=BB2_3016 Depth=2
	s_delay_alu instid0(SALU_CYCLE_1)
	s_or_b32 exec_lo, exec_lo, s25
.LBB2_3080:                             ;   in Loop: Header=BB2_3016 Depth=2
	s_delay_alu instid0(SALU_CYCLE_1) | instskip(NEXT) | instid1(VALU_DEP_1)
	s_or_b32 exec_lo, exec_lo, s7
	v_dual_mul_f32 v69, v38, v17 :: v_dual_mov_b32 v115, v39
	s_delay_alu instid0(VALU_DEP_1) | instskip(SKIP_1) | instid1(VALU_DEP_2)
	v_and_b32_e32 v114, 0x7f800000, v69
	v_and_b32_e32 v38, 0x7fffff, v69
	v_cmp_ne_u64_e32 vcc_lo, 0x7f800000, v[114:115]
                                        ; implicit-def: $vgpr115
	s_and_saveexec_b32 s7, vcc_lo
	s_delay_alu instid0(SALU_CYCLE_1)
	s_xor_b32 s25, exec_lo, s7
	s_cbranch_execz .LBB2_3098
; %bb.3081:                             ;   in Loop: Header=BB2_3016 Depth=2
	v_and_b32_e32 v114, 0x7fffffff, v69
	v_dual_mov_b32 v115, v39 :: v_dual_lshrrev_b32 v17, 24, v69
	s_delay_alu instid0(VALU_DEP_1) | instskip(NEXT) | instid1(VALU_DEP_2)
	v_cmp_gt_u64_e32 vcc_lo, 0x47600001, v[114:115]
	v_and_b32_e32 v17, 0x80, v17
                                        ; implicit-def: $vgpr115
	s_and_saveexec_b32 s7, vcc_lo
	s_delay_alu instid0(SALU_CYCLE_1)
	s_xor_b32 s26, exec_lo, s7
	s_cbranch_execz .LBB2_3095
; %bb.3082:                             ;   in Loop: Header=BB2_3016 Depth=2
	v_mov_b32_e32 v115, 0
	s_mov_b32 s27, exec_lo
	v_cmpx_ne_u32_e32 0, v69
	s_cbranch_execz .LBB2_3094
; %bb.3083:                             ;   in Loop: Header=BB2_3016 Depth=2
	v_bfe_u32 v69, v69, 23, 8
	v_or_b32_e32 v83, 0x800000, v38
	s_delay_alu instid0(VALU_DEP_2) | instskip(SKIP_1) | instid1(VALU_DEP_2)
	v_sub_nc_u32_e32 v71, 0x71, v69
	v_cmp_gt_u32_e32 vcc_lo, 0x72, v69
	v_cndmask_b32_e32 v71, 0, v71, vcc_lo
	v_cmp_eq_u32_e32 vcc_lo, 0, v69
	s_delay_alu instid0(VALU_DEP_2) | instskip(NEXT) | instid1(VALU_DEP_1)
	v_cndmask_b32_e64 v71, v71, 0x70, vcc_lo
	v_dual_cndmask_b32 v38, v83, v38 :: v_dual_add_nc_u32 v81, 21, v71
	s_delay_alu instid0(VALU_DEP_1) | instskip(SKIP_1) | instid1(VALU_DEP_1)
	v_lshlrev_b64_e64 v[114:115], v81, -1
	v_add_nc_u32_e32 v81, 20, v71
	v_lshlrev_b64_e64 v[116:117], v81, 1
	s_delay_alu instid0(VALU_DEP_3) | instskip(NEXT) | instid1(VALU_DEP_4)
	v_bfi_b32 v41, v115, 0, 0
	v_bfi_b32 v40, v114, 0, v38
	v_lshrrev_b64 v[114:115], v71, v[38:39]
	s_delay_alu instid0(VALU_DEP_2) | instskip(NEXT) | instid1(VALU_DEP_2)
	v_cmp_eq_u64_e64 s7, v[40:41], v[116:117]
	v_mov_b64_e32 v[116:117], v[114:115]
	s_and_saveexec_b32 s28, s7
; %bb.3084:                             ;   in Loop: Header=BB2_3016 Depth=2
	v_bfe_u32 v38, v114, 21, 1
	s_delay_alu instid0(VALU_DEP_1) | instskip(NEXT) | instid1(VALU_DEP_1)
	v_add_nc_u64_e32 v[116:117], v[114:115], v[38:39]
	v_add_nc_u64_e32 v[116:117], -1, v[116:117]
; %bb.3085:                             ;   in Loop: Header=BB2_3016 Depth=2
	s_or_b32 exec_lo, exec_lo, s28
	v_add_nc_u32_e32 v38, 0xffffff81, v69
	v_lshrrev_b32_e32 v69, 23, v114
	s_mov_b32 s7, exec_lo
	s_delay_alu instid0(VALU_DEP_2) | instskip(NEXT) | instid1(VALU_DEP_1)
	v_cndmask_b32_e64 v38, v38, 0xffffff82, vcc_lo
	v_add3_u32 v71, v71, v38, v69
	v_and_b32_e32 v38, 0x1fffff, v116
                                        ; implicit-def: $vgpr69
	s_delay_alu instid0(VALU_DEP_1) | instskip(NEXT) | instid1(VALU_DEP_1)
	v_dual_add_nc_u32 v81, 14, v71 :: v_dual_add_nc_u32 v38, v38, v114
                                        ; implicit-def: $vgpr114_vgpr115
	v_cmpx_ne_u32_e32 0, v81
	s_xor_b32 s7, exec_lo, s7
; %bb.3086:                             ;   in Loop: Header=BB2_3016 Depth=2
	s_delay_alu instid0(VALU_DEP_2) | instskip(SKIP_2) | instid1(VALU_DEP_2)
	v_cmp_lt_u64_e32 vcc_lo, 0xffffff, v[38:39]
	v_add_nc_u32_e32 v69, 15, v71
	v_cndmask_b32_e64 v71, 0, 1, vcc_lo
	v_cndmask_b32_e32 v69, v81, v69, vcc_lo
	s_delay_alu instid0(VALU_DEP_2)
	v_lshrrev_b64 v[114:115], v71, v[38:39]
; %bb.3087:                             ;   in Loop: Header=BB2_3016 Depth=2
	s_and_not1_saveexec_b32 s7, s7
; %bb.3088:                             ;   in Loop: Header=BB2_3016 Depth=2
	v_mov_b64_e32 v[114:115], v[38:39]
	v_bfe_u32 v69, v38, 23, 1
; %bb.3089:                             ;   in Loop: Header=BB2_3016 Depth=2
	s_or_b32 exec_lo, exec_lo, s7
	s_delay_alu instid0(VALU_DEP_2) | instskip(NEXT) | instid1(VALU_DEP_2)
	v_lshrrev_b64 v[114:115], 21, v[114:115]
	v_cmp_gt_i32_e32 vcc_lo, 32, v69
	v_cmp_ne_u32_e64 s7, 0, v69
	s_delay_alu instid0(VALU_DEP_3) | instskip(NEXT) | instid1(VALU_DEP_1)
	v_dual_cndmask_b32 v115, 0, v115 :: v_dual_cndmask_b32 v114, 3, v114
	v_cmp_ne_u64_e32 vcc_lo, 0, v[114:115]
                                        ; implicit-def: $vgpr115
	s_or_b32 s7, s7, vcc_lo
	s_delay_alu instid0(SALU_CYCLE_1) | instskip(NEXT) | instid1(SALU_CYCLE_1)
	s_and_saveexec_b32 s28, s7
	s_xor_b32 s7, exec_lo, s28
; %bb.3090:                             ;   in Loop: Header=BB2_3016 Depth=2
	v_min_i32_e32 v38, 31, v69
	s_delay_alu instid0(VALU_DEP_1) | instskip(NEXT) | instid1(VALU_DEP_1)
	v_lshl_or_b32 v17, v38, 2, v17
	v_and_or_b32 v115, v114, 3, v17
                                        ; implicit-def: $vgpr17
; %bb.3091:                             ;   in Loop: Header=BB2_3016 Depth=2
	s_and_not1_saveexec_b32 s7, s7
; %bb.3092:                             ;   in Loop: Header=BB2_3016 Depth=2
	v_mov_b32_e32 v115, v17
; %bb.3093:                             ;   in Loop: Header=BB2_3016 Depth=2
	s_or_b32 exec_lo, exec_lo, s7
.LBB2_3094:                             ;   in Loop: Header=BB2_3016 Depth=2
	s_delay_alu instid0(SALU_CYCLE_1)
	s_or_b32 exec_lo, exec_lo, s27
                                        ; implicit-def: $vgpr17
.LBB2_3095:                             ;   in Loop: Header=BB2_3016 Depth=2
	s_and_not1_saveexec_b32 s7, s26
; %bb.3096:                             ;   in Loop: Header=BB2_3016 Depth=2
	v_or_b32_e32 v115, 0x7b, v17
; %bb.3097:                             ;   in Loop: Header=BB2_3016 Depth=2
	s_or_b32 exec_lo, exec_lo, s7
                                        ; implicit-def: $vgpr69
.LBB2_3098:                             ;   in Loop: Header=BB2_3016 Depth=2
	s_and_not1_saveexec_b32 s7, s25
	s_cbranch_execz .LBB2_3104
; %bb.3099:                             ;   in Loop: Header=BB2_3016 Depth=2
	s_mov_b32 s25, exec_lo
                                        ; implicit-def: $vgpr115
	v_cmpx_ne_u64_e32 0, v[38:39]
	s_xor_b32 s25, exec_lo, s25
; %bb.3100:                             ;   in Loop: Header=BB2_3016 Depth=2
	v_lshrrev_b32_e32 v17, 24, v69
                                        ; implicit-def: $vgpr69
	s_delay_alu instid0(VALU_DEP_1)
	v_or_b32_e32 v115, 0x7f, v17
; %bb.3101:                             ;   in Loop: Header=BB2_3016 Depth=2
	s_and_not1_saveexec_b32 s25, s25
; %bb.3102:                             ;   in Loop: Header=BB2_3016 Depth=2
	v_cmp_lt_i32_e32 vcc_lo, -1, v69
	v_cndmask_b32_e64 v115, -4, 0x7c, vcc_lo
; %bb.3103:                             ;   in Loop: Header=BB2_3016 Depth=2
	s_or_b32 exec_lo, exec_lo, s25
.LBB2_3104:                             ;   in Loop: Header=BB2_3016 Depth=2
	s_delay_alu instid0(SALU_CYCLE_1)
	s_or_b32 exec_lo, exec_lo, s7
	v_dual_mov_b32 v17, 0 :: v_dual_mov_b32 v38, 0
	s_mov_b32 s7, exec_lo
	v_cmpx_ne_u16_e32 0, v112
	s_cbranch_execz .LBB2_3114
; %bb.3105:                             ;   in Loop: Header=BB2_3016 Depth=2
	v_bfrev_b32_e32 v38, 1
	s_mov_b32 s25, exec_lo
	v_cmpx_ne_u16_e32 0xff80, v112
	s_cbranch_execz .LBB2_3113
; %bb.3106:                             ;   in Loop: Header=BB2_3016 Depth=2
	v_and_b32_e32 v38, 0x7c, v112
	v_and_b32_e32 v69, 3, v112
	s_delay_alu instid0(VALU_DEP_2) | instskip(SKIP_1) | instid1(SALU_CYCLE_1)
	v_cmp_ne_u32_e32 vcc_lo, 0x7c, v38
                                        ; implicit-def: $vgpr38
	s_and_saveexec_b32 s26, vcc_lo
	s_xor_b32 s26, exec_lo, s26
	s_cbranch_execz .LBB2_3110
; %bb.3107:                             ;   in Loop: Header=BB2_3016 Depth=2
	v_and_b32_e32 v38, 0xff, v112
	s_mov_b32 s27, exec_lo
	s_delay_alu instid0(VALU_DEP_1) | instskip(NEXT) | instid1(VALU_DEP_1)
	v_bfe_u32 v38, v38, 2, 5
	v_cmpx_eq_u32_e32 0, v38
	s_cbranch_execz .LBB2_3109
; %bb.3108:                             ;   in Loop: Header=BB2_3016 Depth=2
	v_clz_i32_u32_e32 v38, v69
	s_delay_alu instid0(VALU_DEP_1) | instskip(SKIP_1) | instid1(VALU_DEP_2)
	v_min_u32_e32 v38, 32, v38
	v_mov_b32_e32 v113, v39
	v_subrev_nc_u32_e32 v69, 29, v38
	v_sub_nc_u32_e32 v38, 30, v38
	s_delay_alu instid0(VALU_DEP_2) | instskip(NEXT) | instid1(VALU_DEP_1)
	v_lshlrev_b64_e32 v[116:117], v69, v[112:113]
	v_and_b32_e32 v69, 3, v116
.LBB2_3109:                             ;   in Loop: Header=BB2_3016 Depth=2
	s_or_b32 exec_lo, exec_lo, s27
	v_bfe_i32 v71, v112, 0, 16
                                        ; implicit-def: $vgpr112
	s_delay_alu instid0(VALU_DEP_1) | instskip(NEXT) | instid1(VALU_DEP_1)
	v_and_b32_e32 v71, 0x80000000, v71
	v_lshl_add_u32 v38, v38, 23, v71
	s_delay_alu instid0(VALU_DEP_1) | instskip(NEXT) | instid1(VALU_DEP_1)
	v_lshl_or_b32 v38, v69, 21, v38
                                        ; implicit-def: $vgpr69
	v_add_nc_u32_e32 v38, 0x38000000, v38
.LBB2_3110:                             ;   in Loop: Header=BB2_3016 Depth=2
	s_and_not1_saveexec_b32 s26, s26
; %bb.3111:                             ;   in Loop: Header=BB2_3016 Depth=2
	v_cmp_lt_i16_e32 vcc_lo, -1, v112
	v_cndmask_b32_e32 v38, 0xff800000, v45, vcc_lo
	v_cmp_eq_u32_e32 vcc_lo, 0, v69
	s_delay_alu instid0(VALU_DEP_2)
	v_cndmask_b32_e32 v38, 0x7f800001, v38, vcc_lo
; %bb.3112:                             ;   in Loop: Header=BB2_3016 Depth=2
	s_or_b32 exec_lo, exec_lo, s26
.LBB2_3113:                             ;   in Loop: Header=BB2_3016 Depth=2
	s_delay_alu instid0(SALU_CYCLE_1)
	s_or_b32 exec_lo, exec_lo, s25
.LBB2_3114:                             ;   in Loop: Header=BB2_3016 Depth=2
	s_delay_alu instid0(SALU_CYCLE_1) | instskip(NEXT) | instid1(SALU_CYCLE_1)
	s_or_b32 exec_lo, exec_lo, s7
	s_mov_b32 s7, exec_lo
	s_wait_loadcnt_dscnt 0x505
	v_cmpx_ne_u16_e32 0, v102
	s_cbranch_execz .LBB2_3124
; %bb.3115:                             ;   in Loop: Header=BB2_3016 Depth=2
	v_bfrev_b32_e32 v17, 1
	s_mov_b32 s25, exec_lo
	v_cmpx_ne_u16_e32 0xff80, v102
	s_cbranch_execz .LBB2_3123
; %bb.3116:                             ;   in Loop: Header=BB2_3016 Depth=2
	v_and_b32_e32 v17, 0x7c, v102
	v_and_b32_e32 v69, 3, v102
	s_delay_alu instid0(VALU_DEP_2) | instskip(SKIP_1) | instid1(SALU_CYCLE_1)
	v_cmp_ne_u32_e32 vcc_lo, 0x7c, v17
                                        ; implicit-def: $vgpr17
	s_and_saveexec_b32 s26, vcc_lo
	s_xor_b32 s26, exec_lo, s26
	s_cbranch_execz .LBB2_3120
; %bb.3117:                             ;   in Loop: Header=BB2_3016 Depth=2
	v_and_b32_e32 v17, 0xff, v102
	s_mov_b32 s27, exec_lo
	s_delay_alu instid0(VALU_DEP_1) | instskip(NEXT) | instid1(VALU_DEP_1)
	v_bfe_u32 v17, v17, 2, 5
	v_cmpx_eq_u32_e32 0, v17
	s_cbranch_execz .LBB2_3119
; %bb.3118:                             ;   in Loop: Header=BB2_3016 Depth=2
	v_clz_i32_u32_e32 v17, v69
	s_delay_alu instid0(VALU_DEP_1) | instskip(SKIP_1) | instid1(VALU_DEP_2)
	v_min_u32_e32 v17, 32, v17
	v_mov_b32_e32 v103, v39
	v_subrev_nc_u32_e32 v69, 29, v17
	v_sub_nc_u32_e32 v17, 30, v17
	s_delay_alu instid0(VALU_DEP_2) | instskip(NEXT) | instid1(VALU_DEP_1)
	v_lshlrev_b64_e32 v[112:113], v69, v[102:103]
	v_and_b32_e32 v69, 3, v112
.LBB2_3119:                             ;   in Loop: Header=BB2_3016 Depth=2
	s_or_b32 exec_lo, exec_lo, s27
	v_bfe_i32 v71, v102, 0, 16
                                        ; implicit-def: $vgpr102
	s_delay_alu instid0(VALU_DEP_1) | instskip(NEXT) | instid1(VALU_DEP_1)
	v_and_b32_e32 v71, 0x80000000, v71
	v_lshl_add_u32 v17, v17, 23, v71
	s_delay_alu instid0(VALU_DEP_1) | instskip(NEXT) | instid1(VALU_DEP_1)
	v_lshl_or_b32 v17, v69, 21, v17
                                        ; implicit-def: $vgpr69
	v_add_nc_u32_e32 v17, 0x38000000, v17
.LBB2_3120:                             ;   in Loop: Header=BB2_3016 Depth=2
	s_and_not1_saveexec_b32 s26, s26
; %bb.3121:                             ;   in Loop: Header=BB2_3016 Depth=2
	v_cmp_lt_i16_e32 vcc_lo, -1, v102
	v_cndmask_b32_e32 v17, 0xff800000, v45, vcc_lo
	v_cmp_eq_u32_e32 vcc_lo, 0, v69
	s_delay_alu instid0(VALU_DEP_2)
	v_cndmask_b32_e32 v17, 0x7f800001, v17, vcc_lo
; %bb.3122:                             ;   in Loop: Header=BB2_3016 Depth=2
	s_or_b32 exec_lo, exec_lo, s26
.LBB2_3123:                             ;   in Loop: Header=BB2_3016 Depth=2
	s_delay_alu instid0(SALU_CYCLE_1)
	s_or_b32 exec_lo, exec_lo, s25
.LBB2_3124:                             ;   in Loop: Header=BB2_3016 Depth=2
	s_delay_alu instid0(SALU_CYCLE_1) | instskip(NEXT) | instid1(VALU_DEP_1)
	s_or_b32 exec_lo, exec_lo, s7
	v_dual_mul_f32 v69, v38, v17 :: v_dual_mov_b32 v103, v39
	s_delay_alu instid0(VALU_DEP_1) | instskip(SKIP_1) | instid1(VALU_DEP_2)
	v_and_b32_e32 v102, 0x7f800000, v69
	v_and_b32_e32 v38, 0x7fffff, v69
	v_cmp_ne_u64_e32 vcc_lo, 0x7f800000, v[102:103]
                                        ; implicit-def: $vgpr103
	s_and_saveexec_b32 s7, vcc_lo
	s_delay_alu instid0(SALU_CYCLE_1)
	s_xor_b32 s25, exec_lo, s7
	s_cbranch_execz .LBB2_3142
; %bb.3125:                             ;   in Loop: Header=BB2_3016 Depth=2
	v_and_b32_e32 v102, 0x7fffffff, v69
	v_dual_mov_b32 v103, v39 :: v_dual_lshrrev_b32 v17, 24, v69
	s_delay_alu instid0(VALU_DEP_1) | instskip(NEXT) | instid1(VALU_DEP_2)
	v_cmp_gt_u64_e32 vcc_lo, 0x47600001, v[102:103]
	v_and_b32_e32 v17, 0x80, v17
                                        ; implicit-def: $vgpr103
	s_and_saveexec_b32 s7, vcc_lo
	s_delay_alu instid0(SALU_CYCLE_1)
	s_xor_b32 s26, exec_lo, s7
	s_cbranch_execz .LBB2_3139
; %bb.3126:                             ;   in Loop: Header=BB2_3016 Depth=2
	v_mov_b32_e32 v103, 0
	s_mov_b32 s27, exec_lo
	v_cmpx_ne_u32_e32 0, v69
	s_cbranch_execz .LBB2_3138
; %bb.3127:                             ;   in Loop: Header=BB2_3016 Depth=2
	v_bfe_u32 v69, v69, 23, 8
	v_or_b32_e32 v83, 0x800000, v38
	s_delay_alu instid0(VALU_DEP_2) | instskip(SKIP_1) | instid1(VALU_DEP_2)
	v_sub_nc_u32_e32 v71, 0x71, v69
	v_cmp_gt_u32_e32 vcc_lo, 0x72, v69
	v_cndmask_b32_e32 v71, 0, v71, vcc_lo
	v_cmp_eq_u32_e32 vcc_lo, 0, v69
	s_delay_alu instid0(VALU_DEP_2) | instskip(NEXT) | instid1(VALU_DEP_1)
	v_cndmask_b32_e64 v71, v71, 0x70, vcc_lo
	v_dual_cndmask_b32 v38, v83, v38 :: v_dual_add_nc_u32 v81, 21, v71
	s_delay_alu instid0(VALU_DEP_1) | instskip(SKIP_1) | instid1(VALU_DEP_1)
	v_lshlrev_b64_e64 v[102:103], v81, -1
	v_add_nc_u32_e32 v81, 20, v71
	v_lshlrev_b64_e64 v[112:113], v81, 1
	s_delay_alu instid0(VALU_DEP_3) | instskip(NEXT) | instid1(VALU_DEP_4)
	v_bfi_b32 v117, v103, 0, 0
	v_bfi_b32 v116, v102, 0, v38
	v_lshrrev_b64 v[102:103], v71, v[38:39]
	s_delay_alu instid0(VALU_DEP_2) | instskip(NEXT) | instid1(VALU_DEP_2)
	v_cmp_eq_u64_e64 s7, v[116:117], v[112:113]
	v_mov_b64_e32 v[112:113], v[102:103]
	s_and_saveexec_b32 s28, s7
; %bb.3128:                             ;   in Loop: Header=BB2_3016 Depth=2
	v_bfe_u32 v38, v102, 21, 1
	s_delay_alu instid0(VALU_DEP_1) | instskip(NEXT) | instid1(VALU_DEP_1)
	v_add_nc_u64_e32 v[112:113], v[102:103], v[38:39]
	v_add_nc_u64_e32 v[112:113], -1, v[112:113]
; %bb.3129:                             ;   in Loop: Header=BB2_3016 Depth=2
	s_or_b32 exec_lo, exec_lo, s28
	v_add_nc_u32_e32 v38, 0xffffff81, v69
	v_lshrrev_b32_e32 v69, 23, v102
	s_mov_b32 s7, exec_lo
	s_delay_alu instid0(VALU_DEP_2) | instskip(NEXT) | instid1(VALU_DEP_1)
	v_cndmask_b32_e64 v38, v38, 0xffffff82, vcc_lo
	v_add3_u32 v71, v71, v38, v69
	v_and_b32_e32 v38, 0x1fffff, v112
                                        ; implicit-def: $vgpr69
	s_delay_alu instid0(VALU_DEP_1) | instskip(NEXT) | instid1(VALU_DEP_1)
	v_dual_add_nc_u32 v81, 14, v71 :: v_dual_add_nc_u32 v38, v38, v102
                                        ; implicit-def: $vgpr102_vgpr103
	v_cmpx_ne_u32_e32 0, v81
	s_xor_b32 s7, exec_lo, s7
; %bb.3130:                             ;   in Loop: Header=BB2_3016 Depth=2
	s_delay_alu instid0(VALU_DEP_2) | instskip(SKIP_2) | instid1(VALU_DEP_2)
	v_cmp_lt_u64_e32 vcc_lo, 0xffffff, v[38:39]
	v_add_nc_u32_e32 v69, 15, v71
	v_cndmask_b32_e64 v71, 0, 1, vcc_lo
	v_cndmask_b32_e32 v69, v81, v69, vcc_lo
	s_delay_alu instid0(VALU_DEP_2)
	v_lshrrev_b64 v[102:103], v71, v[38:39]
; %bb.3131:                             ;   in Loop: Header=BB2_3016 Depth=2
	s_and_not1_saveexec_b32 s7, s7
; %bb.3132:                             ;   in Loop: Header=BB2_3016 Depth=2
	v_mov_b64_e32 v[102:103], v[38:39]
	v_bfe_u32 v69, v38, 23, 1
; %bb.3133:                             ;   in Loop: Header=BB2_3016 Depth=2
	s_or_b32 exec_lo, exec_lo, s7
	s_delay_alu instid0(VALU_DEP_2) | instskip(NEXT) | instid1(VALU_DEP_2)
	v_lshrrev_b64 v[102:103], 21, v[102:103]
	v_cmp_gt_i32_e32 vcc_lo, 32, v69
	v_cmp_ne_u32_e64 s7, 0, v69
	s_delay_alu instid0(VALU_DEP_3) | instskip(NEXT) | instid1(VALU_DEP_1)
	v_dual_cndmask_b32 v103, 0, v103 :: v_dual_cndmask_b32 v102, 3, v102
	v_cmp_ne_u64_e32 vcc_lo, 0, v[102:103]
                                        ; implicit-def: $vgpr103
	s_or_b32 s7, s7, vcc_lo
	s_delay_alu instid0(SALU_CYCLE_1) | instskip(NEXT) | instid1(SALU_CYCLE_1)
	s_and_saveexec_b32 s28, s7
	s_xor_b32 s7, exec_lo, s28
; %bb.3134:                             ;   in Loop: Header=BB2_3016 Depth=2
	v_min_i32_e32 v38, 31, v69
	s_delay_alu instid0(VALU_DEP_1) | instskip(NEXT) | instid1(VALU_DEP_1)
	v_lshl_or_b32 v17, v38, 2, v17
	v_and_or_b32 v103, v102, 3, v17
                                        ; implicit-def: $vgpr17
; %bb.3135:                             ;   in Loop: Header=BB2_3016 Depth=2
	s_and_not1_saveexec_b32 s7, s7
; %bb.3136:                             ;   in Loop: Header=BB2_3016 Depth=2
	v_mov_b32_e32 v103, v17
; %bb.3137:                             ;   in Loop: Header=BB2_3016 Depth=2
	s_or_b32 exec_lo, exec_lo, s7
.LBB2_3138:                             ;   in Loop: Header=BB2_3016 Depth=2
	s_delay_alu instid0(SALU_CYCLE_1)
	s_or_b32 exec_lo, exec_lo, s27
                                        ; implicit-def: $vgpr17
.LBB2_3139:                             ;   in Loop: Header=BB2_3016 Depth=2
	s_and_not1_saveexec_b32 s7, s26
; %bb.3140:                             ;   in Loop: Header=BB2_3016 Depth=2
	v_or_b32_e32 v103, 0x7b, v17
; %bb.3141:                             ;   in Loop: Header=BB2_3016 Depth=2
	s_or_b32 exec_lo, exec_lo, s7
                                        ; implicit-def: $vgpr69
.LBB2_3142:                             ;   in Loop: Header=BB2_3016 Depth=2
	s_and_not1_saveexec_b32 s7, s25
	s_cbranch_execz .LBB2_3148
; %bb.3143:                             ;   in Loop: Header=BB2_3016 Depth=2
	s_mov_b32 s25, exec_lo
                                        ; implicit-def: $vgpr103
	v_cmpx_ne_u64_e32 0, v[38:39]
	s_xor_b32 s25, exec_lo, s25
; %bb.3144:                             ;   in Loop: Header=BB2_3016 Depth=2
	v_lshrrev_b32_e32 v17, 24, v69
                                        ; implicit-def: $vgpr69
	s_delay_alu instid0(VALU_DEP_1)
	v_or_b32_e32 v103, 0x7f, v17
; %bb.3145:                             ;   in Loop: Header=BB2_3016 Depth=2
	s_and_not1_saveexec_b32 s25, s25
; %bb.3146:                             ;   in Loop: Header=BB2_3016 Depth=2
	v_cmp_lt_i32_e32 vcc_lo, -1, v69
	v_cndmask_b32_e64 v103, -4, 0x7c, vcc_lo
; %bb.3147:                             ;   in Loop: Header=BB2_3016 Depth=2
	s_or_b32 exec_lo, exec_lo, s25
.LBB2_3148:                             ;   in Loop: Header=BB2_3016 Depth=2
	s_delay_alu instid0(SALU_CYCLE_1)
	s_or_b32 exec_lo, exec_lo, s7
	v_dual_mov_b32 v17, 0 :: v_dual_mov_b32 v38, 0
	s_mov_b32 s7, exec_lo
	v_cmpx_ne_u16_e32 0, v100
	s_cbranch_execz .LBB2_3158
; %bb.3149:                             ;   in Loop: Header=BB2_3016 Depth=2
	v_bfrev_b32_e32 v38, 1
	s_mov_b32 s25, exec_lo
	v_cmpx_ne_u16_e32 0xff80, v100
	s_cbranch_execz .LBB2_3157
; %bb.3150:                             ;   in Loop: Header=BB2_3016 Depth=2
	v_and_b32_e32 v38, 0x7c, v100
	v_and_b32_e32 v69, 3, v100
	s_delay_alu instid0(VALU_DEP_2) | instskip(SKIP_1) | instid1(SALU_CYCLE_1)
	v_cmp_ne_u32_e32 vcc_lo, 0x7c, v38
                                        ; implicit-def: $vgpr38
	s_and_saveexec_b32 s26, vcc_lo
	s_xor_b32 s26, exec_lo, s26
	s_cbranch_execz .LBB2_3154
; %bb.3151:                             ;   in Loop: Header=BB2_3016 Depth=2
	v_and_b32_e32 v38, 0xff, v100
	s_mov_b32 s27, exec_lo
	s_delay_alu instid0(VALU_DEP_1) | instskip(NEXT) | instid1(VALU_DEP_1)
	v_bfe_u32 v38, v38, 2, 5
	v_cmpx_eq_u32_e32 0, v38
	s_cbranch_execz .LBB2_3153
; %bb.3152:                             ;   in Loop: Header=BB2_3016 Depth=2
	v_clz_i32_u32_e32 v38, v69
	s_delay_alu instid0(VALU_DEP_1) | instskip(SKIP_1) | instid1(VALU_DEP_2)
	v_min_u32_e32 v38, 32, v38
	v_mov_b32_e32 v101, v39
	v_subrev_nc_u32_e32 v69, 29, v38
	v_sub_nc_u32_e32 v38, 30, v38
	s_delay_alu instid0(VALU_DEP_2) | instskip(NEXT) | instid1(VALU_DEP_1)
	v_lshlrev_b64_e32 v[112:113], v69, v[100:101]
	v_and_b32_e32 v69, 3, v112
.LBB2_3153:                             ;   in Loop: Header=BB2_3016 Depth=2
	s_or_b32 exec_lo, exec_lo, s27
	v_bfe_i32 v71, v100, 0, 16
                                        ; implicit-def: $vgpr100
	s_delay_alu instid0(VALU_DEP_1) | instskip(NEXT) | instid1(VALU_DEP_1)
	v_and_b32_e32 v71, 0x80000000, v71
	v_lshl_add_u32 v38, v38, 23, v71
	s_delay_alu instid0(VALU_DEP_1) | instskip(NEXT) | instid1(VALU_DEP_1)
	v_lshl_or_b32 v38, v69, 21, v38
                                        ; implicit-def: $vgpr69
	v_add_nc_u32_e32 v38, 0x38000000, v38
.LBB2_3154:                             ;   in Loop: Header=BB2_3016 Depth=2
	s_and_not1_saveexec_b32 s26, s26
; %bb.3155:                             ;   in Loop: Header=BB2_3016 Depth=2
	v_cmp_lt_i16_e32 vcc_lo, -1, v100
	v_cndmask_b32_e32 v38, 0xff800000, v45, vcc_lo
	v_cmp_eq_u32_e32 vcc_lo, 0, v69
	s_delay_alu instid0(VALU_DEP_2)
	v_cndmask_b32_e32 v38, 0x7f800001, v38, vcc_lo
; %bb.3156:                             ;   in Loop: Header=BB2_3016 Depth=2
	s_or_b32 exec_lo, exec_lo, s26
.LBB2_3157:                             ;   in Loop: Header=BB2_3016 Depth=2
	s_delay_alu instid0(SALU_CYCLE_1)
	s_or_b32 exec_lo, exec_lo, s25
.LBB2_3158:                             ;   in Loop: Header=BB2_3016 Depth=2
	s_delay_alu instid0(SALU_CYCLE_1) | instskip(NEXT) | instid1(SALU_CYCLE_1)
	s_or_b32 exec_lo, exec_lo, s7
	s_mov_b32 s7, exec_lo
	s_wait_loadcnt_dscnt 0x404
	v_cmpx_ne_u16_e32 0, v98
	s_cbranch_execz .LBB2_3168
; %bb.3159:                             ;   in Loop: Header=BB2_3016 Depth=2
	v_bfrev_b32_e32 v17, 1
	s_mov_b32 s25, exec_lo
	v_cmpx_ne_u16_e32 0xff80, v98
	s_cbranch_execz .LBB2_3167
; %bb.3160:                             ;   in Loop: Header=BB2_3016 Depth=2
	v_and_b32_e32 v17, 0x7c, v98
	v_and_b32_e32 v69, 3, v98
	s_delay_alu instid0(VALU_DEP_2) | instskip(SKIP_1) | instid1(SALU_CYCLE_1)
	v_cmp_ne_u32_e32 vcc_lo, 0x7c, v17
                                        ; implicit-def: $vgpr17
	s_and_saveexec_b32 s26, vcc_lo
	s_xor_b32 s26, exec_lo, s26
	s_cbranch_execz .LBB2_3164
; %bb.3161:                             ;   in Loop: Header=BB2_3016 Depth=2
	v_and_b32_e32 v17, 0xff, v98
	s_mov_b32 s27, exec_lo
	s_delay_alu instid0(VALU_DEP_1) | instskip(NEXT) | instid1(VALU_DEP_1)
	v_bfe_u32 v17, v17, 2, 5
	v_cmpx_eq_u32_e32 0, v17
	s_cbranch_execz .LBB2_3163
; %bb.3162:                             ;   in Loop: Header=BB2_3016 Depth=2
	v_clz_i32_u32_e32 v17, v69
	s_delay_alu instid0(VALU_DEP_1) | instskip(SKIP_1) | instid1(VALU_DEP_2)
	v_min_u32_e32 v17, 32, v17
	v_mov_b32_e32 v99, v39
	v_subrev_nc_u32_e32 v69, 29, v17
	v_sub_nc_u32_e32 v17, 30, v17
	s_delay_alu instid0(VALU_DEP_2) | instskip(NEXT) | instid1(VALU_DEP_1)
	v_lshlrev_b64_e32 v[100:101], v69, v[98:99]
	v_and_b32_e32 v69, 3, v100
.LBB2_3163:                             ;   in Loop: Header=BB2_3016 Depth=2
	s_or_b32 exec_lo, exec_lo, s27
	v_bfe_i32 v71, v98, 0, 16
                                        ; implicit-def: $vgpr98
	s_delay_alu instid0(VALU_DEP_1) | instskip(NEXT) | instid1(VALU_DEP_1)
	v_and_b32_e32 v71, 0x80000000, v71
	v_lshl_add_u32 v17, v17, 23, v71
	s_delay_alu instid0(VALU_DEP_1) | instskip(NEXT) | instid1(VALU_DEP_1)
	v_lshl_or_b32 v17, v69, 21, v17
                                        ; implicit-def: $vgpr69
	v_add_nc_u32_e32 v17, 0x38000000, v17
.LBB2_3164:                             ;   in Loop: Header=BB2_3016 Depth=2
	s_and_not1_saveexec_b32 s26, s26
; %bb.3165:                             ;   in Loop: Header=BB2_3016 Depth=2
	v_cmp_lt_i16_e32 vcc_lo, -1, v98
	v_cndmask_b32_e32 v17, 0xff800000, v45, vcc_lo
	v_cmp_eq_u32_e32 vcc_lo, 0, v69
	s_delay_alu instid0(VALU_DEP_2)
	v_cndmask_b32_e32 v17, 0x7f800001, v17, vcc_lo
; %bb.3166:                             ;   in Loop: Header=BB2_3016 Depth=2
	s_or_b32 exec_lo, exec_lo, s26
.LBB2_3167:                             ;   in Loop: Header=BB2_3016 Depth=2
	s_delay_alu instid0(SALU_CYCLE_1)
	s_or_b32 exec_lo, exec_lo, s25
.LBB2_3168:                             ;   in Loop: Header=BB2_3016 Depth=2
	s_delay_alu instid0(SALU_CYCLE_1) | instskip(NEXT) | instid1(VALU_DEP_1)
	s_or_b32 exec_lo, exec_lo, s7
	v_dual_mul_f32 v69, v38, v17 :: v_dual_mov_b32 v99, v39
	s_delay_alu instid0(VALU_DEP_1) | instskip(SKIP_1) | instid1(VALU_DEP_2)
	v_and_b32_e32 v98, 0x7f800000, v69
	v_and_b32_e32 v38, 0x7fffff, v69
	v_cmp_ne_u64_e32 vcc_lo, 0x7f800000, v[98:99]
                                        ; implicit-def: $vgpr99
	s_and_saveexec_b32 s7, vcc_lo
	s_delay_alu instid0(SALU_CYCLE_1)
	s_xor_b32 s25, exec_lo, s7
	s_cbranch_execz .LBB2_3186
; %bb.3169:                             ;   in Loop: Header=BB2_3016 Depth=2
	v_and_b32_e32 v98, 0x7fffffff, v69
	v_dual_mov_b32 v99, v39 :: v_dual_lshrrev_b32 v17, 24, v69
	s_delay_alu instid0(VALU_DEP_1) | instskip(NEXT) | instid1(VALU_DEP_2)
	v_cmp_gt_u64_e32 vcc_lo, 0x47600001, v[98:99]
	v_and_b32_e32 v17, 0x80, v17
                                        ; implicit-def: $vgpr99
	s_and_saveexec_b32 s7, vcc_lo
	s_delay_alu instid0(SALU_CYCLE_1)
	s_xor_b32 s26, exec_lo, s7
	s_cbranch_execz .LBB2_3183
; %bb.3170:                             ;   in Loop: Header=BB2_3016 Depth=2
	v_mov_b32_e32 v99, 0
	s_mov_b32 s27, exec_lo
	v_cmpx_ne_u32_e32 0, v69
	s_cbranch_execz .LBB2_3182
; %bb.3171:                             ;   in Loop: Header=BB2_3016 Depth=2
	v_bfe_u32 v69, v69, 23, 8
	v_or_b32_e32 v83, 0x800000, v38
	s_delay_alu instid0(VALU_DEP_2) | instskip(SKIP_1) | instid1(VALU_DEP_2)
	v_sub_nc_u32_e32 v71, 0x71, v69
	v_cmp_gt_u32_e32 vcc_lo, 0x72, v69
	v_cndmask_b32_e32 v71, 0, v71, vcc_lo
	v_cmp_eq_u32_e32 vcc_lo, 0, v69
	s_delay_alu instid0(VALU_DEP_2) | instskip(NEXT) | instid1(VALU_DEP_1)
	v_cndmask_b32_e64 v71, v71, 0x70, vcc_lo
	v_dual_cndmask_b32 v38, v83, v38 :: v_dual_add_nc_u32 v81, 21, v71
	s_delay_alu instid0(VALU_DEP_1) | instskip(SKIP_1) | instid1(VALU_DEP_1)
	v_lshlrev_b64_e64 v[98:99], v81, -1
	v_add_nc_u32_e32 v81, 20, v71
	v_lshlrev_b64_e64 v[100:101], v81, 1
	s_delay_alu instid0(VALU_DEP_3) | instskip(NEXT) | instid1(VALU_DEP_4)
	v_bfi_b32 v113, v99, 0, 0
	v_bfi_b32 v112, v98, 0, v38
	v_lshrrev_b64 v[98:99], v71, v[38:39]
	s_delay_alu instid0(VALU_DEP_2) | instskip(NEXT) | instid1(VALU_DEP_2)
	v_cmp_eq_u64_e64 s7, v[112:113], v[100:101]
	v_mov_b64_e32 v[100:101], v[98:99]
	s_and_saveexec_b32 s28, s7
; %bb.3172:                             ;   in Loop: Header=BB2_3016 Depth=2
	v_bfe_u32 v38, v98, 21, 1
	s_delay_alu instid0(VALU_DEP_1) | instskip(NEXT) | instid1(VALU_DEP_1)
	v_add_nc_u64_e32 v[100:101], v[98:99], v[38:39]
	v_add_nc_u64_e32 v[100:101], -1, v[100:101]
; %bb.3173:                             ;   in Loop: Header=BB2_3016 Depth=2
	s_or_b32 exec_lo, exec_lo, s28
	v_add_nc_u32_e32 v38, 0xffffff81, v69
	v_lshrrev_b32_e32 v69, 23, v98
	s_mov_b32 s7, exec_lo
	s_delay_alu instid0(VALU_DEP_2) | instskip(NEXT) | instid1(VALU_DEP_1)
	v_cndmask_b32_e64 v38, v38, 0xffffff82, vcc_lo
	v_add3_u32 v71, v71, v38, v69
	v_and_b32_e32 v38, 0x1fffff, v100
                                        ; implicit-def: $vgpr69
	s_delay_alu instid0(VALU_DEP_1) | instskip(NEXT) | instid1(VALU_DEP_1)
	v_dual_add_nc_u32 v81, 14, v71 :: v_dual_add_nc_u32 v38, v38, v98
                                        ; implicit-def: $vgpr98_vgpr99
	v_cmpx_ne_u32_e32 0, v81
	s_xor_b32 s7, exec_lo, s7
; %bb.3174:                             ;   in Loop: Header=BB2_3016 Depth=2
	s_delay_alu instid0(VALU_DEP_2) | instskip(SKIP_2) | instid1(VALU_DEP_2)
	v_cmp_lt_u64_e32 vcc_lo, 0xffffff, v[38:39]
	v_add_nc_u32_e32 v69, 15, v71
	v_cndmask_b32_e64 v71, 0, 1, vcc_lo
	v_cndmask_b32_e32 v69, v81, v69, vcc_lo
	s_delay_alu instid0(VALU_DEP_2)
	v_lshrrev_b64 v[98:99], v71, v[38:39]
; %bb.3175:                             ;   in Loop: Header=BB2_3016 Depth=2
	s_and_not1_saveexec_b32 s7, s7
; %bb.3176:                             ;   in Loop: Header=BB2_3016 Depth=2
	v_mov_b64_e32 v[98:99], v[38:39]
	v_bfe_u32 v69, v38, 23, 1
; %bb.3177:                             ;   in Loop: Header=BB2_3016 Depth=2
	s_or_b32 exec_lo, exec_lo, s7
	s_delay_alu instid0(VALU_DEP_2) | instskip(NEXT) | instid1(VALU_DEP_2)
	v_lshrrev_b64 v[98:99], 21, v[98:99]
	v_cmp_gt_i32_e32 vcc_lo, 32, v69
	v_cmp_ne_u32_e64 s7, 0, v69
	s_delay_alu instid0(VALU_DEP_3) | instskip(NEXT) | instid1(VALU_DEP_1)
	v_dual_cndmask_b32 v99, 0, v99 :: v_dual_cndmask_b32 v98, 3, v98
	v_cmp_ne_u64_e32 vcc_lo, 0, v[98:99]
                                        ; implicit-def: $vgpr99
	s_or_b32 s7, s7, vcc_lo
	s_delay_alu instid0(SALU_CYCLE_1) | instskip(NEXT) | instid1(SALU_CYCLE_1)
	s_and_saveexec_b32 s28, s7
	s_xor_b32 s7, exec_lo, s28
; %bb.3178:                             ;   in Loop: Header=BB2_3016 Depth=2
	v_min_i32_e32 v38, 31, v69
	s_delay_alu instid0(VALU_DEP_1) | instskip(NEXT) | instid1(VALU_DEP_1)
	v_lshl_or_b32 v17, v38, 2, v17
	v_and_or_b32 v99, v98, 3, v17
                                        ; implicit-def: $vgpr17
; %bb.3179:                             ;   in Loop: Header=BB2_3016 Depth=2
	s_and_not1_saveexec_b32 s7, s7
; %bb.3180:                             ;   in Loop: Header=BB2_3016 Depth=2
	v_mov_b32_e32 v99, v17
; %bb.3181:                             ;   in Loop: Header=BB2_3016 Depth=2
	s_or_b32 exec_lo, exec_lo, s7
.LBB2_3182:                             ;   in Loop: Header=BB2_3016 Depth=2
	s_delay_alu instid0(SALU_CYCLE_1)
	s_or_b32 exec_lo, exec_lo, s27
                                        ; implicit-def: $vgpr17
.LBB2_3183:                             ;   in Loop: Header=BB2_3016 Depth=2
	s_and_not1_saveexec_b32 s7, s26
; %bb.3184:                             ;   in Loop: Header=BB2_3016 Depth=2
	v_or_b32_e32 v99, 0x7b, v17
; %bb.3185:                             ;   in Loop: Header=BB2_3016 Depth=2
	s_or_b32 exec_lo, exec_lo, s7
                                        ; implicit-def: $vgpr69
.LBB2_3186:                             ;   in Loop: Header=BB2_3016 Depth=2
	s_and_not1_saveexec_b32 s7, s25
	s_cbranch_execz .LBB2_3192
; %bb.3187:                             ;   in Loop: Header=BB2_3016 Depth=2
	s_mov_b32 s25, exec_lo
                                        ; implicit-def: $vgpr99
	v_cmpx_ne_u64_e32 0, v[38:39]
	s_xor_b32 s25, exec_lo, s25
; %bb.3188:                             ;   in Loop: Header=BB2_3016 Depth=2
	v_lshrrev_b32_e32 v17, 24, v69
                                        ; implicit-def: $vgpr69
	s_delay_alu instid0(VALU_DEP_1)
	v_or_b32_e32 v99, 0x7f, v17
; %bb.3189:                             ;   in Loop: Header=BB2_3016 Depth=2
	s_and_not1_saveexec_b32 s25, s25
; %bb.3190:                             ;   in Loop: Header=BB2_3016 Depth=2
	v_cmp_lt_i32_e32 vcc_lo, -1, v69
	v_cndmask_b32_e64 v99, -4, 0x7c, vcc_lo
; %bb.3191:                             ;   in Loop: Header=BB2_3016 Depth=2
	s_or_b32 exec_lo, exec_lo, s25
.LBB2_3192:                             ;   in Loop: Header=BB2_3016 Depth=2
	s_delay_alu instid0(SALU_CYCLE_1)
	s_or_b32 exec_lo, exec_lo, s7
	v_dual_mov_b32 v17, 0 :: v_dual_mov_b32 v38, 0
	s_mov_b32 s7, exec_lo
	v_cmpx_ne_u16_e32 0, v96
	s_cbranch_execz .LBB2_3202
; %bb.3193:                             ;   in Loop: Header=BB2_3016 Depth=2
	v_bfrev_b32_e32 v38, 1
	s_mov_b32 s25, exec_lo
	v_cmpx_ne_u16_e32 0xff80, v96
	s_cbranch_execz .LBB2_3201
; %bb.3194:                             ;   in Loop: Header=BB2_3016 Depth=2
	v_and_b32_e32 v38, 0x7c, v96
	v_and_b32_e32 v69, 3, v96
	s_delay_alu instid0(VALU_DEP_2) | instskip(SKIP_1) | instid1(SALU_CYCLE_1)
	v_cmp_ne_u32_e32 vcc_lo, 0x7c, v38
                                        ; implicit-def: $vgpr38
	s_and_saveexec_b32 s26, vcc_lo
	s_xor_b32 s26, exec_lo, s26
	s_cbranch_execz .LBB2_3198
; %bb.3195:                             ;   in Loop: Header=BB2_3016 Depth=2
	v_and_b32_e32 v38, 0xff, v96
	s_mov_b32 s27, exec_lo
	s_delay_alu instid0(VALU_DEP_1) | instskip(NEXT) | instid1(VALU_DEP_1)
	v_bfe_u32 v38, v38, 2, 5
	v_cmpx_eq_u32_e32 0, v38
	s_cbranch_execz .LBB2_3197
; %bb.3196:                             ;   in Loop: Header=BB2_3016 Depth=2
	v_clz_i32_u32_e32 v38, v69
	s_delay_alu instid0(VALU_DEP_1) | instskip(SKIP_1) | instid1(VALU_DEP_2)
	v_min_u32_e32 v38, 32, v38
	v_mov_b32_e32 v97, v39
	v_subrev_nc_u32_e32 v69, 29, v38
	v_sub_nc_u32_e32 v38, 30, v38
	s_delay_alu instid0(VALU_DEP_2) | instskip(NEXT) | instid1(VALU_DEP_1)
	v_lshlrev_b64_e32 v[100:101], v69, v[96:97]
	v_and_b32_e32 v69, 3, v100
.LBB2_3197:                             ;   in Loop: Header=BB2_3016 Depth=2
	s_or_b32 exec_lo, exec_lo, s27
	v_bfe_i32 v71, v96, 0, 16
                                        ; implicit-def: $vgpr96
	s_delay_alu instid0(VALU_DEP_1) | instskip(NEXT) | instid1(VALU_DEP_1)
	v_and_b32_e32 v71, 0x80000000, v71
	v_lshl_add_u32 v38, v38, 23, v71
	s_delay_alu instid0(VALU_DEP_1) | instskip(NEXT) | instid1(VALU_DEP_1)
	v_lshl_or_b32 v38, v69, 21, v38
                                        ; implicit-def: $vgpr69
	v_add_nc_u32_e32 v38, 0x38000000, v38
.LBB2_3198:                             ;   in Loop: Header=BB2_3016 Depth=2
	s_and_not1_saveexec_b32 s26, s26
; %bb.3199:                             ;   in Loop: Header=BB2_3016 Depth=2
	v_cmp_lt_i16_e32 vcc_lo, -1, v96
	v_cndmask_b32_e32 v38, 0xff800000, v45, vcc_lo
	v_cmp_eq_u32_e32 vcc_lo, 0, v69
	s_delay_alu instid0(VALU_DEP_2)
	v_cndmask_b32_e32 v38, 0x7f800001, v38, vcc_lo
; %bb.3200:                             ;   in Loop: Header=BB2_3016 Depth=2
	s_or_b32 exec_lo, exec_lo, s26
.LBB2_3201:                             ;   in Loop: Header=BB2_3016 Depth=2
	s_delay_alu instid0(SALU_CYCLE_1)
	s_or_b32 exec_lo, exec_lo, s25
.LBB2_3202:                             ;   in Loop: Header=BB2_3016 Depth=2
	s_delay_alu instid0(SALU_CYCLE_1) | instskip(NEXT) | instid1(SALU_CYCLE_1)
	s_or_b32 exec_lo, exec_lo, s7
	s_mov_b32 s7, exec_lo
	s_wait_loadcnt_dscnt 0x303
	v_cmpx_ne_u16_e32 0, v86
	s_cbranch_execz .LBB2_3212
; %bb.3203:                             ;   in Loop: Header=BB2_3016 Depth=2
	v_bfrev_b32_e32 v17, 1
	s_mov_b32 s25, exec_lo
	v_cmpx_ne_u16_e32 0xff80, v86
	s_cbranch_execz .LBB2_3211
; %bb.3204:                             ;   in Loop: Header=BB2_3016 Depth=2
	v_and_b32_e32 v17, 0x7c, v86
	v_and_b32_e32 v69, 3, v86
	s_delay_alu instid0(VALU_DEP_2) | instskip(SKIP_1) | instid1(SALU_CYCLE_1)
	v_cmp_ne_u32_e32 vcc_lo, 0x7c, v17
                                        ; implicit-def: $vgpr17
	s_and_saveexec_b32 s26, vcc_lo
	s_xor_b32 s26, exec_lo, s26
	s_cbranch_execz .LBB2_3208
; %bb.3205:                             ;   in Loop: Header=BB2_3016 Depth=2
	v_and_b32_e32 v17, 0xff, v86
	s_mov_b32 s27, exec_lo
	s_delay_alu instid0(VALU_DEP_1) | instskip(NEXT) | instid1(VALU_DEP_1)
	v_bfe_u32 v17, v17, 2, 5
	v_cmpx_eq_u32_e32 0, v17
	s_cbranch_execz .LBB2_3207
; %bb.3206:                             ;   in Loop: Header=BB2_3016 Depth=2
	v_clz_i32_u32_e32 v17, v69
	s_delay_alu instid0(VALU_DEP_1) | instskip(SKIP_1) | instid1(VALU_DEP_2)
	v_min_u32_e32 v17, 32, v17
	v_mov_b32_e32 v87, v39
	v_subrev_nc_u32_e32 v69, 29, v17
	v_sub_nc_u32_e32 v17, 30, v17
	s_delay_alu instid0(VALU_DEP_2) | instskip(NEXT) | instid1(VALU_DEP_1)
	v_lshlrev_b64_e32 v[96:97], v69, v[86:87]
	v_and_b32_e32 v69, 3, v96
.LBB2_3207:                             ;   in Loop: Header=BB2_3016 Depth=2
	s_or_b32 exec_lo, exec_lo, s27
	v_bfe_i32 v71, v86, 0, 16
                                        ; implicit-def: $vgpr86
	s_delay_alu instid0(VALU_DEP_1) | instskip(NEXT) | instid1(VALU_DEP_1)
	v_and_b32_e32 v71, 0x80000000, v71
	v_lshl_add_u32 v17, v17, 23, v71
	s_delay_alu instid0(VALU_DEP_1) | instskip(NEXT) | instid1(VALU_DEP_1)
	v_lshl_or_b32 v17, v69, 21, v17
                                        ; implicit-def: $vgpr69
	v_add_nc_u32_e32 v17, 0x38000000, v17
.LBB2_3208:                             ;   in Loop: Header=BB2_3016 Depth=2
	s_and_not1_saveexec_b32 s26, s26
; %bb.3209:                             ;   in Loop: Header=BB2_3016 Depth=2
	v_cmp_lt_i16_e32 vcc_lo, -1, v86
	v_cndmask_b32_e32 v17, 0xff800000, v45, vcc_lo
	v_cmp_eq_u32_e32 vcc_lo, 0, v69
	s_delay_alu instid0(VALU_DEP_2)
	v_cndmask_b32_e32 v17, 0x7f800001, v17, vcc_lo
; %bb.3210:                             ;   in Loop: Header=BB2_3016 Depth=2
	s_or_b32 exec_lo, exec_lo, s26
.LBB2_3211:                             ;   in Loop: Header=BB2_3016 Depth=2
	s_delay_alu instid0(SALU_CYCLE_1)
	s_or_b32 exec_lo, exec_lo, s25
.LBB2_3212:                             ;   in Loop: Header=BB2_3016 Depth=2
	s_delay_alu instid0(SALU_CYCLE_1) | instskip(NEXT) | instid1(VALU_DEP_1)
	s_or_b32 exec_lo, exec_lo, s7
	v_dual_mul_f32 v69, v38, v17 :: v_dual_mov_b32 v87, v39
	s_delay_alu instid0(VALU_DEP_1) | instskip(SKIP_1) | instid1(VALU_DEP_2)
	v_and_b32_e32 v86, 0x7f800000, v69
	v_and_b32_e32 v38, 0x7fffff, v69
	v_cmp_ne_u64_e32 vcc_lo, 0x7f800000, v[86:87]
                                        ; implicit-def: $vgpr87
	s_and_saveexec_b32 s7, vcc_lo
	s_delay_alu instid0(SALU_CYCLE_1)
	s_xor_b32 s25, exec_lo, s7
	s_cbranch_execz .LBB2_3230
; %bb.3213:                             ;   in Loop: Header=BB2_3016 Depth=2
	v_and_b32_e32 v86, 0x7fffffff, v69
	v_dual_mov_b32 v87, v39 :: v_dual_lshrrev_b32 v17, 24, v69
	s_delay_alu instid0(VALU_DEP_1) | instskip(NEXT) | instid1(VALU_DEP_2)
	v_cmp_gt_u64_e32 vcc_lo, 0x47600001, v[86:87]
	v_and_b32_e32 v17, 0x80, v17
                                        ; implicit-def: $vgpr87
	s_and_saveexec_b32 s7, vcc_lo
	s_delay_alu instid0(SALU_CYCLE_1)
	s_xor_b32 s26, exec_lo, s7
	s_cbranch_execz .LBB2_3227
; %bb.3214:                             ;   in Loop: Header=BB2_3016 Depth=2
	v_mov_b32_e32 v87, 0
	s_mov_b32 s27, exec_lo
	v_cmpx_ne_u32_e32 0, v69
	s_cbranch_execz .LBB2_3226
; %bb.3215:                             ;   in Loop: Header=BB2_3016 Depth=2
	v_bfe_u32 v69, v69, 23, 8
	v_or_b32_e32 v83, 0x800000, v38
	s_delay_alu instid0(VALU_DEP_2) | instskip(SKIP_1) | instid1(VALU_DEP_2)
	v_sub_nc_u32_e32 v71, 0x71, v69
	v_cmp_gt_u32_e32 vcc_lo, 0x72, v69
	v_cndmask_b32_e32 v71, 0, v71, vcc_lo
	v_cmp_eq_u32_e32 vcc_lo, 0, v69
	s_delay_alu instid0(VALU_DEP_2) | instskip(NEXT) | instid1(VALU_DEP_1)
	v_cndmask_b32_e64 v71, v71, 0x70, vcc_lo
	v_dual_cndmask_b32 v38, v83, v38 :: v_dual_add_nc_u32 v81, 21, v71
	s_delay_alu instid0(VALU_DEP_1) | instskip(SKIP_1) | instid1(VALU_DEP_1)
	v_lshlrev_b64_e64 v[86:87], v81, -1
	v_add_nc_u32_e32 v81, 20, v71
	v_lshlrev_b64_e64 v[96:97], v81, 1
	s_delay_alu instid0(VALU_DEP_3) | instskip(NEXT) | instid1(VALU_DEP_4)
	v_bfi_b32 v101, v87, 0, 0
	v_bfi_b32 v100, v86, 0, v38
	v_lshrrev_b64 v[86:87], v71, v[38:39]
	s_delay_alu instid0(VALU_DEP_2) | instskip(NEXT) | instid1(VALU_DEP_2)
	v_cmp_eq_u64_e64 s7, v[100:101], v[96:97]
	v_mov_b64_e32 v[96:97], v[86:87]
	s_and_saveexec_b32 s28, s7
; %bb.3216:                             ;   in Loop: Header=BB2_3016 Depth=2
	v_bfe_u32 v38, v86, 21, 1
	s_delay_alu instid0(VALU_DEP_1) | instskip(NEXT) | instid1(VALU_DEP_1)
	v_add_nc_u64_e32 v[96:97], v[86:87], v[38:39]
	v_add_nc_u64_e32 v[96:97], -1, v[96:97]
; %bb.3217:                             ;   in Loop: Header=BB2_3016 Depth=2
	s_or_b32 exec_lo, exec_lo, s28
	v_add_nc_u32_e32 v38, 0xffffff81, v69
	v_lshrrev_b32_e32 v69, 23, v86
	s_mov_b32 s7, exec_lo
	s_delay_alu instid0(VALU_DEP_2) | instskip(NEXT) | instid1(VALU_DEP_1)
	v_cndmask_b32_e64 v38, v38, 0xffffff82, vcc_lo
	v_add3_u32 v71, v71, v38, v69
	v_and_b32_e32 v38, 0x1fffff, v96
                                        ; implicit-def: $vgpr69
	s_delay_alu instid0(VALU_DEP_1) | instskip(NEXT) | instid1(VALU_DEP_1)
	v_dual_add_nc_u32 v81, 14, v71 :: v_dual_add_nc_u32 v38, v38, v86
                                        ; implicit-def: $vgpr86_vgpr87
	v_cmpx_ne_u32_e32 0, v81
	s_xor_b32 s7, exec_lo, s7
; %bb.3218:                             ;   in Loop: Header=BB2_3016 Depth=2
	s_delay_alu instid0(VALU_DEP_2) | instskip(SKIP_2) | instid1(VALU_DEP_2)
	v_cmp_lt_u64_e32 vcc_lo, 0xffffff, v[38:39]
	v_add_nc_u32_e32 v69, 15, v71
	v_cndmask_b32_e64 v71, 0, 1, vcc_lo
	v_cndmask_b32_e32 v69, v81, v69, vcc_lo
	s_delay_alu instid0(VALU_DEP_2)
	v_lshrrev_b64 v[86:87], v71, v[38:39]
; %bb.3219:                             ;   in Loop: Header=BB2_3016 Depth=2
	s_and_not1_saveexec_b32 s7, s7
; %bb.3220:                             ;   in Loop: Header=BB2_3016 Depth=2
	v_mov_b64_e32 v[86:87], v[38:39]
	v_bfe_u32 v69, v38, 23, 1
; %bb.3221:                             ;   in Loop: Header=BB2_3016 Depth=2
	s_or_b32 exec_lo, exec_lo, s7
	s_delay_alu instid0(VALU_DEP_2) | instskip(NEXT) | instid1(VALU_DEP_2)
	v_lshrrev_b64 v[86:87], 21, v[86:87]
	v_cmp_gt_i32_e32 vcc_lo, 32, v69
	v_cmp_ne_u32_e64 s7, 0, v69
	s_delay_alu instid0(VALU_DEP_3) | instskip(NEXT) | instid1(VALU_DEP_1)
	v_dual_cndmask_b32 v87, 0, v87 :: v_dual_cndmask_b32 v86, 3, v86
	v_cmp_ne_u64_e32 vcc_lo, 0, v[86:87]
                                        ; implicit-def: $vgpr87
	s_or_b32 s7, s7, vcc_lo
	s_delay_alu instid0(SALU_CYCLE_1) | instskip(NEXT) | instid1(SALU_CYCLE_1)
	s_and_saveexec_b32 s28, s7
	s_xor_b32 s7, exec_lo, s28
; %bb.3222:                             ;   in Loop: Header=BB2_3016 Depth=2
	v_min_i32_e32 v38, 31, v69
	s_delay_alu instid0(VALU_DEP_1) | instskip(NEXT) | instid1(VALU_DEP_1)
	v_lshl_or_b32 v17, v38, 2, v17
	v_and_or_b32 v87, v86, 3, v17
                                        ; implicit-def: $vgpr17
; %bb.3223:                             ;   in Loop: Header=BB2_3016 Depth=2
	s_and_not1_saveexec_b32 s7, s7
; %bb.3224:                             ;   in Loop: Header=BB2_3016 Depth=2
	v_mov_b32_e32 v87, v17
; %bb.3225:                             ;   in Loop: Header=BB2_3016 Depth=2
	s_or_b32 exec_lo, exec_lo, s7
.LBB2_3226:                             ;   in Loop: Header=BB2_3016 Depth=2
	s_delay_alu instid0(SALU_CYCLE_1)
	s_or_b32 exec_lo, exec_lo, s27
                                        ; implicit-def: $vgpr17
.LBB2_3227:                             ;   in Loop: Header=BB2_3016 Depth=2
	s_and_not1_saveexec_b32 s7, s26
; %bb.3228:                             ;   in Loop: Header=BB2_3016 Depth=2
	v_or_b32_e32 v87, 0x7b, v17
; %bb.3229:                             ;   in Loop: Header=BB2_3016 Depth=2
	s_or_b32 exec_lo, exec_lo, s7
                                        ; implicit-def: $vgpr69
.LBB2_3230:                             ;   in Loop: Header=BB2_3016 Depth=2
	s_and_not1_saveexec_b32 s7, s25
	s_cbranch_execz .LBB2_3236
; %bb.3231:                             ;   in Loop: Header=BB2_3016 Depth=2
	s_mov_b32 s25, exec_lo
                                        ; implicit-def: $vgpr87
	v_cmpx_ne_u64_e32 0, v[38:39]
	s_xor_b32 s25, exec_lo, s25
; %bb.3232:                             ;   in Loop: Header=BB2_3016 Depth=2
	v_lshrrev_b32_e32 v17, 24, v69
                                        ; implicit-def: $vgpr69
	s_delay_alu instid0(VALU_DEP_1)
	v_or_b32_e32 v87, 0x7f, v17
; %bb.3233:                             ;   in Loop: Header=BB2_3016 Depth=2
	s_and_not1_saveexec_b32 s25, s25
; %bb.3234:                             ;   in Loop: Header=BB2_3016 Depth=2
	v_cmp_lt_i32_e32 vcc_lo, -1, v69
	v_cndmask_b32_e64 v87, -4, 0x7c, vcc_lo
; %bb.3235:                             ;   in Loop: Header=BB2_3016 Depth=2
	s_or_b32 exec_lo, exec_lo, s25
.LBB2_3236:                             ;   in Loop: Header=BB2_3016 Depth=2
	s_delay_alu instid0(SALU_CYCLE_1)
	s_or_b32 exec_lo, exec_lo, s7
	v_dual_mov_b32 v17, 0 :: v_dual_mov_b32 v38, 0
	s_mov_b32 s7, exec_lo
	v_cmpx_ne_u16_e32 0, v84
	s_cbranch_execz .LBB2_3246
; %bb.3237:                             ;   in Loop: Header=BB2_3016 Depth=2
	v_bfrev_b32_e32 v38, 1
	s_mov_b32 s25, exec_lo
	v_cmpx_ne_u16_e32 0xff80, v84
	s_cbranch_execz .LBB2_3245
; %bb.3238:                             ;   in Loop: Header=BB2_3016 Depth=2
	v_and_b32_e32 v38, 0x7c, v84
	v_and_b32_e32 v69, 3, v84
	s_delay_alu instid0(VALU_DEP_2) | instskip(SKIP_1) | instid1(SALU_CYCLE_1)
	v_cmp_ne_u32_e32 vcc_lo, 0x7c, v38
                                        ; implicit-def: $vgpr38
	s_and_saveexec_b32 s26, vcc_lo
	s_xor_b32 s26, exec_lo, s26
	s_cbranch_execz .LBB2_3242
; %bb.3239:                             ;   in Loop: Header=BB2_3016 Depth=2
	v_and_b32_e32 v38, 0xff, v84
	s_mov_b32 s27, exec_lo
	s_delay_alu instid0(VALU_DEP_1) | instskip(NEXT) | instid1(VALU_DEP_1)
	v_bfe_u32 v38, v38, 2, 5
	v_cmpx_eq_u32_e32 0, v38
	s_cbranch_execz .LBB2_3241
; %bb.3240:                             ;   in Loop: Header=BB2_3016 Depth=2
	v_clz_i32_u32_e32 v38, v69
	s_delay_alu instid0(VALU_DEP_1) | instskip(SKIP_1) | instid1(VALU_DEP_2)
	v_min_u32_e32 v38, 32, v38
	v_mov_b32_e32 v85, v39
	v_subrev_nc_u32_e32 v69, 29, v38
	v_sub_nc_u32_e32 v38, 30, v38
	s_delay_alu instid0(VALU_DEP_2) | instskip(NEXT) | instid1(VALU_DEP_1)
	v_lshlrev_b64_e32 v[96:97], v69, v[84:85]
	v_and_b32_e32 v69, 3, v96
.LBB2_3241:                             ;   in Loop: Header=BB2_3016 Depth=2
	s_or_b32 exec_lo, exec_lo, s27
	v_bfe_i32 v71, v84, 0, 16
                                        ; implicit-def: $vgpr84
	s_delay_alu instid0(VALU_DEP_1) | instskip(NEXT) | instid1(VALU_DEP_1)
	v_and_b32_e32 v71, 0x80000000, v71
	v_lshl_add_u32 v38, v38, 23, v71
	s_delay_alu instid0(VALU_DEP_1) | instskip(NEXT) | instid1(VALU_DEP_1)
	v_lshl_or_b32 v38, v69, 21, v38
                                        ; implicit-def: $vgpr69
	v_add_nc_u32_e32 v38, 0x38000000, v38
.LBB2_3242:                             ;   in Loop: Header=BB2_3016 Depth=2
	s_and_not1_saveexec_b32 s26, s26
; %bb.3243:                             ;   in Loop: Header=BB2_3016 Depth=2
	v_cmp_lt_i16_e32 vcc_lo, -1, v84
	v_cndmask_b32_e32 v38, 0xff800000, v45, vcc_lo
	v_cmp_eq_u32_e32 vcc_lo, 0, v69
	s_delay_alu instid0(VALU_DEP_2)
	v_cndmask_b32_e32 v38, 0x7f800001, v38, vcc_lo
; %bb.3244:                             ;   in Loop: Header=BB2_3016 Depth=2
	s_or_b32 exec_lo, exec_lo, s26
.LBB2_3245:                             ;   in Loop: Header=BB2_3016 Depth=2
	s_delay_alu instid0(SALU_CYCLE_1)
	s_or_b32 exec_lo, exec_lo, s25
.LBB2_3246:                             ;   in Loop: Header=BB2_3016 Depth=2
	s_delay_alu instid0(SALU_CYCLE_1) | instskip(NEXT) | instid1(SALU_CYCLE_1)
	s_or_b32 exec_lo, exec_lo, s7
	s_mov_b32 s7, exec_lo
	s_wait_loadcnt_dscnt 0x202
	v_cmpx_ne_u16_e32 0, v82
	s_cbranch_execz .LBB2_3256
; %bb.3247:                             ;   in Loop: Header=BB2_3016 Depth=2
	v_bfrev_b32_e32 v17, 1
	s_mov_b32 s25, exec_lo
	v_cmpx_ne_u16_e32 0xff80, v82
	s_cbranch_execz .LBB2_3255
; %bb.3248:                             ;   in Loop: Header=BB2_3016 Depth=2
	v_and_b32_e32 v17, 0x7c, v82
	v_and_b32_e32 v69, 3, v82
	s_delay_alu instid0(VALU_DEP_2) | instskip(SKIP_1) | instid1(SALU_CYCLE_1)
	v_cmp_ne_u32_e32 vcc_lo, 0x7c, v17
                                        ; implicit-def: $vgpr17
	s_and_saveexec_b32 s26, vcc_lo
	s_xor_b32 s26, exec_lo, s26
	s_cbranch_execz .LBB2_3252
; %bb.3249:                             ;   in Loop: Header=BB2_3016 Depth=2
	v_and_b32_e32 v17, 0xff, v82
	s_mov_b32 s27, exec_lo
	s_delay_alu instid0(VALU_DEP_1) | instskip(NEXT) | instid1(VALU_DEP_1)
	v_bfe_u32 v17, v17, 2, 5
	v_cmpx_eq_u32_e32 0, v17
	s_cbranch_execz .LBB2_3251
; %bb.3250:                             ;   in Loop: Header=BB2_3016 Depth=2
	v_clz_i32_u32_e32 v17, v69
	s_delay_alu instid0(VALU_DEP_1) | instskip(SKIP_1) | instid1(VALU_DEP_2)
	v_min_u32_e32 v17, 32, v17
	v_mov_b32_e32 v83, v39
	v_subrev_nc_u32_e32 v69, 29, v17
	v_sub_nc_u32_e32 v17, 30, v17
	s_delay_alu instid0(VALU_DEP_2) | instskip(NEXT) | instid1(VALU_DEP_1)
	v_lshlrev_b64_e32 v[84:85], v69, v[82:83]
	v_and_b32_e32 v69, 3, v84
.LBB2_3251:                             ;   in Loop: Header=BB2_3016 Depth=2
	s_or_b32 exec_lo, exec_lo, s27
	v_bfe_i32 v71, v82, 0, 16
                                        ; implicit-def: $vgpr82
	s_delay_alu instid0(VALU_DEP_1) | instskip(NEXT) | instid1(VALU_DEP_1)
	v_and_b32_e32 v71, 0x80000000, v71
	v_lshl_add_u32 v17, v17, 23, v71
	s_delay_alu instid0(VALU_DEP_1) | instskip(NEXT) | instid1(VALU_DEP_1)
	v_lshl_or_b32 v17, v69, 21, v17
                                        ; implicit-def: $vgpr69
	v_add_nc_u32_e32 v17, 0x38000000, v17
.LBB2_3252:                             ;   in Loop: Header=BB2_3016 Depth=2
	s_and_not1_saveexec_b32 s26, s26
; %bb.3253:                             ;   in Loop: Header=BB2_3016 Depth=2
	v_cmp_lt_i16_e32 vcc_lo, -1, v82
	v_cndmask_b32_e32 v17, 0xff800000, v45, vcc_lo
	v_cmp_eq_u32_e32 vcc_lo, 0, v69
	s_delay_alu instid0(VALU_DEP_2)
	v_cndmask_b32_e32 v17, 0x7f800001, v17, vcc_lo
; %bb.3254:                             ;   in Loop: Header=BB2_3016 Depth=2
	s_or_b32 exec_lo, exec_lo, s26
.LBB2_3255:                             ;   in Loop: Header=BB2_3016 Depth=2
	s_delay_alu instid0(SALU_CYCLE_1)
	s_or_b32 exec_lo, exec_lo, s25
.LBB2_3256:                             ;   in Loop: Header=BB2_3016 Depth=2
	s_delay_alu instid0(SALU_CYCLE_1) | instskip(NEXT) | instid1(VALU_DEP_1)
	s_or_b32 exec_lo, exec_lo, s7
	v_dual_mul_f32 v69, v38, v17 :: v_dual_mov_b32 v83, v39
	s_delay_alu instid0(VALU_DEP_1) | instskip(SKIP_1) | instid1(VALU_DEP_2)
	v_and_b32_e32 v82, 0x7f800000, v69
	v_and_b32_e32 v38, 0x7fffff, v69
	v_cmp_ne_u64_e32 vcc_lo, 0x7f800000, v[82:83]
                                        ; implicit-def: $vgpr83
	s_and_saveexec_b32 s7, vcc_lo
	s_delay_alu instid0(SALU_CYCLE_1)
	s_xor_b32 s25, exec_lo, s7
	s_cbranch_execz .LBB2_3274
; %bb.3257:                             ;   in Loop: Header=BB2_3016 Depth=2
	v_and_b32_e32 v82, 0x7fffffff, v69
	v_dual_mov_b32 v83, v39 :: v_dual_lshrrev_b32 v17, 24, v69
	s_delay_alu instid0(VALU_DEP_1) | instskip(NEXT) | instid1(VALU_DEP_2)
	v_cmp_gt_u64_e32 vcc_lo, 0x47600001, v[82:83]
	v_and_b32_e32 v17, 0x80, v17
                                        ; implicit-def: $vgpr83
	s_and_saveexec_b32 s7, vcc_lo
	s_delay_alu instid0(SALU_CYCLE_1)
	s_xor_b32 s26, exec_lo, s7
	s_cbranch_execz .LBB2_3271
; %bb.3258:                             ;   in Loop: Header=BB2_3016 Depth=2
	v_mov_b32_e32 v83, 0
	s_mov_b32 s27, exec_lo
	v_cmpx_ne_u32_e32 0, v69
	s_cbranch_execz .LBB2_3270
; %bb.3259:                             ;   in Loop: Header=BB2_3016 Depth=2
	v_bfe_u32 v69, v69, 23, 8
	v_or_b32_e32 v84, 0x800000, v38
	s_delay_alu instid0(VALU_DEP_2) | instskip(SKIP_1) | instid1(VALU_DEP_2)
	v_sub_nc_u32_e32 v71, 0x71, v69
	v_cmp_gt_u32_e32 vcc_lo, 0x72, v69
	v_cndmask_b32_e32 v71, 0, v71, vcc_lo
	v_cmp_eq_u32_e32 vcc_lo, 0, v69
	s_delay_alu instid0(VALU_DEP_2) | instskip(NEXT) | instid1(VALU_DEP_1)
	v_cndmask_b32_e64 v71, v71, 0x70, vcc_lo
	v_dual_cndmask_b32 v38, v84, v38 :: v_dual_add_nc_u32 v81, 21, v71
	s_delay_alu instid0(VALU_DEP_1) | instskip(SKIP_1) | instid1(VALU_DEP_1)
	v_lshlrev_b64_e64 v[82:83], v81, -1
	v_add_nc_u32_e32 v81, 20, v71
	v_lshlrev_b64_e64 v[84:85], v81, 1
	s_delay_alu instid0(VALU_DEP_3) | instskip(NEXT) | instid1(VALU_DEP_4)
	v_bfi_b32 v97, v83, 0, 0
	v_bfi_b32 v96, v82, 0, v38
	v_lshrrev_b64 v[82:83], v71, v[38:39]
	s_delay_alu instid0(VALU_DEP_2) | instskip(NEXT) | instid1(VALU_DEP_2)
	v_cmp_eq_u64_e64 s7, v[96:97], v[84:85]
	v_mov_b64_e32 v[84:85], v[82:83]
	s_and_saveexec_b32 s28, s7
; %bb.3260:                             ;   in Loop: Header=BB2_3016 Depth=2
	v_bfe_u32 v38, v82, 21, 1
	s_delay_alu instid0(VALU_DEP_1) | instskip(NEXT) | instid1(VALU_DEP_1)
	v_add_nc_u64_e32 v[84:85], v[82:83], v[38:39]
	v_add_nc_u64_e32 v[84:85], -1, v[84:85]
; %bb.3261:                             ;   in Loop: Header=BB2_3016 Depth=2
	s_or_b32 exec_lo, exec_lo, s28
	v_add_nc_u32_e32 v38, 0xffffff81, v69
	v_lshrrev_b32_e32 v69, 23, v82
	s_mov_b32 s7, exec_lo
	s_delay_alu instid0(VALU_DEP_2) | instskip(NEXT) | instid1(VALU_DEP_1)
	v_cndmask_b32_e64 v38, v38, 0xffffff82, vcc_lo
	v_add3_u32 v71, v71, v38, v69
	v_and_b32_e32 v38, 0x1fffff, v84
                                        ; implicit-def: $vgpr69
	s_delay_alu instid0(VALU_DEP_1) | instskip(NEXT) | instid1(VALU_DEP_1)
	v_dual_add_nc_u32 v81, 14, v71 :: v_dual_add_nc_u32 v38, v38, v82
                                        ; implicit-def: $vgpr82_vgpr83
	v_cmpx_ne_u32_e32 0, v81
	s_xor_b32 s7, exec_lo, s7
; %bb.3262:                             ;   in Loop: Header=BB2_3016 Depth=2
	s_delay_alu instid0(VALU_DEP_2) | instskip(SKIP_2) | instid1(VALU_DEP_2)
	v_cmp_lt_u64_e32 vcc_lo, 0xffffff, v[38:39]
	v_add_nc_u32_e32 v69, 15, v71
	v_cndmask_b32_e64 v71, 0, 1, vcc_lo
	v_cndmask_b32_e32 v69, v81, v69, vcc_lo
	s_delay_alu instid0(VALU_DEP_2)
	v_lshrrev_b64 v[82:83], v71, v[38:39]
; %bb.3263:                             ;   in Loop: Header=BB2_3016 Depth=2
	s_and_not1_saveexec_b32 s7, s7
; %bb.3264:                             ;   in Loop: Header=BB2_3016 Depth=2
	v_mov_b64_e32 v[82:83], v[38:39]
	v_bfe_u32 v69, v38, 23, 1
; %bb.3265:                             ;   in Loop: Header=BB2_3016 Depth=2
	s_or_b32 exec_lo, exec_lo, s7
	s_delay_alu instid0(VALU_DEP_2) | instskip(NEXT) | instid1(VALU_DEP_2)
	v_lshrrev_b64 v[82:83], 21, v[82:83]
	v_cmp_gt_i32_e32 vcc_lo, 32, v69
	v_cmp_ne_u32_e64 s7, 0, v69
	s_delay_alu instid0(VALU_DEP_3) | instskip(NEXT) | instid1(VALU_DEP_1)
	v_dual_cndmask_b32 v83, 0, v83 :: v_dual_cndmask_b32 v82, 3, v82
	v_cmp_ne_u64_e32 vcc_lo, 0, v[82:83]
                                        ; implicit-def: $vgpr83
	s_or_b32 s7, s7, vcc_lo
	s_delay_alu instid0(SALU_CYCLE_1) | instskip(NEXT) | instid1(SALU_CYCLE_1)
	s_and_saveexec_b32 s28, s7
	s_xor_b32 s7, exec_lo, s28
; %bb.3266:                             ;   in Loop: Header=BB2_3016 Depth=2
	v_min_i32_e32 v38, 31, v69
	s_delay_alu instid0(VALU_DEP_1) | instskip(NEXT) | instid1(VALU_DEP_1)
	v_lshl_or_b32 v17, v38, 2, v17
	v_and_or_b32 v83, v82, 3, v17
                                        ; implicit-def: $vgpr17
; %bb.3267:                             ;   in Loop: Header=BB2_3016 Depth=2
	s_and_not1_saveexec_b32 s7, s7
; %bb.3268:                             ;   in Loop: Header=BB2_3016 Depth=2
	v_mov_b32_e32 v83, v17
; %bb.3269:                             ;   in Loop: Header=BB2_3016 Depth=2
	s_or_b32 exec_lo, exec_lo, s7
.LBB2_3270:                             ;   in Loop: Header=BB2_3016 Depth=2
	s_delay_alu instid0(SALU_CYCLE_1)
	s_or_b32 exec_lo, exec_lo, s27
                                        ; implicit-def: $vgpr17
.LBB2_3271:                             ;   in Loop: Header=BB2_3016 Depth=2
	s_and_not1_saveexec_b32 s7, s26
; %bb.3272:                             ;   in Loop: Header=BB2_3016 Depth=2
	v_or_b32_e32 v83, 0x7b, v17
; %bb.3273:                             ;   in Loop: Header=BB2_3016 Depth=2
	s_or_b32 exec_lo, exec_lo, s7
                                        ; implicit-def: $vgpr69
.LBB2_3274:                             ;   in Loop: Header=BB2_3016 Depth=2
	s_and_not1_saveexec_b32 s7, s25
	s_cbranch_execz .LBB2_3280
; %bb.3275:                             ;   in Loop: Header=BB2_3016 Depth=2
	s_mov_b32 s25, exec_lo
                                        ; implicit-def: $vgpr83
	v_cmpx_ne_u64_e32 0, v[38:39]
	s_xor_b32 s25, exec_lo, s25
; %bb.3276:                             ;   in Loop: Header=BB2_3016 Depth=2
	v_lshrrev_b32_e32 v17, 24, v69
                                        ; implicit-def: $vgpr69
	s_delay_alu instid0(VALU_DEP_1)
	v_or_b32_e32 v83, 0x7f, v17
; %bb.3277:                             ;   in Loop: Header=BB2_3016 Depth=2
	s_and_not1_saveexec_b32 s25, s25
; %bb.3278:                             ;   in Loop: Header=BB2_3016 Depth=2
	v_cmp_lt_i32_e32 vcc_lo, -1, v69
	v_cndmask_b32_e64 v83, -4, 0x7c, vcc_lo
; %bb.3279:                             ;   in Loop: Header=BB2_3016 Depth=2
	s_or_b32 exec_lo, exec_lo, s25
.LBB2_3280:                             ;   in Loop: Header=BB2_3016 Depth=2
	s_delay_alu instid0(SALU_CYCLE_1)
	s_or_b32 exec_lo, exec_lo, s7
	v_dual_mov_b32 v17, 0 :: v_dual_mov_b32 v38, 0
	s_mov_b32 s7, exec_lo
	v_cmpx_ne_u16_e32 0, v80
	s_cbranch_execz .LBB2_3290
; %bb.3281:                             ;   in Loop: Header=BB2_3016 Depth=2
	v_bfrev_b32_e32 v38, 1
	s_mov_b32 s25, exec_lo
	v_cmpx_ne_u16_e32 0xff80, v80
	s_cbranch_execz .LBB2_3289
; %bb.3282:                             ;   in Loop: Header=BB2_3016 Depth=2
	v_and_b32_e32 v38, 0x7c, v80
	v_and_b32_e32 v69, 3, v80
	s_delay_alu instid0(VALU_DEP_2) | instskip(SKIP_1) | instid1(SALU_CYCLE_1)
	v_cmp_ne_u32_e32 vcc_lo, 0x7c, v38
                                        ; implicit-def: $vgpr38
	s_and_saveexec_b32 s26, vcc_lo
	s_xor_b32 s26, exec_lo, s26
	s_cbranch_execz .LBB2_3286
; %bb.3283:                             ;   in Loop: Header=BB2_3016 Depth=2
	v_and_b32_e32 v38, 0xff, v80
	s_mov_b32 s27, exec_lo
	s_delay_alu instid0(VALU_DEP_1) | instskip(NEXT) | instid1(VALU_DEP_1)
	v_bfe_u32 v38, v38, 2, 5
	v_cmpx_eq_u32_e32 0, v38
	s_cbranch_execz .LBB2_3285
; %bb.3284:                             ;   in Loop: Header=BB2_3016 Depth=2
	v_clz_i32_u32_e32 v38, v69
	s_delay_alu instid0(VALU_DEP_1) | instskip(SKIP_1) | instid1(VALU_DEP_2)
	v_min_u32_e32 v38, 32, v38
	v_mov_b32_e32 v81, v39
	v_subrev_nc_u32_e32 v69, 29, v38
	v_sub_nc_u32_e32 v38, 30, v38
	s_delay_alu instid0(VALU_DEP_2) | instskip(NEXT) | instid1(VALU_DEP_1)
	v_lshlrev_b64_e32 v[84:85], v69, v[80:81]
	v_and_b32_e32 v69, 3, v84
.LBB2_3285:                             ;   in Loop: Header=BB2_3016 Depth=2
	s_or_b32 exec_lo, exec_lo, s27
	v_bfe_i32 v71, v80, 0, 16
                                        ; implicit-def: $vgpr80
	s_delay_alu instid0(VALU_DEP_1) | instskip(NEXT) | instid1(VALU_DEP_1)
	v_and_b32_e32 v71, 0x80000000, v71
	v_lshl_add_u32 v38, v38, 23, v71
	s_delay_alu instid0(VALU_DEP_1) | instskip(NEXT) | instid1(VALU_DEP_1)
	v_lshl_or_b32 v38, v69, 21, v38
                                        ; implicit-def: $vgpr69
	v_add_nc_u32_e32 v38, 0x38000000, v38
.LBB2_3286:                             ;   in Loop: Header=BB2_3016 Depth=2
	s_and_not1_saveexec_b32 s26, s26
; %bb.3287:                             ;   in Loop: Header=BB2_3016 Depth=2
	v_cmp_lt_i16_e32 vcc_lo, -1, v80
	v_cndmask_b32_e32 v38, 0xff800000, v45, vcc_lo
	v_cmp_eq_u32_e32 vcc_lo, 0, v69
	s_delay_alu instid0(VALU_DEP_2)
	v_cndmask_b32_e32 v38, 0x7f800001, v38, vcc_lo
; %bb.3288:                             ;   in Loop: Header=BB2_3016 Depth=2
	s_or_b32 exec_lo, exec_lo, s26
.LBB2_3289:                             ;   in Loop: Header=BB2_3016 Depth=2
	s_delay_alu instid0(SALU_CYCLE_1)
	s_or_b32 exec_lo, exec_lo, s25
.LBB2_3290:                             ;   in Loop: Header=BB2_3016 Depth=2
	s_delay_alu instid0(SALU_CYCLE_1) | instskip(NEXT) | instid1(SALU_CYCLE_1)
	s_or_b32 exec_lo, exec_lo, s7
	s_mov_b32 s7, exec_lo
	s_wait_loadcnt_dscnt 0x101
	v_cmpx_ne_u16_e32 0, v70
	s_cbranch_execz .LBB2_3300
; %bb.3291:                             ;   in Loop: Header=BB2_3016 Depth=2
	v_bfrev_b32_e32 v17, 1
	s_mov_b32 s25, exec_lo
	v_cmpx_ne_u16_e32 0xff80, v70
	s_cbranch_execz .LBB2_3299
; %bb.3292:                             ;   in Loop: Header=BB2_3016 Depth=2
	v_and_b32_e32 v17, 0x7c, v70
	v_and_b32_e32 v69, 3, v70
	s_delay_alu instid0(VALU_DEP_2) | instskip(SKIP_1) | instid1(SALU_CYCLE_1)
	v_cmp_ne_u32_e32 vcc_lo, 0x7c, v17
                                        ; implicit-def: $vgpr17
	s_and_saveexec_b32 s26, vcc_lo
	s_xor_b32 s26, exec_lo, s26
	s_cbranch_execz .LBB2_3296
; %bb.3293:                             ;   in Loop: Header=BB2_3016 Depth=2
	v_and_b32_e32 v17, 0xff, v70
	s_mov_b32 s27, exec_lo
	s_delay_alu instid0(VALU_DEP_1) | instskip(NEXT) | instid1(VALU_DEP_1)
	v_bfe_u32 v17, v17, 2, 5
	v_cmpx_eq_u32_e32 0, v17
	s_cbranch_execz .LBB2_3295
; %bb.3294:                             ;   in Loop: Header=BB2_3016 Depth=2
	v_clz_i32_u32_e32 v17, v69
	s_delay_alu instid0(VALU_DEP_1) | instskip(SKIP_1) | instid1(VALU_DEP_2)
	v_min_u32_e32 v17, 32, v17
	v_mov_b32_e32 v71, v39
	v_subrev_nc_u32_e32 v69, 29, v17
	v_sub_nc_u32_e32 v17, 30, v17
	s_delay_alu instid0(VALU_DEP_2) | instskip(NEXT) | instid1(VALU_DEP_1)
	v_lshlrev_b64_e32 v[80:81], v69, v[70:71]
	v_and_b32_e32 v69, 3, v80
.LBB2_3295:                             ;   in Loop: Header=BB2_3016 Depth=2
	s_or_b32 exec_lo, exec_lo, s27
	v_bfe_i32 v70, v70, 0, 16
	s_delay_alu instid0(VALU_DEP_1) | instskip(NEXT) | instid1(VALU_DEP_1)
	v_and_b32_e32 v70, 0x80000000, v70
	v_lshl_add_u32 v17, v17, 23, v70
                                        ; implicit-def: $vgpr70
	s_delay_alu instid0(VALU_DEP_1) | instskip(NEXT) | instid1(VALU_DEP_1)
	v_lshl_or_b32 v17, v69, 21, v17
                                        ; implicit-def: $vgpr69
	v_add_nc_u32_e32 v17, 0x38000000, v17
.LBB2_3296:                             ;   in Loop: Header=BB2_3016 Depth=2
	s_and_not1_saveexec_b32 s26, s26
; %bb.3297:                             ;   in Loop: Header=BB2_3016 Depth=2
	v_cmp_lt_i16_e32 vcc_lo, -1, v70
	v_cndmask_b32_e32 v17, 0xff800000, v45, vcc_lo
	v_cmp_eq_u32_e32 vcc_lo, 0, v69
	s_delay_alu instid0(VALU_DEP_2)
	v_cndmask_b32_e32 v17, 0x7f800001, v17, vcc_lo
; %bb.3298:                             ;   in Loop: Header=BB2_3016 Depth=2
	s_or_b32 exec_lo, exec_lo, s26
.LBB2_3299:                             ;   in Loop: Header=BB2_3016 Depth=2
	s_delay_alu instid0(SALU_CYCLE_1)
	s_or_b32 exec_lo, exec_lo, s25
.LBB2_3300:                             ;   in Loop: Header=BB2_3016 Depth=2
	s_delay_alu instid0(SALU_CYCLE_1) | instskip(NEXT) | instid1(VALU_DEP_1)
	s_or_b32 exec_lo, exec_lo, s7
	v_dual_mul_f32 v69, v38, v17 :: v_dual_mov_b32 v71, v39
	s_delay_alu instid0(VALU_DEP_1) | instskip(SKIP_1) | instid1(VALU_DEP_2)
	v_and_b32_e32 v70, 0x7f800000, v69
	v_and_b32_e32 v38, 0x7fffff, v69
	v_cmp_ne_u64_e32 vcc_lo, 0x7f800000, v[70:71]
                                        ; implicit-def: $vgpr71
	s_and_saveexec_b32 s7, vcc_lo
	s_delay_alu instid0(SALU_CYCLE_1)
	s_xor_b32 s25, exec_lo, s7
	s_cbranch_execz .LBB2_3318
; %bb.3301:                             ;   in Loop: Header=BB2_3016 Depth=2
	v_and_b32_e32 v70, 0x7fffffff, v69
	v_dual_mov_b32 v71, v39 :: v_dual_lshrrev_b32 v17, 24, v69
	s_delay_alu instid0(VALU_DEP_1) | instskip(NEXT) | instid1(VALU_DEP_2)
	v_cmp_gt_u64_e32 vcc_lo, 0x47600001, v[70:71]
	v_and_b32_e32 v17, 0x80, v17
                                        ; implicit-def: $vgpr71
	s_and_saveexec_b32 s7, vcc_lo
	s_delay_alu instid0(SALU_CYCLE_1)
	s_xor_b32 s26, exec_lo, s7
	s_cbranch_execz .LBB2_3315
; %bb.3302:                             ;   in Loop: Header=BB2_3016 Depth=2
	v_mov_b32_e32 v71, 0
	s_mov_b32 s27, exec_lo
	v_cmpx_ne_u32_e32 0, v69
	s_cbranch_execz .LBB2_3314
; %bb.3303:                             ;   in Loop: Header=BB2_3016 Depth=2
	v_bfe_u32 v69, v69, 23, 8
	v_or_b32_e32 v80, 0x800000, v38
	s_delay_alu instid0(VALU_DEP_2) | instskip(SKIP_1) | instid1(VALU_DEP_2)
	v_sub_nc_u32_e32 v70, 0x71, v69
	v_cmp_gt_u32_e32 vcc_lo, 0x72, v69
	v_cndmask_b32_e32 v70, 0, v70, vcc_lo
	v_cmp_eq_u32_e32 vcc_lo, 0, v69
	s_delay_alu instid0(VALU_DEP_2) | instskip(SKIP_1) | instid1(VALU_DEP_2)
	v_cndmask_b32_e64 v82, v70, 0x70, vcc_lo
	v_cndmask_b32_e32 v38, v80, v38, vcc_lo
	v_dual_add_nc_u32 v70, 21, v82 :: v_dual_add_nc_u32 v81, 20, v82
	s_delay_alu instid0(VALU_DEP_1) | instskip(NEXT) | instid1(VALU_DEP_2)
	v_lshlrev_b64_e64 v[70:71], v70, -1
	v_lshlrev_b64_e64 v[80:81], v81, 1
	s_delay_alu instid0(VALU_DEP_2) | instskip(NEXT) | instid1(VALU_DEP_3)
	v_bfi_b32 v85, v71, 0, 0
	v_bfi_b32 v84, v70, 0, v38
	v_lshrrev_b64 v[70:71], v82, v[38:39]
	s_delay_alu instid0(VALU_DEP_2) | instskip(NEXT) | instid1(VALU_DEP_2)
	v_cmp_eq_u64_e64 s7, v[84:85], v[80:81]
	v_mov_b64_e32 v[80:81], v[70:71]
	s_and_saveexec_b32 s28, s7
; %bb.3304:                             ;   in Loop: Header=BB2_3016 Depth=2
	v_bfe_u32 v38, v70, 21, 1
	s_delay_alu instid0(VALU_DEP_1) | instskip(NEXT) | instid1(VALU_DEP_1)
	v_add_nc_u64_e32 v[80:81], v[70:71], v[38:39]
	v_add_nc_u64_e32 v[80:81], -1, v[80:81]
; %bb.3305:                             ;   in Loop: Header=BB2_3016 Depth=2
	s_or_b32 exec_lo, exec_lo, s28
	v_add_nc_u32_e32 v38, 0xffffff81, v69
	v_lshrrev_b32_e32 v69, 23, v70
	s_mov_b32 s7, exec_lo
	s_delay_alu instid0(VALU_DEP_2) | instskip(NEXT) | instid1(VALU_DEP_1)
	v_cndmask_b32_e64 v38, v38, 0xffffff82, vcc_lo
	v_add3_u32 v81, v82, v38, v69
	v_and_b32_e32 v38, 0x1fffff, v80
                                        ; implicit-def: $vgpr69
	s_delay_alu instid0(VALU_DEP_1) | instskip(NEXT) | instid1(VALU_DEP_1)
	v_dual_add_nc_u32 v80, 14, v81 :: v_dual_add_nc_u32 v38, v38, v70
                                        ; implicit-def: $vgpr70_vgpr71
	v_cmpx_ne_u32_e32 0, v80
	s_xor_b32 s7, exec_lo, s7
; %bb.3306:                             ;   in Loop: Header=BB2_3016 Depth=2
	s_delay_alu instid0(VALU_DEP_2) | instskip(SKIP_2) | instid1(VALU_DEP_2)
	v_cmp_lt_u64_e32 vcc_lo, 0xffffff, v[38:39]
	v_add_nc_u32_e32 v69, 15, v81
	v_cndmask_b32_e64 v70, 0, 1, vcc_lo
	v_cndmask_b32_e32 v69, v80, v69, vcc_lo
	s_delay_alu instid0(VALU_DEP_2)
	v_lshrrev_b64 v[70:71], v70, v[38:39]
; %bb.3307:                             ;   in Loop: Header=BB2_3016 Depth=2
	s_and_not1_saveexec_b32 s7, s7
; %bb.3308:                             ;   in Loop: Header=BB2_3016 Depth=2
	v_mov_b64_e32 v[70:71], v[38:39]
	v_bfe_u32 v69, v38, 23, 1
; %bb.3309:                             ;   in Loop: Header=BB2_3016 Depth=2
	s_or_b32 exec_lo, exec_lo, s7
	s_delay_alu instid0(VALU_DEP_2) | instskip(NEXT) | instid1(VALU_DEP_2)
	v_lshrrev_b64 v[70:71], 21, v[70:71]
	v_cmp_gt_i32_e32 vcc_lo, 32, v69
	v_cmp_ne_u32_e64 s7, 0, v69
	s_delay_alu instid0(VALU_DEP_3) | instskip(NEXT) | instid1(VALU_DEP_1)
	v_dual_cndmask_b32 v71, 0, v71 :: v_dual_cndmask_b32 v70, 3, v70
	v_cmp_ne_u64_e32 vcc_lo, 0, v[70:71]
                                        ; implicit-def: $vgpr71
	s_or_b32 s7, s7, vcc_lo
	s_delay_alu instid0(SALU_CYCLE_1) | instskip(NEXT) | instid1(SALU_CYCLE_1)
	s_and_saveexec_b32 s28, s7
	s_xor_b32 s7, exec_lo, s28
; %bb.3310:                             ;   in Loop: Header=BB2_3016 Depth=2
	v_min_i32_e32 v38, 31, v69
	s_delay_alu instid0(VALU_DEP_1) | instskip(NEXT) | instid1(VALU_DEP_1)
	v_lshl_or_b32 v17, v38, 2, v17
	v_and_or_b32 v71, v70, 3, v17
                                        ; implicit-def: $vgpr17
; %bb.3311:                             ;   in Loop: Header=BB2_3016 Depth=2
	s_and_not1_saveexec_b32 s7, s7
; %bb.3312:                             ;   in Loop: Header=BB2_3016 Depth=2
	v_mov_b32_e32 v71, v17
; %bb.3313:                             ;   in Loop: Header=BB2_3016 Depth=2
	s_or_b32 exec_lo, exec_lo, s7
.LBB2_3314:                             ;   in Loop: Header=BB2_3016 Depth=2
	s_delay_alu instid0(SALU_CYCLE_1)
	s_or_b32 exec_lo, exec_lo, s27
                                        ; implicit-def: $vgpr17
.LBB2_3315:                             ;   in Loop: Header=BB2_3016 Depth=2
	s_and_not1_saveexec_b32 s7, s26
; %bb.3316:                             ;   in Loop: Header=BB2_3016 Depth=2
	v_or_b32_e32 v71, 0x7b, v17
; %bb.3317:                             ;   in Loop: Header=BB2_3016 Depth=2
	s_or_b32 exec_lo, exec_lo, s7
                                        ; implicit-def: $vgpr69
.LBB2_3318:                             ;   in Loop: Header=BB2_3016 Depth=2
	s_and_not1_saveexec_b32 s7, s25
	s_cbranch_execz .LBB2_3324
; %bb.3319:                             ;   in Loop: Header=BB2_3016 Depth=2
	s_mov_b32 s25, exec_lo
                                        ; implicit-def: $vgpr71
	v_cmpx_ne_u64_e32 0, v[38:39]
	s_xor_b32 s25, exec_lo, s25
; %bb.3320:                             ;   in Loop: Header=BB2_3016 Depth=2
	v_lshrrev_b32_e32 v17, 24, v69
                                        ; implicit-def: $vgpr69
	s_delay_alu instid0(VALU_DEP_1)
	v_or_b32_e32 v71, 0x7f, v17
; %bb.3321:                             ;   in Loop: Header=BB2_3016 Depth=2
	s_and_not1_saveexec_b32 s25, s25
; %bb.3322:                             ;   in Loop: Header=BB2_3016 Depth=2
	v_cmp_lt_i32_e32 vcc_lo, -1, v69
	v_cndmask_b32_e64 v71, -4, 0x7c, vcc_lo
; %bb.3323:                             ;   in Loop: Header=BB2_3016 Depth=2
	s_or_b32 exec_lo, exec_lo, s25
.LBB2_3324:                             ;   in Loop: Header=BB2_3016 Depth=2
	s_delay_alu instid0(SALU_CYCLE_1)
	s_or_b32 exec_lo, exec_lo, s7
	v_dual_mov_b32 v17, 0 :: v_dual_mov_b32 v38, 0
	s_mov_b32 s7, exec_lo
	v_cmpx_ne_u16_e32 0, v68
	s_cbranch_execz .LBB2_3334
; %bb.3325:                             ;   in Loop: Header=BB2_3016 Depth=2
	v_bfrev_b32_e32 v38, 1
	s_mov_b32 s25, exec_lo
	v_cmpx_ne_u16_e32 0xff80, v68
	s_cbranch_execz .LBB2_3333
; %bb.3326:                             ;   in Loop: Header=BB2_3016 Depth=2
	v_and_b32_e32 v38, 0x7c, v68
	v_and_b32_e32 v69, 3, v68
	s_delay_alu instid0(VALU_DEP_2) | instskip(SKIP_1) | instid1(SALU_CYCLE_1)
	v_cmp_ne_u32_e32 vcc_lo, 0x7c, v38
                                        ; implicit-def: $vgpr38
	s_and_saveexec_b32 s26, vcc_lo
	s_xor_b32 s26, exec_lo, s26
	s_cbranch_execz .LBB2_3330
; %bb.3327:                             ;   in Loop: Header=BB2_3016 Depth=2
	v_and_b32_e32 v38, 0xff, v68
	s_mov_b32 s27, exec_lo
	s_delay_alu instid0(VALU_DEP_1) | instskip(NEXT) | instid1(VALU_DEP_1)
	v_bfe_u32 v38, v38, 2, 5
	v_cmpx_eq_u32_e32 0, v38
	s_cbranch_execz .LBB2_3329
; %bb.3328:                             ;   in Loop: Header=BB2_3016 Depth=2
	v_clz_i32_u32_e32 v38, v69
	s_delay_alu instid0(VALU_DEP_1) | instskip(SKIP_1) | instid1(VALU_DEP_2)
	v_min_u32_e32 v38, 32, v38
	v_mov_b32_e32 v69, v39
	v_subrev_nc_u32_e32 v70, 29, v38
	v_sub_nc_u32_e32 v38, 30, v38
	s_delay_alu instid0(VALU_DEP_2) | instskip(NEXT) | instid1(VALU_DEP_1)
	v_lshlrev_b64_e32 v[80:81], v70, v[68:69]
	v_and_b32_e32 v69, 3, v80
.LBB2_3329:                             ;   in Loop: Header=BB2_3016 Depth=2
	s_or_b32 exec_lo, exec_lo, s27
	v_bfe_i32 v68, v68, 0, 16
	s_delay_alu instid0(VALU_DEP_1) | instskip(NEXT) | instid1(VALU_DEP_1)
	v_and_b32_e32 v68, 0x80000000, v68
	v_lshl_add_u32 v38, v38, 23, v68
                                        ; implicit-def: $vgpr68
	s_delay_alu instid0(VALU_DEP_1) | instskip(NEXT) | instid1(VALU_DEP_1)
	v_lshl_or_b32 v38, v69, 21, v38
                                        ; implicit-def: $vgpr69
	v_add_nc_u32_e32 v38, 0x38000000, v38
.LBB2_3330:                             ;   in Loop: Header=BB2_3016 Depth=2
	s_and_not1_saveexec_b32 s26, s26
; %bb.3331:                             ;   in Loop: Header=BB2_3016 Depth=2
	v_cmp_lt_i16_e32 vcc_lo, -1, v68
	v_cndmask_b32_e32 v38, 0xff800000, v45, vcc_lo
	v_cmp_eq_u32_e32 vcc_lo, 0, v69
	s_delay_alu instid0(VALU_DEP_2)
	v_cndmask_b32_e32 v38, 0x7f800001, v38, vcc_lo
; %bb.3332:                             ;   in Loop: Header=BB2_3016 Depth=2
	s_or_b32 exec_lo, exec_lo, s26
.LBB2_3333:                             ;   in Loop: Header=BB2_3016 Depth=2
	s_delay_alu instid0(SALU_CYCLE_1)
	s_or_b32 exec_lo, exec_lo, s25
.LBB2_3334:                             ;   in Loop: Header=BB2_3016 Depth=2
	s_delay_alu instid0(SALU_CYCLE_1) | instskip(NEXT) | instid1(SALU_CYCLE_1)
	s_or_b32 exec_lo, exec_lo, s7
	s_mov_b32 s7, exec_lo
	s_wait_loadcnt_dscnt 0x0
	v_cmpx_ne_u16_e32 0, v16
	s_cbranch_execz .LBB2_3344
; %bb.3335:                             ;   in Loop: Header=BB2_3016 Depth=2
	v_bfrev_b32_e32 v17, 1
	s_mov_b32 s25, exec_lo
	v_cmpx_ne_u16_e32 0xff80, v16
	s_cbranch_execz .LBB2_3343
; %bb.3336:                             ;   in Loop: Header=BB2_3016 Depth=2
	v_and_b32_e32 v17, 0x7c, v16
	v_and_b32_e32 v68, 3, v16
	s_delay_alu instid0(VALU_DEP_2) | instskip(SKIP_1) | instid1(SALU_CYCLE_1)
	v_cmp_ne_u32_e32 vcc_lo, 0x7c, v17
                                        ; implicit-def: $vgpr17
	s_and_saveexec_b32 s26, vcc_lo
	s_xor_b32 s26, exec_lo, s26
	s_cbranch_execz .LBB2_3340
; %bb.3337:                             ;   in Loop: Header=BB2_3016 Depth=2
	v_and_b32_e32 v17, 0xff, v16
	s_mov_b32 s27, exec_lo
	s_delay_alu instid0(VALU_DEP_1) | instskip(NEXT) | instid1(VALU_DEP_1)
	v_bfe_u32 v17, v17, 2, 5
	v_cmpx_eq_u32_e32 0, v17
; %bb.3338:                             ;   in Loop: Header=BB2_3016 Depth=2
	v_clz_i32_u32_e32 v17, v68
	s_delay_alu instid0(VALU_DEP_1) | instskip(SKIP_1) | instid1(VALU_DEP_2)
	v_min_u32_e32 v70, 32, v17
	v_mov_b32_e32 v17, v39
	v_subrev_nc_u32_e32 v68, 29, v70
	s_delay_alu instid0(VALU_DEP_1) | instskip(NEXT) | instid1(VALU_DEP_1)
	v_lshlrev_b64_e32 v[68:69], v68, v[16:17]
	v_dual_sub_nc_u32 v17, 30, v70 :: v_dual_bitop2_b32 v68, 3, v68 bitop3:0x40
; %bb.3339:                             ;   in Loop: Header=BB2_3016 Depth=2
	s_or_b32 exec_lo, exec_lo, s27
	v_bfe_i32 v16, v16, 0, 16
	s_delay_alu instid0(VALU_DEP_1) | instskip(NEXT) | instid1(VALU_DEP_1)
	v_and_b32_e32 v16, 0x80000000, v16
	v_lshl_add_u32 v16, v17, 23, v16
	s_delay_alu instid0(VALU_DEP_1) | instskip(NEXT) | instid1(VALU_DEP_1)
	v_lshl_or_b32 v16, v68, 21, v16
                                        ; implicit-def: $vgpr68
	v_add_nc_u32_e32 v17, 0x38000000, v16
                                        ; implicit-def: $vgpr16
.LBB2_3340:                             ;   in Loop: Header=BB2_3016 Depth=2
	s_and_not1_saveexec_b32 s26, s26
; %bb.3341:                             ;   in Loop: Header=BB2_3016 Depth=2
	v_cmp_lt_i16_e32 vcc_lo, -1, v16
	v_cndmask_b32_e32 v16, 0xff800000, v45, vcc_lo
	v_cmp_eq_u32_e32 vcc_lo, 0, v68
	s_delay_alu instid0(VALU_DEP_2)
	v_cndmask_b32_e32 v17, 0x7f800001, v16, vcc_lo
; %bb.3342:                             ;   in Loop: Header=BB2_3016 Depth=2
	s_or_b32 exec_lo, exec_lo, s26
.LBB2_3343:                             ;   in Loop: Header=BB2_3016 Depth=2
	s_delay_alu instid0(SALU_CYCLE_1)
	s_or_b32 exec_lo, exec_lo, s25
.LBB2_3344:                             ;   in Loop: Header=BB2_3016 Depth=2
	s_delay_alu instid0(SALU_CYCLE_1) | instskip(NEXT) | instid1(VALU_DEP_1)
	s_or_b32 exec_lo, exec_lo, s7
	v_dual_mul_f32 v16, v38, v17 :: v_dual_mov_b32 v69, v39
                                        ; implicit-def: $vgpr17
	s_mov_b32 s7, exec_lo
	s_delay_alu instid0(VALU_DEP_1) | instskip(SKIP_1) | instid1(VALU_DEP_2)
	v_and_b32_e32 v68, 0x7f800000, v16
	v_and_b32_e32 v38, 0x7fffff, v16
	v_cmpx_ne_u64_e32 0x7f800000, v[68:69]
	s_xor_b32 s25, exec_lo, s7
	s_cbranch_execz .LBB2_3362
; %bb.3345:                             ;   in Loop: Header=BB2_3016 Depth=2
	v_dual_mov_b32 v69, v39 :: v_dual_lshrrev_b32 v17, 24, v16
	v_and_b32_e32 v68, 0x7fffffff, v16
	s_mov_b32 s7, exec_lo
	s_delay_alu instid0(VALU_DEP_2) | instskip(NEXT) | instid1(VALU_DEP_2)
	v_and_b32_e32 v70, 0x80, v17
                                        ; implicit-def: $vgpr17
	v_cmpx_gt_u64_e32 0x47600001, v[68:69]
	s_xor_b32 s26, exec_lo, s7
	s_cbranch_execz .LBB2_3359
; %bb.3346:                             ;   in Loop: Header=BB2_3016 Depth=2
	v_mov_b32_e32 v17, 0
	s_mov_b32 s27, exec_lo
	v_cmpx_ne_u32_e32 0, v16
	s_cbranch_execz .LBB2_3358
; %bb.3347:                             ;   in Loop: Header=BB2_3016 Depth=2
	v_bfe_u32 v80, v16, 23, 8
	v_or_b32_e32 v68, 0x800000, v38
	s_delay_alu instid0(VALU_DEP_2) | instskip(SKIP_1) | instid1(VALU_DEP_2)
	v_sub_nc_u32_e32 v16, 0x71, v80
	v_cmp_gt_u32_e32 vcc_lo, 0x72, v80
	v_cndmask_b32_e32 v16, 0, v16, vcc_lo
	v_cmp_eq_u32_e32 vcc_lo, 0, v80
	s_delay_alu instid0(VALU_DEP_2) | instskip(NEXT) | instid1(VALU_DEP_1)
	v_cndmask_b32_e64 v81, v16, 0x70, vcc_lo
	v_dual_cndmask_b32 v38, v68, v38, vcc_lo :: v_dual_add_nc_u32 v16, 21, v81
	v_add_nc_u32_e32 v69, 20, v81
	s_delay_alu instid0(VALU_DEP_2) | instskip(NEXT) | instid1(VALU_DEP_2)
	v_lshlrev_b64_e64 v[16:17], v16, -1
	v_lshlrev_b64_e64 v[68:69], v69, 1
	s_delay_alu instid0(VALU_DEP_2) | instskip(NEXT) | instid1(VALU_DEP_3)
	v_bfi_b32 v85, v17, 0, 0
	v_bfi_b32 v84, v16, 0, v38
	v_lshrrev_b64 v[16:17], v81, v[38:39]
	s_delay_alu instid0(VALU_DEP_2) | instskip(NEXT) | instid1(VALU_DEP_2)
	v_cmp_eq_u64_e64 s7, v[84:85], v[68:69]
	v_mov_b64_e32 v[68:69], v[16:17]
	s_and_saveexec_b32 s28, s7
; %bb.3348:                             ;   in Loop: Header=BB2_3016 Depth=2
	v_bfe_u32 v38, v16, 21, 1
	s_delay_alu instid0(VALU_DEP_1) | instskip(NEXT) | instid1(VALU_DEP_1)
	v_add_nc_u64_e32 v[68:69], v[16:17], v[38:39]
	v_add_nc_u64_e32 v[68:69], -1, v[68:69]
; %bb.3349:                             ;   in Loop: Header=BB2_3016 Depth=2
	s_or_b32 exec_lo, exec_lo, s28
	v_add_nc_u32_e32 v17, 0xffffff81, v80
	v_lshrrev_b32_e32 v38, 23, v16
	s_mov_b32 s7, exec_lo
	s_delay_alu instid0(VALU_DEP_2) | instskip(NEXT) | instid1(VALU_DEP_1)
	v_cndmask_b32_e64 v17, v17, 0xffffff82, vcc_lo
	v_add3_u32 v69, v81, v17, v38
	v_and_b32_e32 v17, 0x1fffff, v68
                                        ; implicit-def: $vgpr68
	s_delay_alu instid0(VALU_DEP_1) | instskip(NEXT) | instid1(VALU_DEP_1)
	v_dual_add_nc_u32 v80, 14, v69 :: v_dual_add_nc_u32 v38, v17, v16
                                        ; implicit-def: $vgpr16_vgpr17
	v_cmpx_ne_u32_e32 0, v80
	s_xor_b32 s7, exec_lo, s7
; %bb.3350:                             ;   in Loop: Header=BB2_3016 Depth=2
	s_delay_alu instid0(VALU_DEP_2) | instskip(SKIP_1) | instid1(VALU_DEP_1)
	v_cmp_lt_u64_e32 vcc_lo, 0xffffff, v[38:39]
	v_add_nc_u32_e32 v16, 15, v69
	v_cndmask_b32_e32 v68, v80, v16, vcc_lo
	v_cndmask_b32_e64 v16, 0, 1, vcc_lo
	s_delay_alu instid0(VALU_DEP_1)
	v_lshrrev_b64 v[16:17], v16, v[38:39]
; %bb.3351:                             ;   in Loop: Header=BB2_3016 Depth=2
	s_and_not1_saveexec_b32 s7, s7
; %bb.3352:                             ;   in Loop: Header=BB2_3016 Depth=2
	v_mov_b64_e32 v[16:17], v[38:39]
	v_bfe_u32 v68, v38, 23, 1
; %bb.3353:                             ;   in Loop: Header=BB2_3016 Depth=2
	s_or_b32 exec_lo, exec_lo, s7
	s_delay_alu instid0(VALU_DEP_2) | instskip(NEXT) | instid1(VALU_DEP_2)
	v_lshrrev_b64 v[16:17], 21, v[16:17]
	v_cmp_gt_i32_e32 vcc_lo, 32, v68
	v_cmp_ne_u32_e64 s7, 0, v68
	s_delay_alu instid0(VALU_DEP_3) | instskip(NEXT) | instid1(VALU_DEP_1)
	v_dual_cndmask_b32 v17, 0, v17 :: v_dual_cndmask_b32 v16, 3, v16
	v_cmp_ne_u64_e32 vcc_lo, 0, v[16:17]
                                        ; implicit-def: $vgpr17
	s_or_b32 s7, s7, vcc_lo
	s_delay_alu instid0(SALU_CYCLE_1) | instskip(NEXT) | instid1(SALU_CYCLE_1)
	s_and_saveexec_b32 s28, s7
	s_xor_b32 s7, exec_lo, s28
; %bb.3354:                             ;   in Loop: Header=BB2_3016 Depth=2
	v_min_i32_e32 v17, 31, v68
	s_delay_alu instid0(VALU_DEP_1) | instskip(NEXT) | instid1(VALU_DEP_1)
	v_lshl_or_b32 v17, v17, 2, v70
                                        ; implicit-def: $vgpr70
	v_and_or_b32 v17, v16, 3, v17
; %bb.3355:                             ;   in Loop: Header=BB2_3016 Depth=2
	s_and_not1_saveexec_b32 s7, s7
; %bb.3356:                             ;   in Loop: Header=BB2_3016 Depth=2
	v_mov_b32_e32 v17, v70
; %bb.3357:                             ;   in Loop: Header=BB2_3016 Depth=2
	s_or_b32 exec_lo, exec_lo, s7
.LBB2_3358:                             ;   in Loop: Header=BB2_3016 Depth=2
	s_delay_alu instid0(SALU_CYCLE_1)
	s_or_b32 exec_lo, exec_lo, s27
                                        ; implicit-def: $vgpr70
.LBB2_3359:                             ;   in Loop: Header=BB2_3016 Depth=2
	s_and_not1_saveexec_b32 s7, s26
; %bb.3360:                             ;   in Loop: Header=BB2_3016 Depth=2
	v_or_b32_e32 v17, 0x7b, v70
; %bb.3361:                             ;   in Loop: Header=BB2_3016 Depth=2
	s_or_b32 exec_lo, exec_lo, s7
                                        ; implicit-def: $vgpr16
.LBB2_3362:                             ;   in Loop: Header=BB2_3016 Depth=2
	s_and_not1_saveexec_b32 s7, s25
	s_cbranch_execz .LBB2_3015
; %bb.3363:                             ;   in Loop: Header=BB2_3016 Depth=2
	s_mov_b32 s25, exec_lo
                                        ; implicit-def: $vgpr17
	v_cmpx_ne_u64_e32 0, v[38:39]
	s_xor_b32 s25, exec_lo, s25
; %bb.3364:                             ;   in Loop: Header=BB2_3016 Depth=2
	v_lshrrev_b32_e32 v16, 24, v16
	s_delay_alu instid0(VALU_DEP_1)
	v_or_b32_e32 v17, 0x7f, v16
                                        ; implicit-def: $vgpr16
; %bb.3365:                             ;   in Loop: Header=BB2_3016 Depth=2
	s_and_not1_saveexec_b32 s25, s25
	s_cbranch_execz .LBB2_3014
; %bb.3366:                             ;   in Loop: Header=BB2_3016 Depth=2
	v_cmp_lt_i32_e32 vcc_lo, -1, v16
	v_cndmask_b32_e64 v17, -4, 0x7c, vcc_lo
	s_branch .LBB2_3014
.LBB2_3367:                             ;   in Loop: Header=BB2_1777 Depth=1
	s_or_b32 exec_lo, exec_lo, s24
.LBB2_3368:                             ;   in Loop: Header=BB2_1777 Depth=1
	s_delay_alu instid0(SALU_CYCLE_1) | instskip(SKIP_1) | instid1(VALU_DEP_1)
	s_or_b32 exec_lo, exec_lo, s23
	v_and_b32_e32 v10, 0x3fffff00, v59
	v_cmp_ne_u32_e32 vcc_lo, v59, v10
	s_and_b32 exec_lo, exec_lo, vcc_lo
	s_cbranch_execz .LBB2_3416
; %bb.3369:                             ;   in Loop: Header=BB2_1777 Depth=1
	v_dual_lshlrev_b32 v11, 5, v60 :: v_dual_lshlrev_b32 v12, 5, v61
	s_delay_alu instid0(VALU_DEP_1) | instskip(NEXT) | instid1(VALU_DEP_1)
	v_sub_nc_u32_e32 v11, v30, v11
	v_sub_nc_u32_e32 v11, v11, v12
	v_and_b32_e32 v12, 0xff, v59
	s_delay_alu instid0(VALU_DEP_1) | instskip(NEXT) | instid1(VALU_DEP_1)
	v_sub_nc_u32_e32 v30, v12, v11
	v_cmp_lt_i32_e32 vcc_lo, 0, v30
	s_and_b32 exec_lo, exec_lo, vcc_lo
	s_cbranch_execz .LBB2_3416
; %bb.3370:                             ;   in Loop: Header=BB2_1777 Depth=1
	s_trap 2
	ds_load_b128 v[12:15], v0
	ds_load_b64 v[16:17], v0
	v_add3_u32 v68, v10, v58, v11
	s_mov_b32 s23, 0
	s_delay_alu instid0(VALU_DEP_1) | instskip(SKIP_1) | instid1(VALU_DEP_1)
	v_ashrrev_i32_e32 v69, 31, v68
	s_wait_dscnt 0x1
	v_add_nc_u64_e32 v[10:11], v[12:13], v[68:69]
	v_add_nc_u64_e32 v[12:13], v[14:15], v[68:69]
	s_wait_dscnt 0x0
	v_add_nc_u64_e32 v[14:15], v[16:17], v[68:69]
	s_branch .LBB2_3373
.LBB2_3371:                             ;   in Loop: Header=BB2_3373 Depth=2
	s_or_b32 exec_lo, exec_lo, s24
.LBB2_3372:                             ;   in Loop: Header=BB2_3373 Depth=2
	s_delay_alu instid0(SALU_CYCLE_1)
	s_or_b32 exec_lo, exec_lo, s7
	v_sub_nc_u32_e32 v30, v30, v54
	flat_store_b8 v[14:15], v17 th:TH_STORE_NT
	v_add_nc_u64_e32 v[10:11], v[10:11], v[54:55]
	v_add_nc_u64_e32 v[12:13], v[12:13], v[54:55]
	s_wait_xcnt 0x0
	v_add_nc_u64_e32 v[14:15], v[14:15], v[54:55]
	v_cmp_gt_i32_e32 vcc_lo, 1, v30
	s_or_b32 s23, vcc_lo, s23
	s_delay_alu instid0(SALU_CYCLE_1)
	s_and_not1_b32 exec_lo, exec_lo, s23
	s_cbranch_execz .LBB2_3416
.LBB2_3373:                             ;   Parent Loop BB2_1777 Depth=1
                                        ; =>  This Inner Loop Header: Depth=2
	flat_load_i8 v38, v[10:11] th:TH_LOAD_NT
	flat_load_i8 v16, v[12:13] th:TH_LOAD_NT
	v_dual_mov_b32 v17, 0 :: v_dual_mov_b32 v68, 0
	s_mov_b32 s7, exec_lo
	s_wait_loadcnt_dscnt 0x101
	s_wait_xcnt 0x0
	v_cmpx_ne_u16_e32 0, v38
	s_cbranch_execz .LBB2_3383
; %bb.3374:                             ;   in Loop: Header=BB2_3373 Depth=2
	v_bfrev_b32_e32 v68, 1
	s_mov_b32 s24, exec_lo
	v_cmpx_ne_u16_e32 0xff80, v38
	s_cbranch_execz .LBB2_3382
; %bb.3375:                             ;   in Loop: Header=BB2_3373 Depth=2
	v_and_b32_e32 v68, 0x7c, v38
	v_and_b32_e32 v69, 3, v38
	s_delay_alu instid0(VALU_DEP_2) | instskip(SKIP_1) | instid1(SALU_CYCLE_1)
	v_cmp_ne_u32_e32 vcc_lo, 0x7c, v68
                                        ; implicit-def: $vgpr68
	s_and_saveexec_b32 s25, vcc_lo
	s_xor_b32 s25, exec_lo, s25
	s_cbranch_execz .LBB2_3379
; %bb.3376:                             ;   in Loop: Header=BB2_3373 Depth=2
	v_and_b32_e32 v68, 0xff, v38
	s_mov_b32 s26, exec_lo
	s_delay_alu instid0(VALU_DEP_1) | instskip(NEXT) | instid1(VALU_DEP_1)
	v_bfe_u32 v68, v68, 2, 5
	v_cmpx_eq_u32_e32 0, v68
; %bb.3377:                             ;   in Loop: Header=BB2_3373 Depth=2
	v_clz_i32_u32_e32 v68, v69
	s_delay_alu instid0(VALU_DEP_1) | instskip(NEXT) | instid1(VALU_DEP_1)
	v_min_u32_e32 v68, 32, v68
	v_subrev_nc_u32_e32 v69, 29, v68
	s_delay_alu instid0(VALU_DEP_1) | instskip(NEXT) | instid1(VALU_DEP_1)
	v_lshlrev_b64_e32 v[70:71], v69, v[38:39]
	v_dual_sub_nc_u32 v68, 30, v68 :: v_dual_bitop2_b32 v69, 3, v70 bitop3:0x40
; %bb.3378:                             ;   in Loop: Header=BB2_3373 Depth=2
	s_or_b32 exec_lo, exec_lo, s26
	v_bfe_i32 v38, v38, 0, 16
	s_delay_alu instid0(VALU_DEP_1) | instskip(NEXT) | instid1(VALU_DEP_1)
	v_and_b32_e32 v38, 0x80000000, v38
	v_lshl_add_u32 v38, v68, 23, v38
	s_delay_alu instid0(VALU_DEP_1) | instskip(NEXT) | instid1(VALU_DEP_1)
	v_lshl_or_b32 v38, v69, 21, v38
                                        ; implicit-def: $vgpr69
	v_add_nc_u32_e32 v68, 0x38000000, v38
.LBB2_3379:                             ;   in Loop: Header=BB2_3373 Depth=2
	s_and_not1_saveexec_b32 s25, s25
; %bb.3380:                             ;   in Loop: Header=BB2_3373 Depth=2
	v_cmp_lt_i16_e32 vcc_lo, -1, v38
	v_cndmask_b32_e32 v38, 0xff800000, v45, vcc_lo
	v_cmp_eq_u32_e32 vcc_lo, 0, v69
	s_delay_alu instid0(VALU_DEP_2)
	v_cndmask_b32_e32 v68, 0x7f800001, v38, vcc_lo
; %bb.3381:                             ;   in Loop: Header=BB2_3373 Depth=2
	s_or_b32 exec_lo, exec_lo, s25
.LBB2_3382:                             ;   in Loop: Header=BB2_3373 Depth=2
	s_delay_alu instid0(SALU_CYCLE_1)
	s_or_b32 exec_lo, exec_lo, s24
.LBB2_3383:                             ;   in Loop: Header=BB2_3373 Depth=2
	s_delay_alu instid0(SALU_CYCLE_1) | instskip(NEXT) | instid1(SALU_CYCLE_1)
	s_or_b32 exec_lo, exec_lo, s7
	s_mov_b32 s7, exec_lo
	s_wait_loadcnt_dscnt 0x0
	v_cmpx_ne_u16_e32 0, v16
	s_cbranch_execz .LBB2_3393
; %bb.3384:                             ;   in Loop: Header=BB2_3373 Depth=2
	v_bfrev_b32_e32 v17, 1
	s_mov_b32 s24, exec_lo
	v_cmpx_ne_u16_e32 0xff80, v16
	s_cbranch_execz .LBB2_3392
; %bb.3385:                             ;   in Loop: Header=BB2_3373 Depth=2
	v_and_b32_e32 v17, 0x7c, v16
	v_and_b32_e32 v38, 3, v16
	s_delay_alu instid0(VALU_DEP_2) | instskip(SKIP_1) | instid1(SALU_CYCLE_1)
	v_cmp_ne_u32_e32 vcc_lo, 0x7c, v17
                                        ; implicit-def: $vgpr17
	s_and_saveexec_b32 s25, vcc_lo
	s_xor_b32 s25, exec_lo, s25
	s_cbranch_execz .LBB2_3389
; %bb.3386:                             ;   in Loop: Header=BB2_3373 Depth=2
	v_and_b32_e32 v17, 0xff, v16
	s_mov_b32 s26, exec_lo
	s_delay_alu instid0(VALU_DEP_1) | instskip(NEXT) | instid1(VALU_DEP_1)
	v_bfe_u32 v17, v17, 2, 5
	v_cmpx_eq_u32_e32 0, v17
	s_cbranch_execz .LBB2_3388
; %bb.3387:                             ;   in Loop: Header=BB2_3373 Depth=2
	v_clz_i32_u32_e32 v17, v38
	s_delay_alu instid0(VALU_DEP_1) | instskip(SKIP_1) | instid1(VALU_DEP_2)
	v_min_u32_e32 v38, 32, v17
	v_mov_b32_e32 v17, v39
	v_subrev_nc_u32_e32 v69, 29, v38
	s_delay_alu instid0(VALU_DEP_1) | instskip(SKIP_1) | instid1(VALU_DEP_2)
	v_lshlrev_b64_e32 v[70:71], v69, v[16:17]
	v_sub_nc_u32_e32 v17, 30, v38
	v_and_b32_e32 v38, 3, v70
.LBB2_3388:                             ;   in Loop: Header=BB2_3373 Depth=2
	s_or_b32 exec_lo, exec_lo, s26
	v_bfe_i32 v16, v16, 0, 16
	s_delay_alu instid0(VALU_DEP_1) | instskip(NEXT) | instid1(VALU_DEP_1)
	v_and_b32_e32 v16, 0x80000000, v16
	v_lshl_add_u32 v16, v17, 23, v16
	s_delay_alu instid0(VALU_DEP_1) | instskip(NEXT) | instid1(VALU_DEP_1)
	v_lshl_or_b32 v16, v38, 21, v16
                                        ; implicit-def: $vgpr38
	v_add_nc_u32_e32 v17, 0x38000000, v16
                                        ; implicit-def: $vgpr16
.LBB2_3389:                             ;   in Loop: Header=BB2_3373 Depth=2
	s_and_not1_saveexec_b32 s25, s25
; %bb.3390:                             ;   in Loop: Header=BB2_3373 Depth=2
	v_cmp_lt_i16_e32 vcc_lo, -1, v16
	v_cndmask_b32_e32 v16, 0xff800000, v45, vcc_lo
	v_cmp_eq_u32_e32 vcc_lo, 0, v38
	s_delay_alu instid0(VALU_DEP_2)
	v_cndmask_b32_e32 v17, 0x7f800001, v16, vcc_lo
; %bb.3391:                             ;   in Loop: Header=BB2_3373 Depth=2
	s_or_b32 exec_lo, exec_lo, s25
.LBB2_3392:                             ;   in Loop: Header=BB2_3373 Depth=2
	s_delay_alu instid0(SALU_CYCLE_1)
	s_or_b32 exec_lo, exec_lo, s24
.LBB2_3393:                             ;   in Loop: Header=BB2_3373 Depth=2
	s_delay_alu instid0(SALU_CYCLE_1) | instskip(NEXT) | instid1(VALU_DEP_1)
	s_or_b32 exec_lo, exec_lo, s7
	v_dual_mul_f32 v16, v68, v17 :: v_dual_mov_b32 v69, v39
                                        ; implicit-def: $vgpr17
	s_mov_b32 s7, exec_lo
	s_delay_alu instid0(VALU_DEP_1) | instskip(SKIP_1) | instid1(VALU_DEP_2)
	v_and_b32_e32 v68, 0x7f800000, v16
	v_and_b32_e32 v38, 0x7fffff, v16
	v_cmpx_ne_u64_e32 0x7f800000, v[68:69]
	s_xor_b32 s24, exec_lo, s7
	s_cbranch_execz .LBB2_3411
; %bb.3394:                             ;   in Loop: Header=BB2_3373 Depth=2
	v_dual_mov_b32 v69, v39 :: v_dual_lshrrev_b32 v17, 24, v16
	v_and_b32_e32 v68, 0x7fffffff, v16
	s_mov_b32 s7, exec_lo
	s_delay_alu instid0(VALU_DEP_2) | instskip(NEXT) | instid1(VALU_DEP_2)
	v_and_b32_e32 v70, 0x80, v17
                                        ; implicit-def: $vgpr17
	v_cmpx_gt_u64_e32 0x47600001, v[68:69]
	s_xor_b32 s25, exec_lo, s7
	s_cbranch_execz .LBB2_3408
; %bb.3395:                             ;   in Loop: Header=BB2_3373 Depth=2
	v_mov_b32_e32 v17, 0
	s_mov_b32 s26, exec_lo
	v_cmpx_ne_u32_e32 0, v16
	s_cbranch_execz .LBB2_3407
; %bb.3396:                             ;   in Loop: Header=BB2_3373 Depth=2
	v_bfe_u32 v71, v16, 23, 8
	v_or_b32_e32 v68, 0x800000, v38
	s_delay_alu instid0(VALU_DEP_2) | instskip(SKIP_1) | instid1(VALU_DEP_2)
	v_sub_nc_u32_e32 v16, 0x71, v71
	v_cmp_gt_u32_e32 vcc_lo, 0x72, v71
	v_cndmask_b32_e32 v16, 0, v16, vcc_lo
	v_cmp_eq_u32_e32 vcc_lo, 0, v71
	v_cndmask_b32_e32 v38, v68, v38, vcc_lo
	s_delay_alu instid0(VALU_DEP_3) | instskip(NEXT) | instid1(VALU_DEP_1)
	v_cndmask_b32_e64 v80, v16, 0x70, vcc_lo
	v_dual_add_nc_u32 v16, 21, v80 :: v_dual_add_nc_u32 v69, 20, v80
	s_delay_alu instid0(VALU_DEP_1) | instskip(NEXT) | instid1(VALU_DEP_2)
	v_lshlrev_b64_e64 v[16:17], v16, -1
	v_lshlrev_b64_e64 v[68:69], v69, 1
	s_delay_alu instid0(VALU_DEP_2) | instskip(NEXT) | instid1(VALU_DEP_3)
	v_bfi_b32 v83, v17, 0, 0
	v_bfi_b32 v82, v16, 0, v38
	v_lshrrev_b64 v[16:17], v80, v[38:39]
	s_delay_alu instid0(VALU_DEP_2) | instskip(NEXT) | instid1(VALU_DEP_2)
	v_cmp_eq_u64_e64 s7, v[82:83], v[68:69]
	v_mov_b64_e32 v[68:69], v[16:17]
	s_and_saveexec_b32 s27, s7
; %bb.3397:                             ;   in Loop: Header=BB2_3373 Depth=2
	v_bfe_u32 v38, v16, 21, 1
	s_delay_alu instid0(VALU_DEP_1) | instskip(NEXT) | instid1(VALU_DEP_1)
	v_add_nc_u64_e32 v[68:69], v[16:17], v[38:39]
	v_add_nc_u64_e32 v[68:69], -1, v[68:69]
; %bb.3398:                             ;   in Loop: Header=BB2_3373 Depth=2
	s_or_b32 exec_lo, exec_lo, s27
	v_add_nc_u32_e32 v17, 0xffffff81, v71
	v_lshrrev_b32_e32 v38, 23, v16
	s_mov_b32 s7, exec_lo
	s_delay_alu instid0(VALU_DEP_2) | instskip(NEXT) | instid1(VALU_DEP_1)
	v_cndmask_b32_e64 v17, v17, 0xffffff82, vcc_lo
	v_add3_u32 v69, v80, v17, v38
	v_and_b32_e32 v17, 0x1fffff, v68
                                        ; implicit-def: $vgpr68
	s_delay_alu instid0(VALU_DEP_1) | instskip(NEXT) | instid1(VALU_DEP_1)
	v_dual_add_nc_u32 v71, 14, v69 :: v_dual_add_nc_u32 v38, v17, v16
                                        ; implicit-def: $vgpr16_vgpr17
	v_cmpx_ne_u32_e32 0, v71
	s_xor_b32 s7, exec_lo, s7
; %bb.3399:                             ;   in Loop: Header=BB2_3373 Depth=2
	s_delay_alu instid0(VALU_DEP_2) | instskip(SKIP_1) | instid1(VALU_DEP_1)
	v_cmp_lt_u64_e32 vcc_lo, 0xffffff, v[38:39]
	v_add_nc_u32_e32 v16, 15, v69
	v_cndmask_b32_e32 v68, v71, v16, vcc_lo
	v_cndmask_b32_e64 v16, 0, 1, vcc_lo
	s_delay_alu instid0(VALU_DEP_1)
	v_lshrrev_b64 v[16:17], v16, v[38:39]
; %bb.3400:                             ;   in Loop: Header=BB2_3373 Depth=2
	s_and_not1_saveexec_b32 s7, s7
; %bb.3401:                             ;   in Loop: Header=BB2_3373 Depth=2
	v_mov_b64_e32 v[16:17], v[38:39]
	v_bfe_u32 v68, v38, 23, 1
; %bb.3402:                             ;   in Loop: Header=BB2_3373 Depth=2
	s_or_b32 exec_lo, exec_lo, s7
	s_delay_alu instid0(VALU_DEP_2) | instskip(NEXT) | instid1(VALU_DEP_2)
	v_lshrrev_b64 v[16:17], 21, v[16:17]
	v_cmp_gt_i32_e32 vcc_lo, 32, v68
	v_cmp_ne_u32_e64 s7, 0, v68
	s_delay_alu instid0(VALU_DEP_3) | instskip(NEXT) | instid1(VALU_DEP_1)
	v_dual_cndmask_b32 v17, 0, v17 :: v_dual_cndmask_b32 v16, 3, v16
	v_cmp_ne_u64_e32 vcc_lo, 0, v[16:17]
                                        ; implicit-def: $vgpr17
	s_or_b32 s7, s7, vcc_lo
	s_delay_alu instid0(SALU_CYCLE_1) | instskip(NEXT) | instid1(SALU_CYCLE_1)
	s_and_saveexec_b32 s27, s7
	s_xor_b32 s7, exec_lo, s27
; %bb.3403:                             ;   in Loop: Header=BB2_3373 Depth=2
	v_min_i32_e32 v17, 31, v68
	s_delay_alu instid0(VALU_DEP_1) | instskip(NEXT) | instid1(VALU_DEP_1)
	v_lshl_or_b32 v17, v17, 2, v70
                                        ; implicit-def: $vgpr70
	v_and_or_b32 v17, v16, 3, v17
; %bb.3404:                             ;   in Loop: Header=BB2_3373 Depth=2
	s_and_not1_saveexec_b32 s7, s7
; %bb.3405:                             ;   in Loop: Header=BB2_3373 Depth=2
	v_mov_b32_e32 v17, v70
; %bb.3406:                             ;   in Loop: Header=BB2_3373 Depth=2
	s_or_b32 exec_lo, exec_lo, s7
.LBB2_3407:                             ;   in Loop: Header=BB2_3373 Depth=2
	s_delay_alu instid0(SALU_CYCLE_1)
	s_or_b32 exec_lo, exec_lo, s26
                                        ; implicit-def: $vgpr70
.LBB2_3408:                             ;   in Loop: Header=BB2_3373 Depth=2
	s_and_not1_saveexec_b32 s7, s25
; %bb.3409:                             ;   in Loop: Header=BB2_3373 Depth=2
	v_or_b32_e32 v17, 0x7b, v70
; %bb.3410:                             ;   in Loop: Header=BB2_3373 Depth=2
	s_or_b32 exec_lo, exec_lo, s7
                                        ; implicit-def: $vgpr16
.LBB2_3411:                             ;   in Loop: Header=BB2_3373 Depth=2
	s_and_not1_saveexec_b32 s7, s24
	s_cbranch_execz .LBB2_3372
; %bb.3412:                             ;   in Loop: Header=BB2_3373 Depth=2
	s_mov_b32 s24, exec_lo
                                        ; implicit-def: $vgpr17
	v_cmpx_ne_u64_e32 0, v[38:39]
	s_xor_b32 s24, exec_lo, s24
; %bb.3413:                             ;   in Loop: Header=BB2_3373 Depth=2
	v_lshrrev_b32_e32 v16, 24, v16
	s_delay_alu instid0(VALU_DEP_1)
	v_or_b32_e32 v17, 0x7f, v16
                                        ; implicit-def: $vgpr16
; %bb.3414:                             ;   in Loop: Header=BB2_3373 Depth=2
	s_and_not1_saveexec_b32 s24, s24
	s_cbranch_execz .LBB2_3371
; %bb.3415:                             ;   in Loop: Header=BB2_3373 Depth=2
	v_cmp_lt_i32_e32 vcc_lo, -1, v16
	v_cndmask_b32_e64 v17, -4, 0x7c, vcc_lo
	s_branch .LBB2_3371
.LBB2_3416:                             ;   in Loop: Header=BB2_1777 Depth=1
	s_or_b32 exec_lo, exec_lo, s10
	v_cmp_ne_u32_e64 s7, 0, v47
	s_and_saveexec_b32 s10, s2
	s_cbranch_execz .LBB2_3435
.LBB2_3417:                             ;   in Loop: Header=BB2_1777 Depth=1
	s_and_saveexec_b32 s23, s3
	s_delay_alu instid0(SALU_CYCLE_1)
	s_xor_b32 s23, exec_lo, s23
	s_cbranch_execz .LBB2_3432
; %bb.3418:                             ;   in Loop: Header=BB2_1777 Depth=1
	s_and_saveexec_b32 s24, s4
	s_cbranch_execz .LBB2_3431
; %bb.3419:                             ;   in Loop: Header=BB2_1777 Depth=1
	s_mov_b32 s26, exec_lo
	s_mov_b32 s25, exec_lo
	v_mbcnt_lo_u32_b32 v10, s26, 0
	global_wb scope:SCOPE_DEV
	s_wait_storecnt 0x0
	s_wait_loadcnt_dscnt 0x0
	global_inv scope:SCOPE_DEV
	v_cmpx_eq_u32_e32 0, v10
	s_cbranch_execz .LBB2_3421
; %bb.3420:                             ;   in Loop: Header=BB2_1777 Depth=1
	s_bcnt1_i32_b32 s26, s26
	s_delay_alu instid0(SALU_CYCLE_1)
	v_mov_b32_e32 v38, s26
	s_wait_loadcnt 0x0
	ds_add_u64 v0, v[38:39]
	s_trap 2
.LBB2_3421:                             ;   in Loop: Header=BB2_1777 Depth=1
	s_or_b32 exec_lo, exec_lo, s25
	s_trap 2
	ds_load_b64 v[10:11], v0
	s_wait_dscnt 0x0
	v_add_nc_u64_e32 v[32:33], v[32:33], v[36:37]
	s_mov_b32 s25, exec_lo
	s_delay_alu instid0(VALU_DEP_1)
	v_cmpx_lt_u64_e64 v[10:11], v[32:33]
	s_cbranch_execz .LBB2_3430
; %bb.3422:                             ;   in Loop: Header=BB2_1777 Depth=1
	s_mov_b32 s26, 0
	s_mov_b32 s29, 0
                                        ; implicit-def: $sgpr27
                                        ; implicit-def: $sgpr28
	s_branch .LBB2_3424
.LBB2_3423:                             ;   in Loop: Header=BB2_3424 Depth=2
	s_or_b32 exec_lo, exec_lo, s41
	s_delay_alu instid0(SALU_CYCLE_1) | instskip(NEXT) | instid1(SALU_CYCLE_1)
	s_and_b32 s40, exec_lo, s42
	s_or_b32 s26, s40, s26
	s_and_not1_b32 s27, s27, exec_lo
	s_and_b32 s40, s28, exec_lo
	s_delay_alu instid0(SALU_CYCLE_1)
	s_or_b32 s27, s27, s40
	s_and_not1_b32 exec_lo, exec_lo, s26
	s_cbranch_execz .LBB2_3428
.LBB2_3424:                             ;   Parent Loop BB2_1777 Depth=1
                                        ; =>  This Inner Loop Header: Depth=2
	s_add_co_i32 s29, s29, 1
	s_delay_alu instid0(SALU_CYCLE_1) | instskip(SKIP_1) | instid1(SALU_CYCLE_1)
	s_cmp_lg_u32 s29, 0x2710
	s_cselect_b32 s40, -1, 0
	s_and_b32 vcc_lo, exec_lo, s40
	s_cbranch_vccz .LBB2_3426
; %bb.3425:                             ;   in Loop: Header=BB2_3424 Depth=2
	s_mov_b32 s42, -1
	s_or_b32 s28, s28, exec_lo
	s_and_saveexec_b32 s41, s40
	s_cbranch_execz .LBB2_3423
	s_branch .LBB2_3427
.LBB2_3426:                             ;   in Loop: Header=BB2_3424 Depth=2
	s_trap 2
	ds_load_b64 v[10:11], v0
	s_and_not1_b32 s40, s40, exec_lo
	s_mov_b32 s29, 0
	s_wait_loadcnt_dscnt 0x0
	flat_load_b32 v10, v[10:11] scope:SCOPE_SYS
	s_wait_loadcnt_dscnt 0x0
	global_inv scope:SCOPE_SYS
	v_cmp_eq_u32_e32 vcc_lo, 0, v10
	s_and_b32 s41, vcc_lo, exec_lo
	s_delay_alu instid0(SALU_CYCLE_1)
	s_or_b32 s40, s40, s41
	s_mov_b32 s42, -1
	s_or_b32 s28, s28, exec_lo
	s_and_saveexec_b32 s41, s40
	s_cbranch_execz .LBB2_3423
.LBB2_3427:                             ;   in Loop: Header=BB2_3424 Depth=2
	s_sleep 1
	s_trap 2
	ds_load_b64 v[10:11], v0
	s_wait_dscnt 0x0
	s_and_not1_b32 s28, s28, exec_lo
	v_cmp_ge_u64_e32 vcc_lo, v[10:11], v[32:33]
	s_or_not1_b32 s42, vcc_lo, exec_lo
	s_branch .LBB2_3423
.LBB2_3428:                             ;   in Loop: Header=BB2_1777 Depth=1
	s_or_b32 exec_lo, exec_lo, s26
	s_and_saveexec_b32 s26, s27
	s_delay_alu instid0(SALU_CYCLE_1)
	s_xor_b32 s26, exec_lo, s26
	s_cbranch_execz .LBB2_3430
; %bb.3429:                             ;   in Loop: Header=BB2_1777 Depth=1
	ds_store_b32 v0, v44
	s_trap 2
.LBB2_3430:                             ;   in Loop: Header=BB2_1777 Depth=1
	s_or_b32 exec_lo, exec_lo, s25
	;;#ASMSTART
	s_wakeup
	;;#ASMEND
.LBB2_3431:                             ;   in Loop: Header=BB2_1777 Depth=1
	s_or_b32 exec_lo, exec_lo, s24
.LBB2_3432:                             ;   in Loop: Header=BB2_1777 Depth=1
	s_and_not1_saveexec_b32 s23, s23
	s_cbranch_execz .LBB2_3434
; %bb.3433:                             ;   in Loop: Header=BB2_1777 Depth=1
	global_wb scope:SCOPE_DEV
	s_wait_storecnt 0x0
	s_wait_loadcnt_dscnt 0x0
	global_inv scope:SCOPE_DEV
	s_barrier_signal -1
	s_barrier_wait -1
.LBB2_3434:                             ;   in Loop: Header=BB2_1777 Depth=1
	s_or_b32 exec_lo, exec_lo, s23
.LBB2_3435:                             ;   in Loop: Header=BB2_1777 Depth=1
	s_delay_alu instid0(SALU_CYCLE_1) | instskip(SKIP_1) | instid1(VALU_DEP_1)
	s_or_b32 exec_lo, exec_lo, s10
	v_and_b32_e32 v10, 16, v56
	v_cmp_ne_u32_e32 vcc_lo, 0, v10
	s_and_b32 s10, vcc_lo, s7
	s_delay_alu instid0(SALU_CYCLE_1)
	s_and_saveexec_b32 s7, s10
	s_cbranch_execz .LBB2_3437
; %bb.3436:                             ;   in Loop: Header=BB2_1777 Depth=1
	global_wb scope:SCOPE_SYS
	s_wait_storecnt 0x0
	s_wait_loadcnt_dscnt 0x0
	global_inv scope:SCOPE_SYS
.LBB2_3437:                             ;   in Loop: Header=BB2_1777 Depth=1
	s_or_b32 exec_lo, exec_lo, s7
	v_and_b32_e32 v10, 32, v56
	s_mov_b32 s7, exec_lo
	s_delay_alu instid0(VALU_DEP_1)
	v_cmpx_ne_u32_e32 0, v10
	s_cbranch_execz .LBB2_3439
; %bb.3438:                             ;   in Loop: Header=BB2_1777 Depth=1
	v_add_nc_u64_e32 v[8:9], 1, v[8:9]
	global_wb scope:SCOPE_SYS
	s_wait_storecnt 0x0
	s_wait_loadcnt_dscnt 0x0
	flat_store_b64 v[22:23], v[8:9] scope:SCOPE_SYS
.LBB2_3439:                             ;   in Loop: Header=BB2_1777 Depth=1
	s_wait_xcnt 0x0
	s_or_b32 exec_lo, exec_lo, s7
	v_mov_b32_e32 v14, v67
.LBB2_3440:                             ;   in Loop: Header=BB2_1777 Depth=1
	s_or_b32 exec_lo, exec_lo, s22
	s_and_saveexec_b32 s10, s21
	s_cbranch_execz .LBB2_1776
; %bb.3441:                             ;   in Loop: Header=BB2_1777 Depth=1
	v_and_b32_e32 v10, 4, v56
	s_mov_b32 s21, exec_lo
	s_delay_alu instid0(VALU_DEP_1)
	v_cmpx_ne_u32_e32 0, v10
	s_cbranch_execz .LBB2_3463
; %bb.3442:                             ;   in Loop: Header=BB2_1777 Depth=1
	v_add_nc_u64_e32 v[10:11], 1, v[8:9]
	s_mov_b32 s22, exec_lo
	s_wait_loadcnt 0x0
	s_delay_alu instid0(VALU_DEP_1)
	v_cmpx_lt_u64_e64 v[28:29], v[10:11]
	s_cbranch_execz .LBB2_3454
; %bb.3443:                             ;   in Loop: Header=BB2_1777 Depth=1
	v_and_b32_e32 v9, 64, v56
	s_mov_b32 s23, 0
	s_mov_b32 s27, 0
                                        ; implicit-def: $sgpr24
                                        ; implicit-def: $sgpr25
                                        ; implicit-def: $sgpr26
	s_delay_alu instid0(VALU_DEP_1)
	v_cmp_eq_u32_e32 vcc_lo, 0, v9
	s_branch .LBB2_3447
.LBB2_3444:                             ;   in Loop: Header=BB2_3447 Depth=2
	s_wait_loadcnt_dscnt 0x0
	v_cmp_ge_u64_e64 s7, v[28:29], v[10:11]
	s_or_b32 s40, s40, exec_lo
	s_or_not1_b32 s29, s7, exec_lo
.LBB2_3445:                             ;   in Loop: Header=BB2_3447 Depth=2
	s_or_b32 exec_lo, exec_lo, s42
	s_delay_alu instid0(SALU_CYCLE_1)
	s_and_not1_b32 s7, s26, exec_lo
	s_and_b32 s26, s40, exec_lo
	s_and_not1_b32 s25, s25, exec_lo
	s_and_b32 s29, s29, exec_lo
	s_or_b32 s26, s7, s26
	s_or_b32 s25, s25, s29
.LBB2_3446:                             ;   in Loop: Header=BB2_3447 Depth=2
	s_or_b32 exec_lo, exec_lo, s28
	s_delay_alu instid0(SALU_CYCLE_1) | instskip(NEXT) | instid1(SALU_CYCLE_1)
	s_and_b32 s7, exec_lo, s25
	s_or_b32 s23, s7, s23
	s_and_not1_b32 s7, s24, exec_lo
	s_and_b32 s24, s26, exec_lo
	s_delay_alu instid0(SALU_CYCLE_1)
	s_or_b32 s24, s7, s24
	s_and_not1_b32 exec_lo, exec_lo, s23
	s_cbranch_execz .LBB2_3451
.LBB2_3447:                             ;   Parent Loop BB2_1777 Depth=1
                                        ; =>  This Inner Loop Header: Depth=2
	s_sleep 1
	s_wait_loadcnt_dscnt 0x0
	flat_load_b64 v[28:29], v[22:23] scope:SCOPE_SYS
	s_or_b32 s26, s26, exec_lo
	s_or_b32 s25, s25, exec_lo
                                        ; implicit-def: $vgpr9
	s_wait_xcnt 0x0
	s_and_saveexec_b32 s28, vcc_lo
	s_cbranch_execz .LBB2_3446
; %bb.3448:                             ;   in Loop: Header=BB2_3447 Depth=2
	s_cmp_lt_i32 s27, 0x270f
	s_mov_b32 s29, -1
	s_cselect_b32 s41, -1, 0
	s_cmp_gt_i32 s27, 0x270e
	s_cbranch_scc0 .LBB2_3450
; %bb.3449:                             ;   in Loop: Header=BB2_3447 Depth=2
	s_trap 2
	ds_load_b64 v[12:13], v0
	s_and_not1_b32 s27, s41, exec_lo
	s_mov_b32 s40, 0
	s_wait_storecnt 0x0
	s_wait_loadcnt_dscnt 0x0
	flat_load_b32 v9, v[12:13] scope:SCOPE_SYS
	s_wait_loadcnt_dscnt 0x0
	global_inv scope:SCOPE_SYS
	v_cmp_eq_u32_e64 s7, 0, v9
	s_and_b32 s7, s7, exec_lo
	s_delay_alu instid0(SALU_CYCLE_1)
	s_or_b32 s41, s27, s7
	s_mov_b32 s27, 0
	s_and_saveexec_b32 s42, s41
	s_cbranch_execz .LBB2_3445
	s_branch .LBB2_3444
.LBB2_3450:                             ;   in Loop: Header=BB2_3447 Depth=2
	s_add_co_i32 s27, s27, 1
	s_mov_b32 s40, -1
                                        ; implicit-def: $vgpr9
	s_and_saveexec_b32 s42, s41
	s_cbranch_execz .LBB2_3445
	s_branch .LBB2_3444
.LBB2_3451:                             ;   in Loop: Header=BB2_1777 Depth=1
	s_or_b32 exec_lo, exec_lo, s23
	s_xor_b32 s7, s24, -1
	s_delay_alu instid0(SALU_CYCLE_1) | instskip(NEXT) | instid1(SALU_CYCLE_1)
	s_and_saveexec_b32 s23, s7
	s_xor_b32 s7, exec_lo, s23
	s_cbranch_execz .LBB2_3453
; %bb.3452:                             ;   in Loop: Header=BB2_1777 Depth=1
	v_or_b32_e32 v56, 64, v56
	s_wait_storecnt 0x0
	s_wait_loadcnt_dscnt 0x0
	ds_store_b32 v0, v9
	s_trap 2
.LBB2_3453:                             ;   in Loop: Header=BB2_1777 Depth=1
	s_or_b32 exec_lo, exec_lo, s7
.LBB2_3454:                             ;   in Loop: Header=BB2_1777 Depth=1
	s_delay_alu instid0(SALU_CYCLE_1) | instskip(SKIP_4) | instid1(VALU_DEP_2)
	s_or_b32 exec_lo, exec_lo, s22
	v_and_b32_e32 v9, 0x100, v56
	v_and_b32_e32 v38, 7, v8
	s_mov_b32 s7, -1
	;;#ASMSTART
	s_wakeup
	;;#ASMEND
	v_cmp_ne_u32_e32 vcc_lo, 0, v9
                                        ; implicit-def: $vgpr8_vgpr9
	s_and_saveexec_b32 s22, vcc_lo
	s_cbranch_execz .LBB2_3458
; %bb.3455:                             ;   in Loop: Header=BB2_1777 Depth=1
	v_mad_nc_u64_u32 v[12:13], v38, 24, v[6:7]
	flat_load_b32 v8, v[12:13]
	s_wait_loadcnt_dscnt 0x0
	v_cmp_eq_u32_e64 s7, 1, v8
	v_cmp_ne_u32_e32 vcc_lo, 1, v8
                                        ; implicit-def: $vgpr8_vgpr9
	s_wait_xcnt 0x0
	s_and_saveexec_b32 s23, s7
	s_cbranch_execz .LBB2_3457
; %bb.3456:                             ;   in Loop: Header=BB2_1777 Depth=1
	flat_load_b32 v8, v[12:13] offset:4 scope:SCOPE_SYS
	s_wait_loadcnt_dscnt 0x0
	v_ashrrev_i32_e32 v9, 31, v8
.LBB2_3457:                             ;   in Loop: Header=BB2_1777 Depth=1
	s_wait_xcnt 0x0
	s_or_b32 exec_lo, exec_lo, s23
	s_delay_alu instid0(SALU_CYCLE_1)
	s_or_not1_b32 s7, vcc_lo, exec_lo
.LBB2_3458:                             ;   in Loop: Header=BB2_1777 Depth=1
	s_or_b32 exec_lo, exec_lo, s22
	s_and_saveexec_b32 s22, s7
; %bb.3459:                             ;   in Loop: Header=BB2_1777 Depth=1
	v_mul_u64_e32 v[8:9], v[38:39], v[24:25]
; %bb.3460:                             ;   in Loop: Header=BB2_1777 Depth=1
	s_or_b32 exec_lo, exec_lo, s22
	s_delay_alu instid0(VALU_DEP_1)
	v_add_nc_u64_e32 v[8:9], v[26:27], v[8:9]
	v_and_b32_e32 v12, 0x2000, v56
	s_mov_b32 s7, exec_lo
	ds_store_b64 v0, v[8:9] offset:728
	v_cmpx_ne_u32_e32 0, v12
	s_cbranch_execz .LBB2_3462
; %bb.3461:                             ;   in Loop: Header=BB2_1777 Depth=1
	ds_load_b64 v[8:9], v0 offset:872
	s_wait_dscnt 0x0
	v_add_nc_u64_e32 v[8:9], 1, v[8:9]
	ds_store_b64 v0, v[8:9] offset:872
.LBB2_3462:                             ;   in Loop: Header=BB2_1777 Depth=1
	s_or_b32 exec_lo, exec_lo, s7
	v_mov_b64_e32 v[8:9], v[10:11]
.LBB2_3463:                             ;   in Loop: Header=BB2_1777 Depth=1
	s_or_b32 exec_lo, exec_lo, s21
	s_and_saveexec_b32 s7, s2
	s_cbranch_execz .LBB2_3482
; %bb.3464:                             ;   in Loop: Header=BB2_1777 Depth=1
	s_and_saveexec_b32 s21, s3
	s_delay_alu instid0(SALU_CYCLE_1)
	s_xor_b32 s21, exec_lo, s21
	s_cbranch_execz .LBB2_3479
; %bb.3465:                             ;   in Loop: Header=BB2_1777 Depth=1
	s_and_saveexec_b32 s22, s4
	s_cbranch_execz .LBB2_3478
; %bb.3466:                             ;   in Loop: Header=BB2_1777 Depth=1
	s_mov_b32 s24, exec_lo
	s_mov_b32 s23, exec_lo
	v_mbcnt_lo_u32_b32 v10, s24, 0
	global_wb scope:SCOPE_DEV
	s_wait_storecnt 0x0
	s_wait_loadcnt_dscnt 0x0
	global_inv scope:SCOPE_DEV
	v_cmpx_eq_u32_e32 0, v10
	s_cbranch_execz .LBB2_3468
; %bb.3467:                             ;   in Loop: Header=BB2_1777 Depth=1
	s_bcnt1_i32_b32 s24, s24
	s_delay_alu instid0(SALU_CYCLE_1)
	v_mov_b32_e32 v38, s24
	s_wait_loadcnt 0x0
	ds_add_u64 v0, v[38:39]
	s_trap 2
.LBB2_3468:                             ;   in Loop: Header=BB2_1777 Depth=1
	s_or_b32 exec_lo, exec_lo, s23
	s_trap 2
	ds_load_b64 v[10:11], v0
	s_wait_dscnt 0x0
	v_add_nc_u64_e32 v[32:33], v[32:33], v[36:37]
	s_mov_b32 s23, exec_lo
	s_delay_alu instid0(VALU_DEP_1)
	v_cmpx_lt_u64_e64 v[10:11], v[32:33]
	s_cbranch_execz .LBB2_3477
; %bb.3469:                             ;   in Loop: Header=BB2_1777 Depth=1
	s_mov_b32 s24, 0
	s_mov_b32 s27, 0
                                        ; implicit-def: $sgpr25
                                        ; implicit-def: $sgpr26
	s_branch .LBB2_3471
.LBB2_3470:                             ;   in Loop: Header=BB2_3471 Depth=2
	s_or_b32 exec_lo, exec_lo, s29
	s_delay_alu instid0(SALU_CYCLE_1) | instskip(NEXT) | instid1(SALU_CYCLE_1)
	s_and_b32 s28, exec_lo, s40
	s_or_b32 s24, s28, s24
	s_and_not1_b32 s25, s25, exec_lo
	s_and_b32 s28, s26, exec_lo
	s_delay_alu instid0(SALU_CYCLE_1)
	s_or_b32 s25, s25, s28
	s_and_not1_b32 exec_lo, exec_lo, s24
	s_cbranch_execz .LBB2_3475
.LBB2_3471:                             ;   Parent Loop BB2_1777 Depth=1
                                        ; =>  This Inner Loop Header: Depth=2
	s_add_co_i32 s27, s27, 1
	s_delay_alu instid0(SALU_CYCLE_1) | instskip(SKIP_1) | instid1(SALU_CYCLE_1)
	s_cmp_lg_u32 s27, 0x2710
	s_cselect_b32 s28, -1, 0
	s_and_b32 vcc_lo, exec_lo, s28
	s_cbranch_vccz .LBB2_3473
; %bb.3472:                             ;   in Loop: Header=BB2_3471 Depth=2
	s_mov_b32 s40, -1
	s_or_b32 s26, s26, exec_lo
	s_and_saveexec_b32 s29, s28
	s_cbranch_execz .LBB2_3470
	s_branch .LBB2_3474
.LBB2_3473:                             ;   in Loop: Header=BB2_3471 Depth=2
	s_trap 2
	ds_load_b64 v[10:11], v0
	s_and_not1_b32 s28, s28, exec_lo
	s_mov_b32 s27, 0
	s_wait_loadcnt_dscnt 0x0
	flat_load_b32 v10, v[10:11] scope:SCOPE_SYS
	s_wait_loadcnt_dscnt 0x0
	global_inv scope:SCOPE_SYS
	v_cmp_eq_u32_e32 vcc_lo, 0, v10
	s_and_b32 s29, vcc_lo, exec_lo
	s_delay_alu instid0(SALU_CYCLE_1)
	s_or_b32 s28, s28, s29
	s_mov_b32 s40, -1
	s_or_b32 s26, s26, exec_lo
	s_and_saveexec_b32 s29, s28
	s_cbranch_execz .LBB2_3470
.LBB2_3474:                             ;   in Loop: Header=BB2_3471 Depth=2
	s_sleep 1
	s_trap 2
	ds_load_b64 v[10:11], v0
	s_wait_dscnt 0x0
	s_and_not1_b32 s26, s26, exec_lo
	v_cmp_ge_u64_e32 vcc_lo, v[10:11], v[32:33]
	s_or_not1_b32 s40, vcc_lo, exec_lo
	s_branch .LBB2_3470
.LBB2_3475:                             ;   in Loop: Header=BB2_1777 Depth=1
	s_or_b32 exec_lo, exec_lo, s24
	s_and_saveexec_b32 s24, s25
	s_delay_alu instid0(SALU_CYCLE_1)
	s_xor_b32 s24, exec_lo, s24
	s_cbranch_execz .LBB2_3477
; %bb.3476:                             ;   in Loop: Header=BB2_1777 Depth=1
	ds_store_b32 v0, v44
	s_trap 2
.LBB2_3477:                             ;   in Loop: Header=BB2_1777 Depth=1
	s_or_b32 exec_lo, exec_lo, s23
	;;#ASMSTART
	s_wakeup
	;;#ASMEND
.LBB2_3478:                             ;   in Loop: Header=BB2_1777 Depth=1
	s_or_b32 exec_lo, exec_lo, s22
.LBB2_3479:                             ;   in Loop: Header=BB2_1777 Depth=1
	s_and_not1_saveexec_b32 s21, s21
	s_cbranch_execz .LBB2_3481
; %bb.3480:                             ;   in Loop: Header=BB2_1777 Depth=1
	global_wb scope:SCOPE_DEV
	s_wait_storecnt 0x0
	s_wait_loadcnt_dscnt 0x0
	global_inv scope:SCOPE_DEV
	s_barrier_signal -1
	s_barrier_wait -1
.LBB2_3481:                             ;   in Loop: Header=BB2_1777 Depth=1
	s_or_b32 exec_lo, exec_lo, s21
.LBB2_3482:                             ;   in Loop: Header=BB2_1777 Depth=1
	s_delay_alu instid0(SALU_CYCLE_1)
	s_or_b32 exec_lo, exec_lo, s7
	s_trap 2
	ds_load_b32 v10, v0
	v_sub_nc_u32_e32 v11, v66, v14
	s_wait_dscnt 0x0
	v_readfirstlane_b32 s7, v10
	v_and_b32_e32 v10, 16, v56
	s_delay_alu instid0(VALU_DEP_3) | instskip(SKIP_1) | instid1(VALU_DEP_2)
	v_min_i32_e32 v11, v67, v11
	s_cmp_eq_u32 s7, 0
	v_cmp_ne_u32_e64 s7, 0, v10
	s_delay_alu instid0(VALU_DEP_2) | instskip(SKIP_1) | instid1(SALU_CYCLE_1)
	v_cmp_lt_i32_e32 vcc_lo, 0, v11
	s_cselect_b32 s21, -1, 0
	s_and_b32 s21, vcc_lo, s21
	s_delay_alu instid0(SALU_CYCLE_1) | instskip(NEXT) | instid1(SALU_CYCLE_1)
	s_and_b32 s21, s7, s21
	s_and_saveexec_b32 s7, s21
	s_cbranch_execz .LBB2_3484
; %bb.3483:                             ;   in Loop: Header=BB2_1777 Depth=1
	global_wb scope:SCOPE_SYS
	s_wait_loadcnt 0x0
	s_wait_storecnt 0x0
	global_inv scope:SCOPE_SYS
.LBB2_3484:                             ;   in Loop: Header=BB2_1777 Depth=1
	s_or_b32 exec_lo, exec_lo, s7
	v_and_b32_e32 v10, 32, v56
	s_mov_b32 s7, exec_lo
	s_delay_alu instid0(VALU_DEP_1)
	v_cmpx_ne_u32_e32 0, v10
	s_cbranch_execz .LBB2_1775
; %bb.3485:                             ;   in Loop: Header=BB2_1777 Depth=1
	v_add_nc_u64_e32 v[8:9], 1, v[8:9]
	global_wb scope:SCOPE_SYS
	s_wait_loadcnt 0x0
	s_wait_storecnt 0x0
	flat_store_b64 v[22:23], v[8:9] scope:SCOPE_SYS
	s_branch .LBB2_1775
.LBB2_3486:
	s_or_b32 exec_lo, exec_lo, s18
.LBB2_3487:
	s_delay_alu instid0(SALU_CYCLE_1)
	s_or_b32 exec_lo, exec_lo, s17
.LBB2_3488:
	s_delay_alu instid0(SALU_CYCLE_1)
	s_or_b32 exec_lo, exec_lo, s11
                                        ; implicit-def: $vgpr18_vgpr19
                                        ; implicit-def: $vgpr4_vgpr5
                                        ; implicit-def: $vgpr36_vgpr37
                                        ; implicit-def: $vgpr24
                                        ; implicit-def: $vgpr28_vgpr29
                                        ; implicit-def: $vgpr26_vgpr27
                                        ; implicit-def: $vgpr22_vgpr23
                                        ; implicit-def: $vgpr0
                                        ; implicit-def: $vgpr15
                                        ; implicit-def: $vgpr34_vgpr35
.LBB2_3489:
	s_and_not1_saveexec_b32 s11, s16
	s_cbranch_execz .LBB2_3663
; %bb.3490:
	s_wait_dscnt 0x0
	v_mov_b64_e32 v[32:33], 0
	s_mov_b32 s12, exec_lo
	v_cmpx_ne_u64_e32 0, v[4:5]
	s_cbranch_execz .LBB2_3662
; %bb.3491:
	v_dual_ashrrev_i32 v10, 31, v0 :: v_dual_bitop2_b32 v11, 31, v31 bitop3:0x40
	v_ashrrev_i32_e32 v25, 31, v24
	s_ashr_i32 s4, s15, 31
	v_cmp_eq_u32_e32 vcc_lo, 32, v1
	s_delay_alu instid0(VALU_DEP_3)
	v_lshrrev_b32_e32 v10, 27, v10
	s_lshr_b32 s4, s4, 24
	v_mov_b64_e32 v[52:53], 0
	s_add_co_i32 s15, s15, s4
	v_cmp_eq_u32_e64 s4, 0, v11
	v_dual_add_nc_u32 v12, v0, v10 :: v_dual_lshrrev_b32 v10, 5, v1
	v_mov_b32_e32 v13, 0
	v_cmp_ne_u64_e64 s7, 0, v[36:37]
	v_mov_b64_e32 v[54:55], 0
	s_delay_alu instid0(VALU_DEP_4) | instskip(NEXT) | instid1(VALU_DEP_4)
	v_and_b32_e32 v16, 0xffffffe0, v12
	v_dual_mov_b32 v11, v13 :: v_dual_ashrrev_i32 v30, 5, v12
	v_mov_b64_e32 v[32:33], 0
	v_cmp_ge_i32_e64 s1, v0, v1
	s_delay_alu instid0(VALU_DEP_3)
	v_dual_sub_nc_u32 v82, v0, v16 :: v_dual_lshlrev_b32 v12, 10, v30
	v_mov_b32_e32 v17, v13
	v_cmp_ne_u32_e64 s2, 32, v1
	v_cmp_ne_u32_e64 s3, v1, v57
	v_and_b32_e32 v14, 0x1fe0, v1
	v_lshl_add_u32 v48, v82, 4, v12
	v_dual_lshlrev_b32 v16, 10, v10 :: v_dual_lshlrev_b32 v38, 9, v10
	v_dual_mov_b32 v39, v13 :: v_dual_lshlrev_b32 v50, 8, v10
	s_delay_alu instid0(VALU_DEP_3)
	v_dual_mov_b32 v51, v13 :: v_dual_ashrrev_i32 v49, 31, v48
	v_cmp_gt_i32_e64 s5, 1, v82
	v_cmp_lt_i32_e64 s6, v82, v15
	v_dual_mov_b32 v15, v13 :: v_dual_mov_b32 v83, 1
	s_ashr_i32 s15, s15, 8
	s_mov_b32 s13, 0
	s_xor_b32 s16, vcc_lo, -1
	s_trap 2
	s_branch .LBB2_3495
.LBB2_3492:                             ;   in Loop: Header=BB2_3495 Depth=1
	s_wait_xcnt 0x0
	s_or_b32 exec_lo, exec_lo, s17
	v_add_nc_u64_e32 v[8:9], 1, v[8:9]
	global_wb scope:SCOPE_SYS
	s_wait_storecnt 0x0
	s_wait_loadcnt_dscnt 0x0
	flat_store_b64 v[22:23], v[8:9] scope:SCOPE_SYS
.LBB2_3493:                             ;   in Loop: Header=BB2_3495 Depth=1
	s_wait_xcnt 0x0
	s_or_b32 exec_lo, exec_lo, s10
.LBB2_3494:                             ;   in Loop: Header=BB2_3495 Depth=1
	s_delay_alu instid0(SALU_CYCLE_1) | instskip(SKIP_1) | instid1(VALU_DEP_1)
	s_or_b32 exec_lo, exec_lo, s18
	v_add_nc_u64_e32 v[54:55], v[54:55], v[34:35]
	v_cmp_ge_u64_e32 vcc_lo, v[54:55], v[4:5]
	s_or_b32 s13, vcc_lo, s13
	s_delay_alu instid0(SALU_CYCLE_1)
	s_and_not1_b32 exec_lo, exec_lo, s13
	s_cbranch_execz .LBB2_3661
.LBB2_3495:                             ; =>This Loop Header: Depth=1
                                        ;     Child Loop BB2_3504 Depth 2
                                        ;     Child Loop BB2_3528 Depth 2
	;; [unrolled: 1-line block ×10, first 2 shown]
	v_sub_nc_u64_e32 v[64:65], v[4:5], v[54:55]
	s_delay_alu instid0(VALU_DEP_1) | instskip(NEXT) | instid1(VALU_DEP_1)
	v_min_u64 v[64:65], v[34:35], v[64:65]
	v_add_nc_u32_e32 v12, 15, v64
	s_delay_alu instid0(VALU_DEP_2) | instskip(NEXT) | instid1(VALU_DEP_2)
	v_cmp_eq_u64_e32 vcc_lo, 0, v[64:65]
	v_and_b32_e32 v12, 0x7ffffff0, v12
	s_or_b32 s17, s1, vcc_lo
	s_delay_alu instid0(SALU_CYCLE_1) | instskip(NEXT) | instid1(VALU_DEP_1)
	s_xor_b32 s10, s17, -1
	v_dual_mov_b32 v12, 0 :: v_dual_max_i32 v66, s15, v12
	s_and_saveexec_b32 s18, s10
	s_cbranch_execz .LBB2_3614
; %bb.3496:                             ;   in Loop: Header=BB2_3495 Depth=1
	s_and_saveexec_b32 s10, s0
	s_cbranch_execz .LBB2_3498
; %bb.3497:                             ;   in Loop: Header=BB2_3495 Depth=1
	s_trap 2
	ds_load_b64 v[68:69], v0
	s_wait_dscnt 0x0
	v_add_nc_u64_e32 v[68:69], v[68:69], v[18:19]
	s_delay_alu instid0(VALU_DEP_1)
	v_add_nc_u64_e32 v[68:69], v[68:69], v[54:55]
	ds_store_b64 v0, v[68:69]
	ds_store_b64 v0, v[52:53]
.LBB2_3498:                             ;   in Loop: Header=BB2_3495 Depth=1
	s_or_b32 exec_lo, exec_lo, s10
	v_and_b32_e32 v12, 8, v56
	v_min_u32_e32 v66, v66, v64
	s_mov_b32 s19, exec_lo
	s_delay_alu instid0(VALU_DEP_2)
	v_cmpx_ne_u32_e32 0, v12
	s_cbranch_execz .LBB2_3520
; %bb.3499:                             ;   in Loop: Header=BB2_3495 Depth=1
	s_wait_loadcnt 0x0
	v_add_nc_u64_e32 v[70:71], 8, v[28:29]
	v_add_nc_u64_e32 v[68:69], 1, v[8:9]
	s_mov_b32 s20, exec_lo
	s_delay_alu instid0(VALU_DEP_1)
	v_cmpx_lt_u64_e64 v[70:71], v[68:69]
	s_cbranch_execz .LBB2_3511
; %bb.3500:                             ;   in Loop: Header=BB2_3495 Depth=1
	v_and_b32_e32 v9, 64, v56
	s_mov_b32 s21, 0
	s_mov_b32 s25, 0
                                        ; implicit-def: $sgpr22
                                        ; implicit-def: $sgpr23
                                        ; implicit-def: $sgpr24
	s_delay_alu instid0(VALU_DEP_1)
	v_cmp_eq_u32_e32 vcc_lo, 0, v9
	s_branch .LBB2_3504
.LBB2_3501:                             ;   in Loop: Header=BB2_3504 Depth=2
	s_wait_loadcnt_dscnt 0x0
	v_add_nc_u64_e32 v[70:71], 8, v[28:29]
	s_or_b32 s28, s28, exec_lo
	s_delay_alu instid0(VALU_DEP_1)
	v_cmp_ge_u64_e64 s10, v[70:71], v[68:69]
	s_or_not1_b32 s27, s10, exec_lo
.LBB2_3502:                             ;   in Loop: Header=BB2_3504 Depth=2
	s_or_b32 exec_lo, exec_lo, s40
	s_delay_alu instid0(SALU_CYCLE_1)
	s_and_not1_b32 s10, s24, exec_lo
	s_and_b32 s24, s28, exec_lo
	s_and_not1_b32 s23, s23, exec_lo
	s_and_b32 s27, s27, exec_lo
	s_or_b32 s24, s10, s24
	s_or_b32 s23, s23, s27
.LBB2_3503:                             ;   in Loop: Header=BB2_3504 Depth=2
	s_or_b32 exec_lo, exec_lo, s26
	s_delay_alu instid0(SALU_CYCLE_1) | instskip(NEXT) | instid1(SALU_CYCLE_1)
	s_and_b32 s10, exec_lo, s23
	s_or_b32 s21, s10, s21
	s_and_not1_b32 s10, s22, exec_lo
	s_and_b32 s22, s24, exec_lo
	s_delay_alu instid0(SALU_CYCLE_1)
	s_or_b32 s22, s10, s22
	s_and_not1_b32 exec_lo, exec_lo, s21
	s_cbranch_execz .LBB2_3508
.LBB2_3504:                             ;   Parent Loop BB2_3495 Depth=1
                                        ; =>  This Inner Loop Header: Depth=2
	s_sleep 1
	s_wait_loadcnt_dscnt 0x0
	flat_load_b64 v[28:29], v[22:23] scope:SCOPE_SYS
	s_or_b32 s24, s24, exec_lo
	s_or_b32 s23, s23, exec_lo
                                        ; implicit-def: $vgpr9
	s_wait_xcnt 0x0
	s_and_saveexec_b32 s26, vcc_lo
	s_cbranch_execz .LBB2_3503
; %bb.3505:                             ;   in Loop: Header=BB2_3504 Depth=2
	s_cmp_lt_i32 s25, 0x270f
	s_mov_b32 s27, -1
	s_cselect_b32 s29, -1, 0
	s_cmp_gt_i32 s25, 0x270e
	s_cbranch_scc0 .LBB2_3507
; %bb.3506:                             ;   in Loop: Header=BB2_3504 Depth=2
	s_trap 2
	ds_load_b64 v[70:71], v0
	s_and_not1_b32 s25, s29, exec_lo
	s_mov_b32 s28, 0
	s_wait_storecnt 0x0
	s_wait_loadcnt_dscnt 0x0
	flat_load_b32 v9, v[70:71] scope:SCOPE_SYS
	s_wait_loadcnt_dscnt 0x0
	global_inv scope:SCOPE_SYS
	v_cmp_eq_u32_e64 s10, 0, v9
	s_and_b32 s10, s10, exec_lo
	s_delay_alu instid0(SALU_CYCLE_1)
	s_or_b32 s29, s25, s10
	s_mov_b32 s25, 0
	s_and_saveexec_b32 s40, s29
	s_cbranch_execz .LBB2_3502
	s_branch .LBB2_3501
.LBB2_3507:                             ;   in Loop: Header=BB2_3504 Depth=2
	s_add_co_i32 s25, s25, 1
	s_mov_b32 s28, -1
                                        ; implicit-def: $vgpr9
	s_and_saveexec_b32 s40, s29
	s_cbranch_execz .LBB2_3502
	s_branch .LBB2_3501
.LBB2_3508:                             ;   in Loop: Header=BB2_3495 Depth=1
	s_or_b32 exec_lo, exec_lo, s21
	s_xor_b32 s10, s22, -1
	s_delay_alu instid0(SALU_CYCLE_1) | instskip(NEXT) | instid1(SALU_CYCLE_1)
	s_and_saveexec_b32 s21, s10
	s_xor_b32 s10, exec_lo, s21
	s_cbranch_execz .LBB2_3510
; %bb.3509:                             ;   in Loop: Header=BB2_3495 Depth=1
	v_or_b32_e32 v56, 64, v56
	s_wait_storecnt 0x0
	s_wait_loadcnt_dscnt 0x0
	ds_store_b32 v0, v9
	s_trap 2
.LBB2_3510:                             ;   in Loop: Header=BB2_3495 Depth=1
	s_or_b32 exec_lo, exec_lo, s10
.LBB2_3511:                             ;   in Loop: Header=BB2_3495 Depth=1
	s_delay_alu instid0(SALU_CYCLE_1) | instskip(SKIP_4) | instid1(VALU_DEP_2)
	s_or_b32 exec_lo, exec_lo, s20
	v_and_b32_e32 v9, 0x100, v56
	v_and_b32_e32 v12, 7, v8
	s_mov_b32 s10, -1
	;;#ASMSTART
	s_wakeup
	;;#ASMEND
	v_cmp_ne_u32_e32 vcc_lo, 0, v9
                                        ; implicit-def: $vgpr8_vgpr9
	s_and_saveexec_b32 s20, vcc_lo
	s_cbranch_execz .LBB2_3515
; %bb.3512:                             ;   in Loop: Header=BB2_3495 Depth=1
	v_mad_nc_u64_u32 v[70:71], v12, 24, v[6:7]
	v_mov_b32_e32 v67, v13
	s_clause 0x1
	flat_load_b32 v8, v[70:71]
	flat_store_b64 v[70:71], v[66:67] offset:8
	s_wait_loadcnt_dscnt 0x1
	v_cmp_eq_u32_e64 s10, 1, v8
	v_cmp_ne_u32_e32 vcc_lo, 1, v8
                                        ; implicit-def: $vgpr8_vgpr9
	s_wait_xcnt 0x0
	s_and_saveexec_b32 s21, s10
	s_cbranch_execz .LBB2_3514
; %bb.3513:                             ;   in Loop: Header=BB2_3495 Depth=1
	flat_load_b32 v8, v[70:71] offset:4 scope:SCOPE_SYS
	s_wait_loadcnt_dscnt 0x0
	v_ashrrev_i32_e32 v9, 31, v8
.LBB2_3514:                             ;   in Loop: Header=BB2_3495 Depth=1
	s_wait_xcnt 0x0
	s_or_b32 exec_lo, exec_lo, s21
	s_delay_alu instid0(SALU_CYCLE_1)
	s_or_not1_b32 s10, vcc_lo, exec_lo
.LBB2_3515:                             ;   in Loop: Header=BB2_3495 Depth=1
	s_or_b32 exec_lo, exec_lo, s20
	s_and_saveexec_b32 s20, s10
; %bb.3516:                             ;   in Loop: Header=BB2_3495 Depth=1
	v_mul_u64_e32 v[8:9], v[12:13], v[24:25]
; %bb.3517:                             ;   in Loop: Header=BB2_3495 Depth=1
	s_or_b32 exec_lo, exec_lo, s20
	s_delay_alu instid0(VALU_DEP_1)
	v_add_nc_u64_e32 v[8:9], v[26:27], v[8:9]
	v_and_b32_e32 v12, 0x2000, v56
	s_mov_b32 s10, exec_lo
	ds_store_b64 v0, v[8:9] offset:784
	v_cmpx_ne_u32_e32 0, v12
	s_cbranch_execz .LBB2_3519
; %bb.3518:                             ;   in Loop: Header=BB2_3495 Depth=1
	ds_load_b64 v[8:9], v0 offset:872
	s_wait_dscnt 0x0
	v_add_nc_u64_e32 v[8:9], 1, v[8:9]
	ds_store_b64 v0, v[8:9] offset:872
.LBB2_3519:                             ;   in Loop: Header=BB2_3495 Depth=1
	s_or_b32 exec_lo, exec_lo, s10
	v_mov_b64_e32 v[8:9], v[68:69]
.LBB2_3520:                             ;   in Loop: Header=BB2_3495 Depth=1
	s_or_b32 exec_lo, exec_lo, s19
	s_and_saveexec_b32 s10, s2
	s_cbranch_execz .LBB2_3539
; %bb.3521:                             ;   in Loop: Header=BB2_3495 Depth=1
	s_and_saveexec_b32 s19, s3
	s_delay_alu instid0(SALU_CYCLE_1)
	s_xor_b32 s19, exec_lo, s19
	s_cbranch_execz .LBB2_3536
; %bb.3522:                             ;   in Loop: Header=BB2_3495 Depth=1
	s_and_saveexec_b32 s20, s4
	s_cbranch_execz .LBB2_3535
; %bb.3523:                             ;   in Loop: Header=BB2_3495 Depth=1
	s_mov_b32 s22, exec_lo
	s_mov_b32 s21, exec_lo
	v_mbcnt_lo_u32_b32 v12, s22, 0
	global_wb scope:SCOPE_DEV
	s_wait_storecnt 0x0
	s_wait_loadcnt_dscnt 0x0
	global_inv scope:SCOPE_DEV
	v_cmpx_eq_u32_e32 0, v12
	s_cbranch_execz .LBB2_3525
; %bb.3524:                             ;   in Loop: Header=BB2_3495 Depth=1
	s_bcnt1_i32_b32 s22, s22
	s_delay_alu instid0(SALU_CYCLE_1)
	v_mov_b32_e32 v12, s22
	s_wait_loadcnt 0x0
	ds_add_u64 v0, v[12:13]
	s_trap 2
.LBB2_3525:                             ;   in Loop: Header=BB2_3495 Depth=1
	s_or_b32 exec_lo, exec_lo, s21
	s_trap 2
	ds_load_b64 v[68:69], v0
	s_wait_dscnt 0x0
	v_add_nc_u64_e32 v[32:33], v[32:33], v[10:11]
	s_mov_b32 s21, exec_lo
	s_delay_alu instid0(VALU_DEP_1)
	v_cmpx_lt_u64_e64 v[68:69], v[32:33]
	s_cbranch_execz .LBB2_3534
; %bb.3526:                             ;   in Loop: Header=BB2_3495 Depth=1
	s_mov_b32 s22, 0
	s_mov_b32 s25, 0
                                        ; implicit-def: $sgpr23
                                        ; implicit-def: $sgpr24
	s_branch .LBB2_3528
.LBB2_3527:                             ;   in Loop: Header=BB2_3528 Depth=2
	s_or_b32 exec_lo, exec_lo, s27
	s_delay_alu instid0(SALU_CYCLE_1) | instskip(NEXT) | instid1(SALU_CYCLE_1)
	s_and_b32 s26, exec_lo, s28
	s_or_b32 s22, s26, s22
	s_and_not1_b32 s23, s23, exec_lo
	s_and_b32 s26, s24, exec_lo
	s_delay_alu instid0(SALU_CYCLE_1)
	s_or_b32 s23, s23, s26
	s_and_not1_b32 exec_lo, exec_lo, s22
	s_cbranch_execz .LBB2_3532
.LBB2_3528:                             ;   Parent Loop BB2_3495 Depth=1
                                        ; =>  This Inner Loop Header: Depth=2
	s_add_co_i32 s25, s25, 1
	s_delay_alu instid0(SALU_CYCLE_1) | instskip(SKIP_1) | instid1(SALU_CYCLE_1)
	s_cmp_lg_u32 s25, 0x2710
	s_cselect_b32 s26, -1, 0
	s_and_b32 vcc_lo, exec_lo, s26
	s_cbranch_vccz .LBB2_3530
; %bb.3529:                             ;   in Loop: Header=BB2_3528 Depth=2
	s_mov_b32 s28, -1
	s_or_b32 s24, s24, exec_lo
	s_and_saveexec_b32 s27, s26
	s_cbranch_execz .LBB2_3527
	s_branch .LBB2_3531
.LBB2_3530:                             ;   in Loop: Header=BB2_3528 Depth=2
	s_trap 2
	ds_load_b64 v[68:69], v0
	s_and_not1_b32 s26, s26, exec_lo
	s_mov_b32 s25, 0
	s_wait_loadcnt_dscnt 0x0
	flat_load_b32 v12, v[68:69] scope:SCOPE_SYS
	s_wait_loadcnt_dscnt 0x0
	global_inv scope:SCOPE_SYS
	v_cmp_eq_u32_e32 vcc_lo, 0, v12
	s_and_b32 s27, vcc_lo, exec_lo
	s_delay_alu instid0(SALU_CYCLE_1)
	s_or_b32 s26, s26, s27
	s_mov_b32 s28, -1
	s_or_b32 s24, s24, exec_lo
	s_and_saveexec_b32 s27, s26
	s_cbranch_execz .LBB2_3527
.LBB2_3531:                             ;   in Loop: Header=BB2_3528 Depth=2
	s_sleep 1
	s_trap 2
	ds_load_b64 v[68:69], v0
	s_wait_dscnt 0x0
	s_and_not1_b32 s24, s24, exec_lo
	v_cmp_ge_u64_e32 vcc_lo, v[68:69], v[32:33]
	s_or_not1_b32 s28, vcc_lo, exec_lo
	s_branch .LBB2_3527
.LBB2_3532:                             ;   in Loop: Header=BB2_3495 Depth=1
	s_or_b32 exec_lo, exec_lo, s22
	s_and_saveexec_b32 s22, s23
	s_delay_alu instid0(SALU_CYCLE_1)
	s_xor_b32 s22, exec_lo, s22
	s_cbranch_execz .LBB2_3534
; %bb.3533:                             ;   in Loop: Header=BB2_3495 Depth=1
	ds_store_b32 v0, v83
	s_trap 2
.LBB2_3534:                             ;   in Loop: Header=BB2_3495 Depth=1
	s_or_b32 exec_lo, exec_lo, s21
	;;#ASMSTART
	s_wakeup
	;;#ASMEND
.LBB2_3535:                             ;   in Loop: Header=BB2_3495 Depth=1
	s_or_b32 exec_lo, exec_lo, s20
.LBB2_3536:                             ;   in Loop: Header=BB2_3495 Depth=1
	s_and_not1_saveexec_b32 s19, s19
	s_cbranch_execz .LBB2_3538
; %bb.3537:                             ;   in Loop: Header=BB2_3495 Depth=1
	global_wb scope:SCOPE_DEV
	s_wait_storecnt 0x0
	s_wait_loadcnt_dscnt 0x0
	global_inv scope:SCOPE_DEV
	s_barrier_signal -1
	s_barrier_wait -1
.LBB2_3538:                             ;   in Loop: Header=BB2_3495 Depth=1
	s_or_b32 exec_lo, exec_lo, s19
.LBB2_3539:                             ;   in Loop: Header=BB2_3495 Depth=1
	s_delay_alu instid0(SALU_CYCLE_1) | instskip(SKIP_3) | instid1(VALU_DEP_1)
	s_or_b32 exec_lo, exec_lo, s10
	s_trap 2
	ds_load_b32 v65, v0
	v_and_b32_e32 v12, 0x4000, v56
	v_cmp_ne_u32_e32 vcc_lo, 0, v12
	s_and_b32 s19, s16, vcc_lo
	s_delay_alu instid0(SALU_CYCLE_1)
	s_and_saveexec_b32 s10, s19
	s_cbranch_execz .LBB2_3558
; %bb.3540:                             ;   in Loop: Header=BB2_3495 Depth=1
	s_and_saveexec_b32 s19, s3
	s_delay_alu instid0(SALU_CYCLE_1)
	s_xor_b32 s19, exec_lo, s19
	s_cbranch_execz .LBB2_3555
; %bb.3541:                             ;   in Loop: Header=BB2_3495 Depth=1
	s_and_saveexec_b32 s20, s4
	s_cbranch_execz .LBB2_3554
; %bb.3542:                             ;   in Loop: Header=BB2_3495 Depth=1
	s_mov_b32 s22, exec_lo
	s_mov_b32 s21, exec_lo
	v_mbcnt_lo_u32_b32 v12, s22, 0
	global_wb scope:SCOPE_DEV
	s_wait_storecnt 0x0
	s_wait_loadcnt_dscnt 0x0
	global_inv scope:SCOPE_DEV
	v_cmpx_eq_u32_e32 0, v12
	s_cbranch_execz .LBB2_3544
; %bb.3543:                             ;   in Loop: Header=BB2_3495 Depth=1
	s_bcnt1_i32_b32 s22, s22
	s_delay_alu instid0(SALU_CYCLE_1)
	v_mov_b32_e32 v12, s22
	s_wait_loadcnt 0x0
	ds_add_u64 v0, v[12:13]
	s_trap 2
.LBB2_3544:                             ;   in Loop: Header=BB2_3495 Depth=1
	s_or_b32 exec_lo, exec_lo, s21
	s_trap 2
	ds_load_b64 v[68:69], v0
	s_wait_dscnt 0x0
	v_add_nc_u64_e32 v[32:33], v[32:33], v[10:11]
	s_mov_b32 s21, exec_lo
	s_delay_alu instid0(VALU_DEP_1)
	v_cmpx_lt_u64_e64 v[68:69], v[32:33]
	s_cbranch_execz .LBB2_3553
; %bb.3545:                             ;   in Loop: Header=BB2_3495 Depth=1
	s_mov_b32 s22, 0
	s_mov_b32 s25, 0
                                        ; implicit-def: $sgpr23
                                        ; implicit-def: $sgpr24
	s_branch .LBB2_3547
.LBB2_3546:                             ;   in Loop: Header=BB2_3547 Depth=2
	s_or_b32 exec_lo, exec_lo, s27
	s_delay_alu instid0(SALU_CYCLE_1) | instskip(NEXT) | instid1(SALU_CYCLE_1)
	s_and_b32 s26, exec_lo, s28
	s_or_b32 s22, s26, s22
	s_and_not1_b32 s23, s23, exec_lo
	s_and_b32 s26, s24, exec_lo
	s_delay_alu instid0(SALU_CYCLE_1)
	s_or_b32 s23, s23, s26
	s_and_not1_b32 exec_lo, exec_lo, s22
	s_cbranch_execz .LBB2_3551
.LBB2_3547:                             ;   Parent Loop BB2_3495 Depth=1
                                        ; =>  This Inner Loop Header: Depth=2
	s_add_co_i32 s25, s25, 1
	s_delay_alu instid0(SALU_CYCLE_1) | instskip(SKIP_1) | instid1(SALU_CYCLE_1)
	s_cmp_lg_u32 s25, 0x2710
	s_cselect_b32 s26, -1, 0
	s_and_b32 vcc_lo, exec_lo, s26
	s_cbranch_vccz .LBB2_3549
; %bb.3548:                             ;   in Loop: Header=BB2_3547 Depth=2
	s_mov_b32 s28, -1
	s_or_b32 s24, s24, exec_lo
	s_and_saveexec_b32 s27, s26
	s_cbranch_execz .LBB2_3546
	s_branch .LBB2_3550
.LBB2_3549:                             ;   in Loop: Header=BB2_3547 Depth=2
	s_trap 2
	ds_load_b64 v[68:69], v0
	s_and_not1_b32 s26, s26, exec_lo
	s_mov_b32 s25, 0
	s_wait_loadcnt_dscnt 0x0
	flat_load_b32 v12, v[68:69] scope:SCOPE_SYS
	s_wait_loadcnt_dscnt 0x0
	global_inv scope:SCOPE_SYS
	v_cmp_eq_u32_e32 vcc_lo, 0, v12
	s_and_b32 s27, vcc_lo, exec_lo
	s_delay_alu instid0(SALU_CYCLE_1)
	s_or_b32 s26, s26, s27
	s_mov_b32 s28, -1
	s_or_b32 s24, s24, exec_lo
	s_and_saveexec_b32 s27, s26
	s_cbranch_execz .LBB2_3546
.LBB2_3550:                             ;   in Loop: Header=BB2_3547 Depth=2
	s_sleep 1
	s_trap 2
	ds_load_b64 v[68:69], v0
	s_wait_dscnt 0x0
	s_and_not1_b32 s24, s24, exec_lo
	v_cmp_ge_u64_e32 vcc_lo, v[68:69], v[32:33]
	s_or_not1_b32 s28, vcc_lo, exec_lo
	s_branch .LBB2_3546
.LBB2_3551:                             ;   in Loop: Header=BB2_3495 Depth=1
	s_or_b32 exec_lo, exec_lo, s22
	s_and_saveexec_b32 s22, s23
	s_delay_alu instid0(SALU_CYCLE_1)
	s_xor_b32 s22, exec_lo, s22
	s_cbranch_execz .LBB2_3553
; %bb.3552:                             ;   in Loop: Header=BB2_3495 Depth=1
	ds_store_b32 v0, v83
	s_trap 2
.LBB2_3553:                             ;   in Loop: Header=BB2_3495 Depth=1
	s_or_b32 exec_lo, exec_lo, s21
	;;#ASMSTART
	s_wakeup
	;;#ASMEND
.LBB2_3554:                             ;   in Loop: Header=BB2_3495 Depth=1
	s_or_b32 exec_lo, exec_lo, s20
.LBB2_3555:                             ;   in Loop: Header=BB2_3495 Depth=1
	s_and_not1_saveexec_b32 s19, s19
	s_cbranch_execz .LBB2_3557
; %bb.3556:                             ;   in Loop: Header=BB2_3495 Depth=1
	global_wb scope:SCOPE_DEV
	s_wait_storecnt 0x0
	s_wait_loadcnt_dscnt 0x0
	global_inv scope:SCOPE_DEV
	s_barrier_signal -1
	s_barrier_wait -1
.LBB2_3557:                             ;   in Loop: Header=BB2_3495 Depth=1
	s_or_b32 exec_lo, exec_lo, s19
.LBB2_3558:                             ;   in Loop: Header=BB2_3495 Depth=1
	s_delay_alu instid0(SALU_CYCLE_1)
	s_or_b32 exec_lo, exec_lo, s10
	s_trap 2
	ds_load_b64 v[68:69], v0
	s_wait_dscnt 0x0
	v_cmp_eq_u64_e32 vcc_lo, 0, v[68:69]
	s_cbranch_vccnz .LBB2_3566
; %bb.3559:                             ;   in Loop: Header=BB2_3495 Depth=1
	s_trap 2
	ds_load_b64 v[70:71], v0
	s_wait_dscnt 0x0
	v_cmp_eq_u64_e32 vcc_lo, 0, v[70:71]
	s_cbranch_vccnz .LBB2_3566
; %bb.3560:                             ;   in Loop: Header=BB2_3495 Depth=1
	s_mov_b32 s10, -1
	s_and_saveexec_b32 s19, s5
	s_cbranch_execz .LBB2_3562
; %bb.3561:                             ;   in Loop: Header=BB2_3495 Depth=1
	ds_load_b32 v12, v0 offset:720
	s_wait_dscnt 0x0
	v_and_b32_e32 v12, 15, v12
	s_delay_alu instid0(VALU_DEP_1)
	v_cmp_eq_u32_e32 vcc_lo, 0, v12
	s_or_not1_b32 s10, vcc_lo, exec_lo
.LBB2_3562:                             ;   in Loop: Header=BB2_3495 Depth=1
	s_or_b32 exec_lo, exec_lo, s19
	s_and_saveexec_b32 s19, s6
	s_cbranch_execz .LBB2_3564
; %bb.3563:                             ;   in Loop: Header=BB2_3495 Depth=1
	ds_load_b32 v12, v0 offset:784
	s_wait_dscnt 0x0
	v_and_b32_e32 v12, 15, v12
	s_delay_alu instid0(VALU_DEP_1) | instskip(SKIP_3) | instid1(SALU_CYCLE_1)
	v_cmp_eq_u32_e32 vcc_lo, 0, v12
	s_and_b32 s20, s10, vcc_lo
	s_and_not1_b32 s10, s10, exec_lo
	s_and_b32 s20, s20, exec_lo
	s_or_b32 s10, s10, s20
.LBB2_3564:                             ;   in Loop: Header=BB2_3495 Depth=1
	s_or_b32 exec_lo, exec_lo, s19
	v_cmp_eq_u32_e32 vcc_lo, 0, v65
	s_xor_b32 s10, s10, -1
	v_mov_b32_e32 v80, v30
	v_cndmask_b32_e64 v67, 0, 1, s10
	s_mov_b32 s20, -1
	v_dual_cndmask_b32 v12, 0, v66 :: v_dual_mov_b32 v65, 0
	v_mov_b32_e32 v84, v0
	s_delay_alu instid0(VALU_DEP_3) | instskip(NEXT) | instid1(VALU_DEP_3)
	v_cmp_ne_u32_e32 vcc_lo, 0, v67
	v_mov_b32_e32 v67, v12
	s_cbranch_vccz .LBB2_3567
; %bb.3565:                             ;   in Loop: Header=BB2_3495 Depth=1
	s_and_saveexec_b32 s10, s20
	s_cbranch_execnz .LBB2_3580
	s_branch .LBB2_3588
.LBB2_3566:                             ;   in Loop: Header=BB2_3495 Depth=1
	s_mov_b32 s10, 0
	s_and_saveexec_b32 s19, s2
	s_cbranch_execnz .LBB2_3589
	s_branch .LBB2_3607
.LBB2_3567:                             ;   in Loop: Header=BB2_3495 Depth=1
	v_lshrrev_b32_e32 v65, 10, v12
	s_mov_b32 s10, exec_lo
	s_delay_alu instid0(VALU_DEP_1) | instskip(NEXT) | instid1(VALU_DEP_1)
	v_sub_nc_u32_e32 v85, v65, v30
	v_cmpx_lt_i32_e32 0, v85
	s_cbranch_execz .LBB2_3571
; %bb.3568:                             ;   in Loop: Header=BB2_3495 Depth=1
	v_mov_b64_e32 v[80:81], v[48:49]
	s_mov_b32 s19, 0
.LBB2_3569:                             ;   Parent Loop BB2_3495 Depth=1
                                        ; =>  This Inner Loop Header: Depth=2
	s_delay_alu instid0(VALU_DEP_1)
	v_add_nc_u64_e32 v[86:87], v[68:69], v[80:81]
	v_sub_nc_u32_e32 v85, v85, v10
	s_clause 0x1
	global_load_b128 v[96:99], v[86:87], off th:TH_LOAD_NT
	global_load_b128 v[100:103], v[86:87], off offset:512 th:TH_LOAD_NT
	s_wait_xcnt 0x0
	v_add_nc_u64_e32 v[86:87], v[70:71], v[80:81]
	v_cmp_gt_i32_e32 vcc_lo, 1, v85
	v_add_nc_u64_e32 v[80:81], v[80:81], v[16:17]
	s_wait_loadcnt 0x1
	global_store_b128 v[86:87], v[96:99], off th:TH_STORE_NT
	s_wait_loadcnt 0x0
	global_store_b128 v[86:87], v[100:103], off offset:512 th:TH_STORE_NT
	s_or_b32 s19, vcc_lo, s19
	s_wait_xcnt 0x0
	s_and_not1_b32 exec_lo, exec_lo, s19
	s_cbranch_execnz .LBB2_3569
; %bb.3570:                             ;   in Loop: Header=BB2_3495 Depth=1
	s_or_b32 exec_lo, exec_lo, s19
.LBB2_3571:                             ;   in Loop: Header=BB2_3495 Depth=1
	s_delay_alu instid0(SALU_CYCLE_1) | instskip(SKIP_4) | instid1(VALU_DEP_2)
	s_or_b32 exec_lo, exec_lo, s10
	v_and_b32_e32 v81, 0x3ffffc00, v12
	v_mov_b32_e32 v65, 0
	s_mov_b32 s20, 0
	s_mov_b32 s19, exec_lo
                                        ; implicit-def: $vgpr67
                                        ; implicit-def: $vgpr84
                                        ; implicit-def: $vgpr80
	v_cmpx_ne_u32_e64 v12, v81
	s_cbranch_execz .LBB2_3579
; %bb.3572:                             ;   in Loop: Header=BB2_3495 Depth=1
	v_lshlrev_b32_e32 v65, 5, v85
	v_bfe_u32 v87, v12, 9, 1
	v_and_b32_e32 v86, 0x3ff, v12
	s_mov_b32 s20, exec_lo
	s_delay_alu instid0(VALU_DEP_3) | instskip(NEXT) | instid1(VALU_DEP_1)
	v_sub_nc_u32_e32 v65, v82, v65
	v_ashrrev_i32_e32 v67, 31, v65
	s_delay_alu instid0(VALU_DEP_1) | instskip(NEXT) | instid1(VALU_DEP_1)
	v_lshrrev_b32_e32 v67, 27, v67
	v_add_nc_u32_e32 v67, v65, v67
	s_delay_alu instid0(VALU_DEP_1) | instskip(NEXT) | instid1(VALU_DEP_1)
	v_and_b32_e32 v80, 0xffffffe0, v67
	v_dual_ashrrev_i32 v84, 5, v67 :: v_dual_sub_nc_u32 v85, v65, v80
	v_and_b32_e32 v65, 0x1ff, v12
	s_delay_alu instid0(VALU_DEP_2) | instskip(NEXT) | instid1(VALU_DEP_2)
	v_lshlrev_b32_e32 v67, 4, v85
	v_cmp_lt_u32_e32 vcc_lo, 15, v65
	s_delay_alu instid0(VALU_DEP_2) | instskip(SKIP_1) | instid1(VALU_DEP_2)
	v_lshl_add_u32 v80, v84, 9, v67
	v_add_co_ci_u32_e64 v87, null, 0, v87, vcc_lo
	v_sub_nc_u32_e32 v67, v86, v80
	s_delay_alu instid0(VALU_DEP_2) | instskip(NEXT) | instid1(VALU_DEP_2)
	v_sub_nc_u32_e32 v86, v87, v84
	v_cmpx_lt_i32_e32 15, v67
	s_cbranch_execz .LBB2_3576
; %bb.3573:                             ;   in Loop: Header=BB2_3495 Depth=1
	v_add_nc_u32_e32 v80, v80, v81
	s_mov_b32 s21, 0
	s_delay_alu instid0(VALU_DEP_1)
	v_ashrrev_i32_e32 v81, 31, v80
.LBB2_3574:                             ;   Parent Loop BB2_3495 Depth=1
                                        ; =>  This Inner Loop Header: Depth=2
	s_delay_alu instid0(VALU_DEP_1) | instskip(SKIP_4) | instid1(VALU_DEP_4)
	v_add_nc_u64_e32 v[96:97], v[68:69], v[80:81]
	v_sub_nc_u32_e32 v67, v67, v38
	v_add_nc_u64_e32 v[100:101], v[70:71], v[80:81]
	v_add_nc_u64_e32 v[80:81], v[80:81], v[38:39]
	v_sub_nc_u32_e32 v86, v86, v10
	v_cmp_gt_i32_e64 s10, 16, v67
	global_load_b128 v[96:99], v[96:97], off th:TH_LOAD_NT
	s_or_b32 s21, s10, s21
	s_wait_loadcnt 0x0
	global_store_b128 v[100:101], v[96:99], off th:TH_STORE_NT
	s_wait_xcnt 0x0
	s_and_not1_b32 exec_lo, exec_lo, s21
	s_cbranch_execnz .LBB2_3574
; %bb.3575:                             ;   in Loop: Header=BB2_3495 Depth=1
	s_or_b32 exec_lo, exec_lo, s21
.LBB2_3576:                             ;   in Loop: Header=BB2_3495 Depth=1
	s_delay_alu instid0(SALU_CYCLE_1) | instskip(SKIP_3) | instid1(VALU_DEP_1)
	s_or_b32 exec_lo, exec_lo, s20
	v_and_b32_e32 v67, 15, v12
	s_mov_b32 s20, 0
	s_mov_b32 s21, exec_lo
                                        ; implicit-def: $vgpr84
                                        ; implicit-def: $vgpr80
	v_dual_cndmask_b32 v67, v65, v67, vcc_lo :: v_dual_mov_b32 v65, 0
	s_delay_alu instid0(VALU_DEP_1)
	v_cmpx_ne_u32_e32 0, v67
	s_cbranch_execz .LBB2_3578
; %bb.3577:                             ;   in Loop: Header=BB2_3495 Depth=1
	v_cmp_lt_i32_e64 s10, 0, v86
	v_and_b32_e32 v80, 0x1f0, v12
	s_mov_b32 s20, exec_lo
	s_delay_alu instid0(VALU_DEP_1) | instskip(NEXT) | instid1(VALU_DEP_1)
	v_dual_cndmask_b32 v65, 0, v10, s10 :: v_dual_cndmask_b32 v80, 0, v80, vcc_lo
	v_sub_nc_u32_e32 v65, v65, v86
	s_delay_alu instid0(VALU_DEP_1) | instskip(NEXT) | instid1(VALU_DEP_1)
	v_lshl_add_u32 v84, v65, 5, v85
	v_ashrrev_i32_e32 v65, 31, v84
	s_delay_alu instid0(VALU_DEP_1) | instskip(NEXT) | instid1(VALU_DEP_1)
	v_lshrrev_b32_e32 v65, 27, v65
	v_add_nc_u32_e32 v81, v84, v65
	v_and_or_b32 v65, 0x3ffffe00, v12, v80
	s_delay_alu instid0(VALU_DEP_2)
	v_ashrrev_i32_e32 v80, 5, v81
.LBB2_3578:                             ;   in Loop: Header=BB2_3495 Depth=1
	s_or_b32 exec_lo, exec_lo, s21
	s_delay_alu instid0(SALU_CYCLE_1)
	s_and_b32 s20, s20, exec_lo
.LBB2_3579:                             ;   in Loop: Header=BB2_3495 Depth=1
	s_or_b32 exec_lo, exec_lo, s19
	s_and_saveexec_b32 s10, s20
	s_cbranch_execz .LBB2_3588
.LBB2_3580:                             ;   in Loop: Header=BB2_3495 Depth=1
	v_lshrrev_b32_e32 v81, 8, v67
	s_mov_b32 s19, exec_lo
	s_delay_alu instid0(VALU_DEP_1) | instskip(SKIP_1) | instid1(VALU_DEP_1)
	v_sub_nc_u32_e32 v85, v81, v80
	v_ashrrev_i32_e32 v81, 31, v84
	v_lshrrev_b32_e32 v86, 27, v81
	s_delay_alu instid0(VALU_DEP_3)
	v_cmpx_lt_i32_e32 0, v85
	s_cbranch_execz .LBB2_3584
; %bb.3581:                             ;   in Loop: Header=BB2_3495 Depth=1
	s_delay_alu instid0(VALU_DEP_2) | instskip(SKIP_1) | instid1(VALU_DEP_1)
	v_dual_add_nc_u32 v81, v84, v86 :: v_dual_lshlrev_b32 v80, 8, v80
	s_mov_b32 s20, 0
	v_and_b32_e32 v81, 0xffffffe0, v81
	s_delay_alu instid0(VALU_DEP_1) | instskip(NEXT) | instid1(VALU_DEP_1)
	v_sub_nc_u32_e32 v81, v84, v81
	v_add3_u32 v80, v65, v81, v80
	s_delay_alu instid0(VALU_DEP_1)
	v_ashrrev_i32_e32 v81, 31, v80
.LBB2_3582:                             ;   Parent Loop BB2_3495 Depth=1
                                        ; =>  This Inner Loop Header: Depth=2
	s_delay_alu instid0(VALU_DEP_1)
	v_add_nc_u64_e32 v[96:97], v[80:81], v[68:69]
	v_sub_nc_u32_e32 v85, v85, v10
	v_add_nc_u64_e32 v[68:69], v[68:69], v[50:51]
	s_clause 0x7
	flat_load_u8 v87, v[96:97] th:TH_LOAD_NT
	flat_load_u8 v98, v[96:97] offset:32 th:TH_LOAD_NT
	flat_load_u8 v99, v[96:97] offset:64 th:TH_LOAD_NT
	flat_load_u8 v100, v[96:97] offset:96 th:TH_LOAD_NT
	flat_load_u8 v101, v[96:97] offset:128 th:TH_LOAD_NT
	flat_load_u8 v102, v[96:97] offset:160 th:TH_LOAD_NT
	flat_load_u8 v103, v[96:97] offset:192 th:TH_LOAD_NT
	flat_load_u8 v112, v[96:97] offset:224 th:TH_LOAD_NT
	s_wait_xcnt 0x0
	v_add_nc_u64_e32 v[96:97], v[80:81], v[70:71]
	v_add_nc_u64_e32 v[70:71], v[70:71], v[50:51]
	v_cmp_gt_i32_e32 vcc_lo, 1, v85
	s_wait_loadcnt_dscnt 0x707
	flat_store_b8 v[96:97], v87 th:TH_STORE_NT
	s_wait_loadcnt_dscnt 0x607
	flat_store_b8 v[96:97], v98 offset:32 th:TH_STORE_NT
	s_wait_loadcnt_dscnt 0x507
	flat_store_b8 v[96:97], v99 offset:64 th:TH_STORE_NT
	;; [unrolled: 2-line block ×7, first 2 shown]
	s_or_b32 s20, vcc_lo, s20
	s_wait_xcnt 0x0
	s_and_not1_b32 exec_lo, exec_lo, s20
	s_cbranch_execnz .LBB2_3582
; %bb.3583:                             ;   in Loop: Header=BB2_3495 Depth=1
	s_or_b32 exec_lo, exec_lo, s20
.LBB2_3584:                             ;   in Loop: Header=BB2_3495 Depth=1
	s_delay_alu instid0(SALU_CYCLE_1) | instskip(SKIP_1) | instid1(VALU_DEP_1)
	s_or_b32 exec_lo, exec_lo, s19
	v_and_b32_e32 v70, 0xffffff00, v67
	v_cmp_ne_u32_e32 vcc_lo, v67, v70
	s_and_b32 exec_lo, exec_lo, vcc_lo
	s_cbranch_execz .LBB2_3588
; %bb.3585:                             ;   in Loop: Header=BB2_3495 Depth=1
	v_dual_add_nc_u32 v68, v84, v86 :: v_dual_lshlrev_b32 v69, 5, v85
	v_and_b32_e32 v67, 0xff, v67
	s_delay_alu instid0(VALU_DEP_2) | instskip(NEXT) | instid1(VALU_DEP_1)
	v_and_b32_e32 v68, 0xffffffe0, v68
	v_sub_nc_u32_e32 v68, v84, v68
	s_delay_alu instid0(VALU_DEP_1) | instskip(NEXT) | instid1(VALU_DEP_1)
	v_sub_nc_u32_e32 v71, v68, v69
	v_sub_nc_u32_e32 v67, v67, v71
	s_delay_alu instid0(VALU_DEP_1)
	v_cmp_lt_i32_e32 vcc_lo, 0, v67
	s_and_b32 exec_lo, exec_lo, vcc_lo
	s_cbranch_execz .LBB2_3588
; %bb.3586:                             ;   in Loop: Header=BB2_3495 Depth=1
	s_trap 2
	ds_load_b64 v[68:69], v0
	v_add3_u32 v70, v70, v65, v71
	s_mov_b32 s19, 0
	s_delay_alu instid0(VALU_DEP_1)
	v_ashrrev_i32_e32 v71, 31, v70
.LBB2_3587:                             ;   Parent Loop BB2_3495 Depth=1
                                        ; =>  This Inner Loop Header: Depth=2
	s_wait_dscnt 0x0
	s_delay_alu instid0(VALU_DEP_1) | instskip(SKIP_2) | instid1(VALU_DEP_2)
	v_add_nc_u64_e32 v[80:81], v[68:69], v[70:71]
	v_sub_nc_u32_e32 v67, v67, v14
	v_add_nc_u64_e32 v[70:71], v[70:71], v[14:15]
	v_cmp_gt_i32_e32 vcc_lo, 1, v67
	flat_load_u8 v65, v[80:81] th:TH_LOAD_NT
	s_or_b32 s19, vcc_lo, s19
	s_wait_loadcnt_dscnt 0x0
	flat_store_b8 v[80:81], v65 th:TH_STORE_NT
	s_wait_xcnt 0x0
	s_and_not1_b32 exec_lo, exec_lo, s19
	s_cbranch_execnz .LBB2_3587
.LBB2_3588:                             ;   in Loop: Header=BB2_3495 Depth=1
	s_or_b32 exec_lo, exec_lo, s10
	v_cmp_ne_u32_e64 s10, 0, v12
	s_and_saveexec_b32 s19, s2
	s_cbranch_execz .LBB2_3607
.LBB2_3589:                             ;   in Loop: Header=BB2_3495 Depth=1
	s_and_saveexec_b32 s20, s3
	s_delay_alu instid0(SALU_CYCLE_1)
	s_xor_b32 s20, exec_lo, s20
	s_cbranch_execz .LBB2_3604
; %bb.3590:                             ;   in Loop: Header=BB2_3495 Depth=1
	s_and_saveexec_b32 s21, s4
	s_cbranch_execz .LBB2_3603
; %bb.3591:                             ;   in Loop: Header=BB2_3495 Depth=1
	s_mov_b32 s23, exec_lo
	s_mov_b32 s22, exec_lo
	v_mbcnt_lo_u32_b32 v12, s23, 0
	global_wb scope:SCOPE_DEV
	s_wait_storecnt 0x0
	s_wait_loadcnt_dscnt 0x0
	global_inv scope:SCOPE_DEV
	v_cmpx_eq_u32_e32 0, v12
	s_cbranch_execz .LBB2_3593
; %bb.3592:                             ;   in Loop: Header=BB2_3495 Depth=1
	s_bcnt1_i32_b32 s23, s23
	s_delay_alu instid0(SALU_CYCLE_1)
	v_mov_b32_e32 v12, s23
	s_wait_loadcnt 0x0
	ds_add_u64 v0, v[12:13]
	s_trap 2
.LBB2_3593:                             ;   in Loop: Header=BB2_3495 Depth=1
	s_or_b32 exec_lo, exec_lo, s22
	s_trap 2
	ds_load_b64 v[68:69], v0
	s_wait_dscnt 0x0
	v_add_nc_u64_e32 v[32:33], v[32:33], v[10:11]
	s_mov_b32 s22, exec_lo
	s_delay_alu instid0(VALU_DEP_1)
	v_cmpx_lt_u64_e64 v[68:69], v[32:33]
	s_cbranch_execz .LBB2_3602
; %bb.3594:                             ;   in Loop: Header=BB2_3495 Depth=1
	s_mov_b32 s23, 0
	s_mov_b32 s26, 0
                                        ; implicit-def: $sgpr24
                                        ; implicit-def: $sgpr25
	s_branch .LBB2_3596
.LBB2_3595:                             ;   in Loop: Header=BB2_3596 Depth=2
	s_or_b32 exec_lo, exec_lo, s28
	s_delay_alu instid0(SALU_CYCLE_1) | instskip(NEXT) | instid1(SALU_CYCLE_1)
	s_and_b32 s27, exec_lo, s29
	s_or_b32 s23, s27, s23
	s_and_not1_b32 s24, s24, exec_lo
	s_and_b32 s27, s25, exec_lo
	s_delay_alu instid0(SALU_CYCLE_1)
	s_or_b32 s24, s24, s27
	s_and_not1_b32 exec_lo, exec_lo, s23
	s_cbranch_execz .LBB2_3600
.LBB2_3596:                             ;   Parent Loop BB2_3495 Depth=1
                                        ; =>  This Inner Loop Header: Depth=2
	s_add_co_i32 s26, s26, 1
	s_delay_alu instid0(SALU_CYCLE_1) | instskip(SKIP_1) | instid1(SALU_CYCLE_1)
	s_cmp_lg_u32 s26, 0x2710
	s_cselect_b32 s27, -1, 0
	s_and_b32 vcc_lo, exec_lo, s27
	s_cbranch_vccz .LBB2_3598
; %bb.3597:                             ;   in Loop: Header=BB2_3596 Depth=2
	s_mov_b32 s29, -1
	s_or_b32 s25, s25, exec_lo
	s_and_saveexec_b32 s28, s27
	s_cbranch_execz .LBB2_3595
	s_branch .LBB2_3599
.LBB2_3598:                             ;   in Loop: Header=BB2_3596 Depth=2
	s_trap 2
	ds_load_b64 v[68:69], v0
	s_and_not1_b32 s27, s27, exec_lo
	s_mov_b32 s26, 0
	s_wait_loadcnt_dscnt 0x0
	flat_load_b32 v12, v[68:69] scope:SCOPE_SYS
	s_wait_loadcnt_dscnt 0x0
	global_inv scope:SCOPE_SYS
	v_cmp_eq_u32_e32 vcc_lo, 0, v12
	s_and_b32 s28, vcc_lo, exec_lo
	s_delay_alu instid0(SALU_CYCLE_1)
	s_or_b32 s27, s27, s28
	s_mov_b32 s29, -1
	s_or_b32 s25, s25, exec_lo
	s_and_saveexec_b32 s28, s27
	s_cbranch_execz .LBB2_3595
.LBB2_3599:                             ;   in Loop: Header=BB2_3596 Depth=2
	s_sleep 1
	s_trap 2
	ds_load_b64 v[68:69], v0
	s_wait_dscnt 0x0
	s_and_not1_b32 s25, s25, exec_lo
	v_cmp_ge_u64_e32 vcc_lo, v[68:69], v[32:33]
	s_or_not1_b32 s29, vcc_lo, exec_lo
	s_branch .LBB2_3595
.LBB2_3600:                             ;   in Loop: Header=BB2_3495 Depth=1
	s_or_b32 exec_lo, exec_lo, s23
	s_and_saveexec_b32 s23, s24
	s_delay_alu instid0(SALU_CYCLE_1)
	s_xor_b32 s23, exec_lo, s23
	s_cbranch_execz .LBB2_3602
; %bb.3601:                             ;   in Loop: Header=BB2_3495 Depth=1
	ds_store_b32 v0, v83
	s_trap 2
.LBB2_3602:                             ;   in Loop: Header=BB2_3495 Depth=1
	s_or_b32 exec_lo, exec_lo, s22
	;;#ASMSTART
	s_wakeup
	;;#ASMEND
.LBB2_3603:                             ;   in Loop: Header=BB2_3495 Depth=1
	s_or_b32 exec_lo, exec_lo, s21
.LBB2_3604:                             ;   in Loop: Header=BB2_3495 Depth=1
	s_and_not1_saveexec_b32 s20, s20
	s_cbranch_execz .LBB2_3606
; %bb.3605:                             ;   in Loop: Header=BB2_3495 Depth=1
	global_wb scope:SCOPE_DEV
	s_wait_storecnt 0x0
	s_wait_loadcnt_dscnt 0x0
	global_inv scope:SCOPE_DEV
	s_barrier_signal -1
	s_barrier_wait -1
.LBB2_3606:                             ;   in Loop: Header=BB2_3495 Depth=1
	s_or_b32 exec_lo, exec_lo, s20
.LBB2_3607:                             ;   in Loop: Header=BB2_3495 Depth=1
	s_delay_alu instid0(SALU_CYCLE_1) | instskip(SKIP_1) | instid1(VALU_DEP_1)
	s_or_b32 exec_lo, exec_lo, s19
	v_and_b32_e32 v12, 16, v56
	v_cmp_ne_u32_e32 vcc_lo, 0, v12
	s_and_b32 s19, vcc_lo, s10
	s_delay_alu instid0(SALU_CYCLE_1)
	s_and_saveexec_b32 s10, s19
	s_cbranch_execz .LBB2_3609
; %bb.3608:                             ;   in Loop: Header=BB2_3495 Depth=1
	global_wb scope:SCOPE_SYS
	s_wait_storecnt 0x0
	s_wait_loadcnt_dscnt 0x0
	global_inv scope:SCOPE_SYS
.LBB2_3609:                             ;   in Loop: Header=BB2_3495 Depth=1
	s_or_b32 exec_lo, exec_lo, s10
	s_delay_alu instid0(SALU_CYCLE_1)
	s_mov_b32 s10, exec_lo
	v_cmpx_ne_u32_e32 0, v12
	s_cbranch_execz .LBB2_3613
; %bb.3610:                             ;   in Loop: Header=BB2_3495 Depth=1
	s_and_saveexec_b32 s19, s7
	s_cbranch_execz .LBB2_3612
; %bb.3611:                             ;   in Loop: Header=BB2_3495 Depth=1
	global_wb scope:SCOPE_SYS
	s_wait_storecnt 0x0
	s_wait_loadcnt_dscnt 0x0
	flat_store_b32 v[36:37], v83 scope:SCOPE_SYS
.LBB2_3612:                             ;   in Loop: Header=BB2_3495 Depth=1
	s_wait_xcnt 0x0
	s_or_b32 exec_lo, exec_lo, s19
	v_add_nc_u64_e32 v[8:9], 1, v[8:9]
	global_wb scope:SCOPE_SYS
	s_wait_storecnt 0x0
	s_wait_loadcnt_dscnt 0x0
	flat_store_b64 v[22:23], v[8:9] scope:SCOPE_SYS
.LBB2_3613:                             ;   in Loop: Header=BB2_3495 Depth=1
	s_wait_xcnt 0x0
	s_or_b32 exec_lo, exec_lo, s10
	v_mov_b32_e32 v12, v66
.LBB2_3614:                             ;   in Loop: Header=BB2_3495 Depth=1
	s_or_b32 exec_lo, exec_lo, s18
	s_and_saveexec_b32 s18, s17
	s_cbranch_execz .LBB2_3494
; %bb.3615:                             ;   in Loop: Header=BB2_3495 Depth=1
	s_delay_alu instid0(VALU_DEP_1) | instskip(SKIP_2) | instid1(VALU_DEP_2)
	v_sub_nc_u32_e32 v12, v64, v12
	v_and_b32_e32 v65, 8, v56
	s_mov_b32 s17, exec_lo
	v_min_i32_e32 v64, v66, v12
	s_delay_alu instid0(VALU_DEP_2)
	v_cmpx_ne_u32_e32 0, v65
	s_cbranch_execz .LBB2_3637
; %bb.3616:                             ;   in Loop: Header=BB2_3495 Depth=1
	s_wait_loadcnt 0x0
	v_add_nc_u64_e32 v[68:69], 8, v[28:29]
	v_add_nc_u64_e32 v[66:67], 1, v[8:9]
	s_mov_b32 s19, exec_lo
	s_delay_alu instid0(VALU_DEP_1)
	v_cmpx_lt_u64_e64 v[68:69], v[66:67]
	s_cbranch_execz .LBB2_3628
; %bb.3617:                             ;   in Loop: Header=BB2_3495 Depth=1
	v_and_b32_e32 v9, 64, v56
	s_mov_b32 s20, 0
	s_mov_b32 s24, 0
                                        ; implicit-def: $sgpr21
                                        ; implicit-def: $sgpr22
                                        ; implicit-def: $sgpr23
	s_delay_alu instid0(VALU_DEP_1)
	v_cmp_eq_u32_e32 vcc_lo, 0, v9
	s_branch .LBB2_3621
.LBB2_3618:                             ;   in Loop: Header=BB2_3621 Depth=2
	s_wait_loadcnt_dscnt 0x0
	v_add_nc_u64_e32 v[68:69], 8, v[28:29]
	s_or_b32 s27, s27, exec_lo
	s_delay_alu instid0(VALU_DEP_1)
	v_cmp_ge_u64_e64 s10, v[68:69], v[66:67]
	s_or_not1_b32 s26, s10, exec_lo
.LBB2_3619:                             ;   in Loop: Header=BB2_3621 Depth=2
	s_or_b32 exec_lo, exec_lo, s29
	s_delay_alu instid0(SALU_CYCLE_1)
	s_and_not1_b32 s10, s23, exec_lo
	s_and_b32 s23, s27, exec_lo
	s_and_not1_b32 s22, s22, exec_lo
	s_and_b32 s26, s26, exec_lo
	s_or_b32 s23, s10, s23
	s_or_b32 s22, s22, s26
.LBB2_3620:                             ;   in Loop: Header=BB2_3621 Depth=2
	s_or_b32 exec_lo, exec_lo, s25
	s_delay_alu instid0(SALU_CYCLE_1) | instskip(NEXT) | instid1(SALU_CYCLE_1)
	s_and_b32 s10, exec_lo, s22
	s_or_b32 s20, s10, s20
	s_and_not1_b32 s10, s21, exec_lo
	s_and_b32 s21, s23, exec_lo
	s_delay_alu instid0(SALU_CYCLE_1)
	s_or_b32 s21, s10, s21
	s_and_not1_b32 exec_lo, exec_lo, s20
	s_cbranch_execz .LBB2_3625
.LBB2_3621:                             ;   Parent Loop BB2_3495 Depth=1
                                        ; =>  This Inner Loop Header: Depth=2
	s_sleep 1
	s_wait_loadcnt_dscnt 0x0
	flat_load_b64 v[28:29], v[22:23] scope:SCOPE_SYS
	s_or_b32 s23, s23, exec_lo
	s_or_b32 s22, s22, exec_lo
                                        ; implicit-def: $vgpr9
	s_wait_xcnt 0x0
	s_and_saveexec_b32 s25, vcc_lo
	s_cbranch_execz .LBB2_3620
; %bb.3622:                             ;   in Loop: Header=BB2_3621 Depth=2
	s_cmp_lt_i32 s24, 0x270f
	s_mov_b32 s26, -1
	s_cselect_b32 s28, -1, 0
	s_cmp_gt_i32 s24, 0x270e
	s_cbranch_scc0 .LBB2_3624
; %bb.3623:                             ;   in Loop: Header=BB2_3621 Depth=2
	s_trap 2
	ds_load_b64 v[68:69], v0
	s_and_not1_b32 s24, s28, exec_lo
	s_mov_b32 s27, 0
	s_wait_storecnt 0x0
	s_wait_loadcnt_dscnt 0x0
	flat_load_b32 v9, v[68:69] scope:SCOPE_SYS
	s_wait_loadcnt_dscnt 0x0
	global_inv scope:SCOPE_SYS
	v_cmp_eq_u32_e64 s10, 0, v9
	s_and_b32 s10, s10, exec_lo
	s_delay_alu instid0(SALU_CYCLE_1)
	s_or_b32 s28, s24, s10
	s_mov_b32 s24, 0
	s_and_saveexec_b32 s29, s28
	s_cbranch_execz .LBB2_3619
	s_branch .LBB2_3618
.LBB2_3624:                             ;   in Loop: Header=BB2_3621 Depth=2
	s_add_co_i32 s24, s24, 1
	s_mov_b32 s27, -1
                                        ; implicit-def: $vgpr9
	s_and_saveexec_b32 s29, s28
	s_cbranch_execz .LBB2_3619
	s_branch .LBB2_3618
.LBB2_3625:                             ;   in Loop: Header=BB2_3495 Depth=1
	s_or_b32 exec_lo, exec_lo, s20
	s_xor_b32 s10, s21, -1
	s_delay_alu instid0(SALU_CYCLE_1) | instskip(NEXT) | instid1(SALU_CYCLE_1)
	s_and_saveexec_b32 s20, s10
	s_xor_b32 s10, exec_lo, s20
	s_cbranch_execz .LBB2_3627
; %bb.3626:                             ;   in Loop: Header=BB2_3495 Depth=1
	v_or_b32_e32 v56, 64, v56
	s_wait_storecnt 0x0
	s_wait_loadcnt_dscnt 0x0
	ds_store_b32 v0, v9
	s_trap 2
.LBB2_3627:                             ;   in Loop: Header=BB2_3495 Depth=1
	s_or_b32 exec_lo, exec_lo, s10
.LBB2_3628:                             ;   in Loop: Header=BB2_3495 Depth=1
	s_delay_alu instid0(SALU_CYCLE_1) | instskip(SKIP_4) | instid1(VALU_DEP_2)
	s_or_b32 exec_lo, exec_lo, s19
	v_and_b32_e32 v9, 0x100, v56
	v_and_b32_e32 v12, 7, v8
	s_mov_b32 s10, -1
	;;#ASMSTART
	s_wakeup
	;;#ASMEND
	v_cmp_ne_u32_e32 vcc_lo, 0, v9
                                        ; implicit-def: $vgpr8_vgpr9
	s_and_saveexec_b32 s19, vcc_lo
	s_cbranch_execz .LBB2_3632
; %bb.3629:                             ;   in Loop: Header=BB2_3495 Depth=1
	v_mad_nc_u64_u32 v[68:69], v12, 24, v[6:7]
	v_ashrrev_i32_e32 v65, 31, v64
	s_clause 0x1
	flat_load_b32 v8, v[68:69]
	flat_store_b64 v[68:69], v[64:65] offset:8
	s_wait_loadcnt_dscnt 0x1
	v_cmp_eq_u32_e64 s10, 1, v8
	v_cmp_ne_u32_e32 vcc_lo, 1, v8
                                        ; implicit-def: $vgpr8_vgpr9
	s_wait_xcnt 0x0
	s_and_saveexec_b32 s20, s10
	s_cbranch_execz .LBB2_3631
; %bb.3630:                             ;   in Loop: Header=BB2_3495 Depth=1
	flat_load_b32 v8, v[68:69] offset:4 scope:SCOPE_SYS
	s_wait_loadcnt_dscnt 0x0
	v_ashrrev_i32_e32 v9, 31, v8
.LBB2_3631:                             ;   in Loop: Header=BB2_3495 Depth=1
	s_wait_xcnt 0x0
	s_or_b32 exec_lo, exec_lo, s20
	s_delay_alu instid0(SALU_CYCLE_1)
	s_or_not1_b32 s10, vcc_lo, exec_lo
.LBB2_3632:                             ;   in Loop: Header=BB2_3495 Depth=1
	s_or_b32 exec_lo, exec_lo, s19
	s_and_saveexec_b32 s19, s10
; %bb.3633:                             ;   in Loop: Header=BB2_3495 Depth=1
	v_mul_u64_e32 v[8:9], v[12:13], v[24:25]
; %bb.3634:                             ;   in Loop: Header=BB2_3495 Depth=1
	s_or_b32 exec_lo, exec_lo, s19
	s_delay_alu instid0(VALU_DEP_1)
	v_add_nc_u64_e32 v[8:9], v[26:27], v[8:9]
	v_and_b32_e32 v12, 0x2000, v56
	s_mov_b32 s10, exec_lo
	ds_store_b64 v0, v[8:9] offset:784
	v_cmpx_ne_u32_e32 0, v12
	s_cbranch_execz .LBB2_3636
; %bb.3635:                             ;   in Loop: Header=BB2_3495 Depth=1
	ds_load_b64 v[8:9], v0 offset:872
	s_wait_dscnt 0x0
	v_add_nc_u64_e32 v[8:9], 1, v[8:9]
	ds_store_b64 v0, v[8:9] offset:872
.LBB2_3636:                             ;   in Loop: Header=BB2_3495 Depth=1
	s_or_b32 exec_lo, exec_lo, s10
	v_mov_b64_e32 v[8:9], v[66:67]
.LBB2_3637:                             ;   in Loop: Header=BB2_3495 Depth=1
	s_or_b32 exec_lo, exec_lo, s17
	s_and_saveexec_b32 s10, s2
	s_cbranch_execz .LBB2_3656
; %bb.3638:                             ;   in Loop: Header=BB2_3495 Depth=1
	s_and_saveexec_b32 s17, s3
	s_delay_alu instid0(SALU_CYCLE_1)
	s_xor_b32 s17, exec_lo, s17
	s_cbranch_execz .LBB2_3653
; %bb.3639:                             ;   in Loop: Header=BB2_3495 Depth=1
	s_and_saveexec_b32 s19, s4
	s_cbranch_execz .LBB2_3652
; %bb.3640:                             ;   in Loop: Header=BB2_3495 Depth=1
	s_mov_b32 s21, exec_lo
	s_mov_b32 s20, exec_lo
	v_mbcnt_lo_u32_b32 v12, s21, 0
	global_wb scope:SCOPE_DEV
	s_wait_storecnt 0x0
	s_wait_loadcnt_dscnt 0x0
	global_inv scope:SCOPE_DEV
	v_cmpx_eq_u32_e32 0, v12
	s_cbranch_execz .LBB2_3642
; %bb.3641:                             ;   in Loop: Header=BB2_3495 Depth=1
	s_bcnt1_i32_b32 s21, s21
	s_delay_alu instid0(SALU_CYCLE_1)
	v_mov_b32_e32 v12, s21
	s_wait_loadcnt 0x0
	ds_add_u64 v0, v[12:13]
	s_trap 2
.LBB2_3642:                             ;   in Loop: Header=BB2_3495 Depth=1
	s_or_b32 exec_lo, exec_lo, s20
	s_trap 2
	ds_load_b64 v[66:67], v0
	s_wait_dscnt 0x0
	v_add_nc_u64_e32 v[32:33], v[32:33], v[10:11]
	s_mov_b32 s20, exec_lo
	s_delay_alu instid0(VALU_DEP_1)
	v_cmpx_lt_u64_e64 v[66:67], v[32:33]
	s_cbranch_execz .LBB2_3651
; %bb.3643:                             ;   in Loop: Header=BB2_3495 Depth=1
	s_mov_b32 s21, 0
	s_mov_b32 s24, 0
                                        ; implicit-def: $sgpr22
                                        ; implicit-def: $sgpr23
	s_branch .LBB2_3645
.LBB2_3644:                             ;   in Loop: Header=BB2_3645 Depth=2
	s_or_b32 exec_lo, exec_lo, s26
	s_delay_alu instid0(SALU_CYCLE_1) | instskip(NEXT) | instid1(SALU_CYCLE_1)
	s_and_b32 s25, exec_lo, s27
	s_or_b32 s21, s25, s21
	s_and_not1_b32 s22, s22, exec_lo
	s_and_b32 s25, s23, exec_lo
	s_delay_alu instid0(SALU_CYCLE_1)
	s_or_b32 s22, s22, s25
	s_and_not1_b32 exec_lo, exec_lo, s21
	s_cbranch_execz .LBB2_3649
.LBB2_3645:                             ;   Parent Loop BB2_3495 Depth=1
                                        ; =>  This Inner Loop Header: Depth=2
	s_add_co_i32 s24, s24, 1
	s_delay_alu instid0(SALU_CYCLE_1) | instskip(SKIP_1) | instid1(SALU_CYCLE_1)
	s_cmp_lg_u32 s24, 0x2710
	s_cselect_b32 s25, -1, 0
	s_and_b32 vcc_lo, exec_lo, s25
	s_cbranch_vccz .LBB2_3647
; %bb.3646:                             ;   in Loop: Header=BB2_3645 Depth=2
	s_mov_b32 s27, -1
	s_or_b32 s23, s23, exec_lo
	s_and_saveexec_b32 s26, s25
	s_cbranch_execz .LBB2_3644
	s_branch .LBB2_3648
.LBB2_3647:                             ;   in Loop: Header=BB2_3645 Depth=2
	s_trap 2
	ds_load_b64 v[66:67], v0
	s_and_not1_b32 s25, s25, exec_lo
	s_mov_b32 s24, 0
	s_wait_loadcnt_dscnt 0x0
	flat_load_b32 v12, v[66:67] scope:SCOPE_SYS
	s_wait_loadcnt_dscnt 0x0
	global_inv scope:SCOPE_SYS
	v_cmp_eq_u32_e32 vcc_lo, 0, v12
	s_and_b32 s26, vcc_lo, exec_lo
	s_delay_alu instid0(SALU_CYCLE_1)
	s_or_b32 s25, s25, s26
	s_mov_b32 s27, -1
	s_or_b32 s23, s23, exec_lo
	s_and_saveexec_b32 s26, s25
	s_cbranch_execz .LBB2_3644
.LBB2_3648:                             ;   in Loop: Header=BB2_3645 Depth=2
	s_sleep 1
	s_trap 2
	ds_load_b64 v[66:67], v0
	s_wait_dscnt 0x0
	s_and_not1_b32 s23, s23, exec_lo
	v_cmp_ge_u64_e32 vcc_lo, v[66:67], v[32:33]
	s_or_not1_b32 s27, vcc_lo, exec_lo
	s_branch .LBB2_3644
.LBB2_3649:                             ;   in Loop: Header=BB2_3495 Depth=1
	s_or_b32 exec_lo, exec_lo, s21
	s_and_saveexec_b32 s21, s22
	s_delay_alu instid0(SALU_CYCLE_1)
	s_xor_b32 s21, exec_lo, s21
	s_cbranch_execz .LBB2_3651
; %bb.3650:                             ;   in Loop: Header=BB2_3495 Depth=1
	ds_store_b32 v0, v83
	s_trap 2
.LBB2_3651:                             ;   in Loop: Header=BB2_3495 Depth=1
	s_or_b32 exec_lo, exec_lo, s20
	;;#ASMSTART
	s_wakeup
	;;#ASMEND
.LBB2_3652:                             ;   in Loop: Header=BB2_3495 Depth=1
	s_or_b32 exec_lo, exec_lo, s19
.LBB2_3653:                             ;   in Loop: Header=BB2_3495 Depth=1
	s_and_not1_saveexec_b32 s17, s17
	s_cbranch_execz .LBB2_3655
; %bb.3654:                             ;   in Loop: Header=BB2_3495 Depth=1
	global_wb scope:SCOPE_DEV
	s_wait_storecnt 0x0
	s_wait_loadcnt_dscnt 0x0
	global_inv scope:SCOPE_DEV
	s_barrier_signal -1
	s_barrier_wait -1
.LBB2_3655:                             ;   in Loop: Header=BB2_3495 Depth=1
	s_or_b32 exec_lo, exec_lo, s17
.LBB2_3656:                             ;   in Loop: Header=BB2_3495 Depth=1
	s_delay_alu instid0(SALU_CYCLE_1)
	s_or_b32 exec_lo, exec_lo, s10
	s_trap 2
	ds_load_b32 v12, v0
	v_cmp_lt_i32_e32 vcc_lo, 0, v64
	s_wait_dscnt 0x0
	v_readfirstlane_b32 s10, v12
	v_and_b32_e32 v12, 16, v56
	s_cmp_eq_u32 s10, 0
	s_delay_alu instid0(VALU_DEP_1) | instskip(SKIP_1) | instid1(SALU_CYCLE_1)
	v_cmp_ne_u32_e64 s10, 0, v12
	s_cselect_b32 s17, -1, 0
	s_and_b32 s17, vcc_lo, s17
	s_delay_alu instid0(SALU_CYCLE_1) | instskip(NEXT) | instid1(SALU_CYCLE_1)
	s_and_b32 s17, s10, s17
	s_and_saveexec_b32 s10, s17
	s_cbranch_execz .LBB2_3658
; %bb.3657:                             ;   in Loop: Header=BB2_3495 Depth=1
	global_wb scope:SCOPE_SYS
	s_wait_loadcnt 0x0
	s_wait_storecnt 0x0
	global_inv scope:SCOPE_SYS
.LBB2_3658:                             ;   in Loop: Header=BB2_3495 Depth=1
	s_or_b32 exec_lo, exec_lo, s10
	s_delay_alu instid0(SALU_CYCLE_1)
	s_mov_b32 s10, exec_lo
	v_cmpx_ne_u32_e32 0, v12
	s_cbranch_execz .LBB2_3493
; %bb.3659:                             ;   in Loop: Header=BB2_3495 Depth=1
	s_and_saveexec_b32 s17, s7
	s_cbranch_execz .LBB2_3492
; %bb.3660:                             ;   in Loop: Header=BB2_3495 Depth=1
	global_wb scope:SCOPE_SYS
	s_wait_loadcnt 0x0
	s_wait_storecnt 0x0
	flat_store_b32 v[36:37], v83 scope:SCOPE_SYS
	s_branch .LBB2_3492
.LBB2_3661:
	s_or_b32 exec_lo, exec_lo, s13
.LBB2_3662:
	s_delay_alu instid0(SALU_CYCLE_1)
	s_or_b32 exec_lo, exec_lo, s12
.LBB2_3663:
	s_delay_alu instid0(SALU_CYCLE_1) | instskip(SKIP_2) | instid1(VALU_DEP_1)
	s_or_b32 exec_lo, exec_lo, s11
	v_and_b32_e32 v0, 0x800, v56
	s_mov_b32 s1, exec_lo
	v_cmpx_eq_u32_e32 0, v0
	s_cbranch_execz .LBB2_3696
; %bb.3664:
	v_and_b32_e32 v0, 48, v56
	s_mov_b32 s0, exec_lo
	s_delay_alu instid0(VALU_DEP_1)
	v_cmpx_ne_u32_e32 0, v0
	s_cbranch_execz .LBB2_3666
; %bb.3665:
	s_wait_dscnt 0x0
	flat_store_b64 v[20:21], v[8:9] offset:104
.LBB2_3666:
	s_wait_xcnt 0x0
	s_or_b32 exec_lo, exec_lo, s0
	v_and_b32_e32 v0, 0x88, v56
	s_mov_b32 s2, exec_lo
	s_delay_alu instid0(VALU_DEP_1)
	v_cmpx_eq_u32_e32 0x88, v0
	s_cbranch_execz .LBB2_3676
; %bb.3667:
	s_wait_dscnt 0x0
	v_add_nc_u32_e32 v0, -1, v8
	s_mov_b32 s3, 0
	s_delay_alu instid0(VALU_DEP_1) | instskip(NEXT) | instid1(VALU_DEP_1)
	v_and_b32_e32 v0, 7, v0
	v_mad_nc_u64_u32 v[4:5], v0, 24, v[6:7]
	v_and_b32_e32 v0, 64, v56
	s_delay_alu instid0(VALU_DEP_1)
	v_cmp_eq_u32_e64 s0, 0, v0
	flat_load_b64 v[6:7], v[4:5] offset:8 scope:SCOPE_SYS
	s_wait_loadcnt_dscnt 0x0
	v_cmp_ne_u64_e32 vcc_lo, -1, v[6:7]
	s_and_b32 s0, vcc_lo, s0
	s_wait_xcnt 0x0
	s_and_b32 exec_lo, exec_lo, s0
	s_cbranch_execz .LBB2_3676
; %bb.3668:
	s_mov_b32 s5, 0
                                        ; implicit-def: $sgpr0
                                        ; implicit-def: $sgpr4
	s_branch .LBB2_3671
.LBB2_3669:                             ;   in Loop: Header=BB2_3671 Depth=1
	flat_load_b64 v[6:7], v[4:5] offset:8 scope:SCOPE_SYS
	s_wait_loadcnt 0x0
	s_and_not1_b32 s4, s4, exec_lo
	s_wait_dscnt 0x0
	v_cmp_eq_u64_e32 vcc_lo, -1, v[6:7]
	s_or_not1_b32 s7, vcc_lo, exec_lo
.LBB2_3670:                             ;   in Loop: Header=BB2_3671 Depth=1
	s_wait_xcnt 0x0
	s_or_b32 exec_lo, exec_lo, s10
	s_delay_alu instid0(SALU_CYCLE_1) | instskip(NEXT) | instid1(SALU_CYCLE_1)
	s_and_b32 s6, exec_lo, s7
	s_or_b32 s3, s6, s3
	s_and_not1_b32 s0, s0, exec_lo
	s_and_b32 s6, s4, exec_lo
	s_delay_alu instid0(SALU_CYCLE_1)
	s_or_b32 s0, s0, s6
	s_and_not1_b32 exec_lo, exec_lo, s3
	s_cbranch_execz .LBB2_3674
.LBB2_3671:                             ; =>This Inner Loop Header: Depth=1
	s_cmp_lt_i32 s5, 0x270f
	s_cselect_b32 s6, -1, 0
	s_delay_alu instid0(SALU_CYCLE_1)
	s_and_b32 vcc_lo, exec_lo, s6
	s_cbranch_vccnz .LBB2_3673
; %bb.3672:                             ;   in Loop: Header=BB2_3671 Depth=1
	s_trap 2
	ds_load_b64 v[6:7], v0
	s_and_not1_b32 s6, s6, exec_lo
	s_mov_b32 s5, 0
	s_wait_storecnt_dscnt 0x0
	flat_load_b32 v0, v[6:7] scope:SCOPE_SYS
	s_wait_loadcnt_dscnt 0x0
	global_inv scope:SCOPE_SYS
	v_cmp_eq_u32_e32 vcc_lo, 0, v0
	s_and_b32 s7, vcc_lo, exec_lo
	s_delay_alu instid0(SALU_CYCLE_1)
	s_or_b32 s6, s6, s7
	s_mov_b32 s7, -1
	s_or_b32 s4, s4, exec_lo
	s_wait_xcnt 0x0
	s_and_saveexec_b32 s10, s6
	s_cbranch_execz .LBB2_3670
	s_branch .LBB2_3669
.LBB2_3673:                             ;   in Loop: Header=BB2_3671 Depth=1
	s_add_co_i32 s5, s5, 1
                                        ; implicit-def: $vgpr0
	s_mov_b32 s7, -1
	s_or_b32 s4, s4, exec_lo
	s_and_saveexec_b32 s10, s6
	s_cbranch_execz .LBB2_3670
	s_branch .LBB2_3669
.LBB2_3674:
	s_or_b32 exec_lo, exec_lo, s3
	s_and_saveexec_b32 s3, s0
	s_delay_alu instid0(SALU_CYCLE_1)
	s_xor_b32 s3, exec_lo, s3
	s_cbranch_execz .LBB2_3676
; %bb.3675:
	s_wait_loadcnt 0x0
	s_wait_storecnt 0x0
	ds_store_b32 v0, v0
	s_trap 2
.LBB2_3676:
	s_or_b32 exec_lo, exec_lo, s2
	v_and_b32_e32 v0, 0x2000, v56
	s_mov_b32 s0, exec_lo
	s_delay_alu instid0(VALU_DEP_1)
	v_cmpx_ne_u32_e32 0, v0
	s_cbranch_execz .LBB2_3678
; %bb.3677:
	s_trap 2
	ds_load_b64 v[4:5], v0
	s_wait_dscnt 0x0
	flat_store_b64 v[2:3], v[4:5] offset:16
.LBB2_3678:
	s_wait_xcnt 0x0
	s_or_b32 exec_lo, exec_lo, s0
	v_cmp_ne_u32_e32 vcc_lo, 32, v1
	s_and_b32 exec_lo, exec_lo, vcc_lo
	s_cbranch_execz .LBB2_3696
; %bb.3679:
	s_mov_b32 s0, exec_lo
	v_cmpx_ne_u32_e64 v1, v57
	s_xor_b32 s0, exec_lo, s0
	s_cbranch_execz .LBB2_3694
; %bb.3680:
	v_and_b32_e32 v0, 31, v31
	s_mov_b32 s2, exec_lo
	s_delay_alu instid0(VALU_DEP_1)
	v_cmpx_eq_u32_e32 0, v0
	s_cbranch_execz .LBB2_3693
; %bb.3681:
	s_mov_b32 s4, exec_lo
	s_mov_b32 s3, exec_lo
	v_mbcnt_lo_u32_b32 v0, s4, 0
	global_wb scope:SCOPE_DEV
	s_wait_storecnt 0x0
	s_wait_loadcnt_dscnt 0x0
	global_inv scope:SCOPE_DEV
	v_cmpx_eq_u32_e32 0, v0
	s_cbranch_execz .LBB2_3683
; %bb.3682:
	s_bcnt1_i32_b32 s4, s4
	s_delay_alu instid0(SALU_CYCLE_1)
	v_dual_mov_b32 v3, 0 :: v_dual_mov_b32 v2, s4
	s_wait_loadcnt 0x0
	ds_add_u64 v0, v[2:3]
	s_trap 2
.LBB2_3683:
	s_or_b32 exec_lo, exec_lo, s3
	s_trap 2
	ds_load_b64 v[2:3], v0
	s_wait_dscnt 0x0
	v_dual_mov_b32 v1, 0 :: v_dual_lshrrev_b32 v0, 5, v1
	s_mov_b32 s3, exec_lo
	s_delay_alu instid0(VALU_DEP_1) | instskip(NEXT) | instid1(VALU_DEP_1)
	v_add_nc_u64_e32 v[0:1], v[32:33], v[0:1]
	v_cmpx_lt_u64_e64 v[2:3], v[0:1]
	s_cbranch_execz .LBB2_3692
; %bb.3684:
	s_mov_b32 s4, 0
	s_mov_b32 s7, 0
                                        ; implicit-def: $sgpr5
                                        ; implicit-def: $sgpr6
	s_branch .LBB2_3686
.LBB2_3685:                             ;   in Loop: Header=BB2_3686 Depth=1
	s_or_b32 exec_lo, exec_lo, s11
	s_delay_alu instid0(SALU_CYCLE_1) | instskip(NEXT) | instid1(SALU_CYCLE_1)
	s_and_b32 s10, exec_lo, s12
	s_or_b32 s4, s10, s4
	s_and_not1_b32 s5, s5, exec_lo
	s_and_b32 s10, s6, exec_lo
	s_delay_alu instid0(SALU_CYCLE_1)
	s_or_b32 s5, s5, s10
	s_and_not1_b32 exec_lo, exec_lo, s4
	s_cbranch_execz .LBB2_3690
.LBB2_3686:                             ; =>This Inner Loop Header: Depth=1
	s_add_co_i32 s7, s7, 1
	s_delay_alu instid0(SALU_CYCLE_1) | instskip(SKIP_1) | instid1(SALU_CYCLE_1)
	s_cmp_lg_u32 s7, 0x2710
	s_cselect_b32 s10, -1, 0
	s_and_b32 vcc_lo, exec_lo, s10
	s_cbranch_vccz .LBB2_3688
; %bb.3687:                             ;   in Loop: Header=BB2_3686 Depth=1
	s_mov_b32 s12, -1
	s_or_b32 s6, s6, exec_lo
	s_and_saveexec_b32 s11, s10
	s_cbranch_execz .LBB2_3685
	s_branch .LBB2_3689
.LBB2_3688:                             ;   in Loop: Header=BB2_3686 Depth=1
	s_trap 2
	ds_load_b64 v[2:3], v0
	s_and_not1_b32 s10, s10, exec_lo
	s_mov_b32 s7, 0
	s_wait_loadcnt_dscnt 0x0
	flat_load_b32 v2, v[2:3] scope:SCOPE_SYS
	s_wait_loadcnt_dscnt 0x0
	global_inv scope:SCOPE_SYS
	v_cmp_eq_u32_e32 vcc_lo, 0, v2
	s_and_b32 s11, vcc_lo, exec_lo
	s_delay_alu instid0(SALU_CYCLE_1)
	s_or_b32 s10, s10, s11
	s_mov_b32 s12, -1
	s_or_b32 s6, s6, exec_lo
	s_and_saveexec_b32 s11, s10
	s_cbranch_execz .LBB2_3685
.LBB2_3689:                             ;   in Loop: Header=BB2_3686 Depth=1
	s_sleep 1
	s_trap 2
	ds_load_b64 v[2:3], v0
	s_wait_dscnt 0x0
	s_and_not1_b32 s6, s6, exec_lo
	v_cmp_ge_u64_e32 vcc_lo, v[2:3], v[0:1]
	s_or_not1_b32 s12, vcc_lo, exec_lo
	s_branch .LBB2_3685
.LBB2_3690:
	s_or_b32 exec_lo, exec_lo, s4
	s_and_saveexec_b32 s4, s5
	s_delay_alu instid0(SALU_CYCLE_1)
	s_xor_b32 s4, exec_lo, s4
	s_cbranch_execz .LBB2_3692
; %bb.3691:
	v_mov_b32_e32 v0, 1
	ds_store_b32 v0, v0
	s_trap 2
.LBB2_3692:
	s_or_b32 exec_lo, exec_lo, s3
	;;#ASMSTART
	s_wakeup
	;;#ASMEND
.LBB2_3693:
	s_or_b32 exec_lo, exec_lo, s2
.LBB2_3694:
	s_and_not1_saveexec_b32 s0, s0
	s_cbranch_execz .LBB2_3696
; %bb.3695:
	global_wb scope:SCOPE_DEV
	s_wait_storecnt 0x0
	s_wait_loadcnt_dscnt 0x0
	global_inv scope:SCOPE_DEV
	s_barrier_signal -1
	s_barrier_wait -1
.LBB2_3696:
	s_or_b32 exec_lo, exec_lo, s1
.LBB2_3697:
	s_and_not1_saveexec_b32 s21, s14
	s_cbranch_execz .LBB2_3699
; %bb.3698:
	s_get_pc_i64 s[0:1]
	s_add_nc_u64 s[0:1], s[0:1], __PRETTY_FUNCTION__._ZN10PrimitivesI14__hip_fp8_e5m28FuncProdIS0_E12FanSymmetricILi1EELi0E11ProtoSimpleILi1ELi1ELi0ELi1ELi0ELi0EELi0ELb0ELi0ELi0ELi0EEC2EiiPKiS9_PKvPvmhhhP15ncclDevWorkCollP14ncclDevWorkP2pii@rel64+4
	s_get_pc_i64 s[2:3]
	s_add_nc_u64 s[2:3], s[2:3], __assert_fail@rel64+4
	v_dual_mov_b32 v0, s0 :: v_dual_mov_b32 v1, s1
	s_swap_pc_i64 s[30:31], s[2:3]
	; divergent unreachable
.LBB2_3699:
	s_or_b32 exec_lo, exec_lo, s21
	s_clause 0x15
	scratch_load_b32 v77, off, s33
	scratch_load_b32 v76, off, s33 offset:4
	scratch_load_b32 v75, off, s33 offset:8
	;; [unrolled: 1-line block ×21, first 2 shown]
	v_readlane_b32 s30, v78, 0
	v_readlane_b32 s31, v78, 1
	s_mov_b32 s32, s33
	s_wait_xcnt 0x0
	s_or_saveexec_b32 s0, -1
	scratch_load_b32 v78, off, s33 offset:88 ; 4-byte Folded Reload
	s_wait_xcnt 0x0
	s_mov_b32 exec_lo, s0
	s_mov_b32 s33, s45
	s_wait_loadcnt_dscnt 0x0
	s_set_pc_i64 s[30:31]
.Lfunc_end2:
	.size	_ZN12_GLOBAL__N_17runRingI14__hip_fp8_e5m28FuncProdIS1_E11ProtoSimpleILi1ELi1ELi0ELi1ELi0ELi0EELi0ELi1ELi0EEEviiP15ncclDevWorkColl, .Lfunc_end2-_ZN12_GLOBAL__N_17runRingI14__hip_fp8_e5m28FuncProdIS1_E11ProtoSimpleILi1ELi1ELi0ELi1ELi0ELi0EELi0ELi1ELi0EEEviiP15ncclDevWorkColl
                                        ; -- End function
	.set .L_ZN12_GLOBAL__N_17runRingI14__hip_fp8_e5m28FuncProdIS1_E11ProtoSimpleILi1ELi1ELi0ELi1ELi0ELi0EELi0ELi1ELi0EEEviiP15ncclDevWorkColl.num_vgpr, max(120, .L__assert_fail.num_vgpr)
	.set .L_ZN12_GLOBAL__N_17runRingI14__hip_fp8_e5m28FuncProdIS1_E11ProtoSimpleILi1ELi1ELi0ELi1ELi0ELi0EELi0ELi1ELi0EEEviiP15ncclDevWorkColl.num_agpr, max(0, .L__assert_fail.num_agpr)
	.set .L_ZN12_GLOBAL__N_17runRingI14__hip_fp8_e5m28FuncProdIS1_E11ProtoSimpleILi1ELi1ELi0ELi1ELi0ELi0EELi0ELi1ELi0EEEviiP15ncclDevWorkColl.numbered_sgpr, max(46, .L__assert_fail.numbered_sgpr)
	.set .L_ZN12_GLOBAL__N_17runRingI14__hip_fp8_e5m28FuncProdIS1_E11ProtoSimpleILi1ELi1ELi0ELi1ELi0ELi0EELi0ELi1ELi0EEEviiP15ncclDevWorkColl.num_named_barrier, max(0, .L__assert_fail.num_named_barrier)
	.set .L_ZN12_GLOBAL__N_17runRingI14__hip_fp8_e5m28FuncProdIS1_E11ProtoSimpleILi1ELi1ELi0ELi1ELi0ELi0EELi0ELi1ELi0EEEviiP15ncclDevWorkColl.private_seg_size, 96+max(.L__assert_fail.private_seg_size)
	.set .L_ZN12_GLOBAL__N_17runRingI14__hip_fp8_e5m28FuncProdIS1_E11ProtoSimpleILi1ELi1ELi0ELi1ELi0ELi0EELi0ELi1ELi0EEEviiP15ncclDevWorkColl.uses_vcc, or(1, .L__assert_fail.uses_vcc)
	.set .L_ZN12_GLOBAL__N_17runRingI14__hip_fp8_e5m28FuncProdIS1_E11ProtoSimpleILi1ELi1ELi0ELi1ELi0ELi0EELi0ELi1ELi0EEEviiP15ncclDevWorkColl.uses_flat_scratch, or(1, .L__assert_fail.uses_flat_scratch)
	.set .L_ZN12_GLOBAL__N_17runRingI14__hip_fp8_e5m28FuncProdIS1_E11ProtoSimpleILi1ELi1ELi0ELi1ELi0ELi0EELi0ELi1ELi0EEEviiP15ncclDevWorkColl.has_dyn_sized_stack, or(0, .L__assert_fail.has_dyn_sized_stack)
	.set .L_ZN12_GLOBAL__N_17runRingI14__hip_fp8_e5m28FuncProdIS1_E11ProtoSimpleILi1ELi1ELi0ELi1ELi0ELi0EELi0ELi1ELi0EEEviiP15ncclDevWorkColl.has_recursion, or(1, .L__assert_fail.has_recursion)
	.set .L_ZN12_GLOBAL__N_17runRingI14__hip_fp8_e5m28FuncProdIS1_E11ProtoSimpleILi1ELi1ELi0ELi1ELi0ELi0EELi0ELi1ELi0EEEviiP15ncclDevWorkColl.has_indirect_call, or(0, .L__assert_fail.has_indirect_call)
	.section	.AMDGPU.csdata,"",@progbits
; Function info:
; codeLenInByte = 116964
; TotalNumSgprs: 48
; NumVgprs: 120
; ScratchSize: 160
; MemoryBound: 1
	.text
	.p2align	2                               ; -- Begin function _Z48ncclDevFunc_Reduce_RING_SIMPLE_Prod_f8e5m2_0_0_1v
	.type	_Z48ncclDevFunc_Reduce_RING_SIMPLE_Prod_f8e5m2_0_0_1v,@function
_Z48ncclDevFunc_Reduce_RING_SIMPLE_Prod_f8e5m2_0_0_1v: ; @_Z48ncclDevFunc_Reduce_RING_SIMPLE_Prod_f8e5m2_0_0_1v
; %bb.0:
	s_wait_loadcnt_dscnt 0x0
	s_wait_kmcnt 0x0
	s_mov_b32 s61, s33
	s_mov_b32 s33, s32
	s_or_saveexec_b32 s0, -1
	scratch_store_b32 off, v42, s33 offset:12 ; 4-byte Folded Spill
	s_wait_xcnt 0x0
	s_mov_b32 exec_lo, s0
	s_add_co_i32 s32, s32, 32
	s_clause 0x2
	scratch_store_b32 off, v40, s33 offset:8
	; meta instruction
	scratch_store_b32 off, v41, s33 offset:4
	; meta instruction
	scratch_store_b32 off, v78, s33
	v_writelane_b32 v42, s30, 0
	v_writelane_b32 v42, s31, 1
	s_trap 2
	ds_load_b32 v0, v0
	s_wait_xcnt 0x2
	v_mov_b32_e32 v40, v31
	s_wait_dscnt 0x0
	v_cmp_gt_i32_e32 vcc_lo, 1, v0
	s_cbranch_vccnz .LBB3_8
; %bb.1:
	s_wait_xcnt 0x1
	v_and_b32_e32 v41, 0x3ff, v40
	s_mov_b32 s56, s12
	s_mov_b64 s[46:47], s[8:9]
	s_mov_b32 s57, 0
	s_get_pc_i64 s[58:59]
	s_add_nc_u64 s[58:59], s[58:59], _ZN12_GLOBAL__N_17runRingI14__hip_fp8_e5m28FuncProdIS1_E11ProtoSimpleILi1ELi1ELi0ELi1ELi0ELi0EELi0ELi1ELi0EEEviiP15ncclDevWorkColl@rel64+4
	s_branch .LBB3_3
.LBB3_2:                                ;   in Loop: Header=BB3_3 Depth=1
	s_or_b32 exec_lo, exec_lo, s60
	s_trap 2
	ds_load_b32 v0, v0
	s_add_co_i32 s57, s57, 1
	s_wait_dscnt 0x0
	v_cmp_lt_i32_e32 vcc_lo, s57, v0
	s_cbranch_vccz .LBB3_8
.LBB3_3:                                ; =>This Inner Loop Header: Depth=1
	s_trap 2
	ds_load_b32 v0, v0
	s_cmp_eq_u32 s57, 0
	s_cbranch_scc1 .LBB3_6
; %bb.4:                                ;   in Loop: Header=BB3_3 Depth=1
	s_trap 2
	s_wait_dscnt 0x0
	ds_load_b32 v1, v0
	s_wait_dscnt 0x0
	v_xor_b32_e32 v1, v1, v0
	s_delay_alu instid0(VALU_DEP_1) | instskip(NEXT) | instid1(VALU_DEP_1)
	v_and_b32_e32 v1, 0xff0000, v1
	v_cmp_eq_u32_e32 vcc_lo, 0, v1
	s_cbranch_vccnz .LBB3_6
; %bb.5:                                ;   in Loop: Header=BB3_3 Depth=1
	s_wait_storecnt 0x0
	s_barrier_signal -1
	s_barrier_wait -1
	ds_load_b32 v0, v0
.LBB3_6:                                ;   in Loop: Header=BB3_3 Depth=1
	s_wait_dscnt 0x0
	v_lshrrev_b32_e32 v0, 11, v0
	s_mov_b32 s60, exec_lo
	s_delay_alu instid0(VALU_DEP_1) | instskip(SKIP_1) | instid1(VALU_DEP_1)
	v_and_b32_e32 v1, 0x1fe0, v0
	s_wait_xcnt 0x0
	v_cmpx_lt_u32_e64 v41, v1
	s_cbranch_execz .LBB3_2
; %bb.7:                                ;   in Loop: Header=BB3_3 Depth=1
	s_mov_b64 s[0:1], src_shared_base
	v_dual_mov_b32 v31, v40 :: v_dual_mov_b32 v0, v41
	v_mov_b32_e32 v3, s1
	s_mov_b64 s[8:9], s[46:47]
	s_mov_b32 s12, s56
	s_swap_pc_i64 s[30:31], s[58:59]
	s_branch .LBB3_2
.LBB3_8:
	s_clause 0x2
	scratch_load_b32 v78, off, s33
	scratch_load_b32 v41, off, s33 offset:4
	scratch_load_b32 v40, off, s33 offset:8
	v_readlane_b32 s30, v42, 0
	v_readlane_b32 s31, v42, 1
	s_mov_b32 s32, s33
	s_wait_xcnt 0x0
	s_or_saveexec_b32 s0, -1
	scratch_load_b32 v42, off, s33 offset:12 ; 4-byte Folded Reload
	s_wait_xcnt 0x0
	s_mov_b32 exec_lo, s0
	s_mov_b32 s33, s61
	s_wait_loadcnt 0x0
	s_set_pc_i64 s[30:31]
.Lfunc_end3:
	.size	_Z48ncclDevFunc_Reduce_RING_SIMPLE_Prod_f8e5m2_0_0_1v, .Lfunc_end3-_Z48ncclDevFunc_Reduce_RING_SIMPLE_Prod_f8e5m2_0_0_1v
                                        ; -- End function
	.set .L_Z48ncclDevFunc_Reduce_RING_SIMPLE_Prod_f8e5m2_0_0_1v.num_vgpr, max(79, .L_ZN12_GLOBAL__N_17runRingI14__hip_fp8_e5m28FuncProdIS1_E11ProtoSimpleILi1ELi1ELi0ELi1ELi0ELi0EELi0ELi1ELi0EEEviiP15ncclDevWorkColl.num_vgpr)
	.set .L_Z48ncclDevFunc_Reduce_RING_SIMPLE_Prod_f8e5m2_0_0_1v.num_agpr, max(0, .L_ZN12_GLOBAL__N_17runRingI14__hip_fp8_e5m28FuncProdIS1_E11ProtoSimpleILi1ELi1ELi0ELi1ELi0ELi0EELi0ELi1ELi0EEEviiP15ncclDevWorkColl.num_agpr)
	.set .L_Z48ncclDevFunc_Reduce_RING_SIMPLE_Prod_f8e5m2_0_0_1v.numbered_sgpr, max(62, .L_ZN12_GLOBAL__N_17runRingI14__hip_fp8_e5m28FuncProdIS1_E11ProtoSimpleILi1ELi1ELi0ELi1ELi0ELi0EELi0ELi1ELi0EEEviiP15ncclDevWorkColl.numbered_sgpr)
	.set .L_Z48ncclDevFunc_Reduce_RING_SIMPLE_Prod_f8e5m2_0_0_1v.num_named_barrier, max(0, .L_ZN12_GLOBAL__N_17runRingI14__hip_fp8_e5m28FuncProdIS1_E11ProtoSimpleILi1ELi1ELi0ELi1ELi0ELi0EELi0ELi1ELi0EEEviiP15ncclDevWorkColl.num_named_barrier)
	.set .L_Z48ncclDevFunc_Reduce_RING_SIMPLE_Prod_f8e5m2_0_0_1v.private_seg_size, 32+max(.L_ZN12_GLOBAL__N_17runRingI14__hip_fp8_e5m28FuncProdIS1_E11ProtoSimpleILi1ELi1ELi0ELi1ELi0ELi0EELi0ELi1ELi0EEEviiP15ncclDevWorkColl.private_seg_size)
	.set .L_Z48ncclDevFunc_Reduce_RING_SIMPLE_Prod_f8e5m2_0_0_1v.uses_vcc, or(1, .L_ZN12_GLOBAL__N_17runRingI14__hip_fp8_e5m28FuncProdIS1_E11ProtoSimpleILi1ELi1ELi0ELi1ELi0ELi0EELi0ELi1ELi0EEEviiP15ncclDevWorkColl.uses_vcc)
	.set .L_Z48ncclDevFunc_Reduce_RING_SIMPLE_Prod_f8e5m2_0_0_1v.uses_flat_scratch, or(1, .L_ZN12_GLOBAL__N_17runRingI14__hip_fp8_e5m28FuncProdIS1_E11ProtoSimpleILi1ELi1ELi0ELi1ELi0ELi0EELi0ELi1ELi0EEEviiP15ncclDevWorkColl.uses_flat_scratch)
	.set .L_Z48ncclDevFunc_Reduce_RING_SIMPLE_Prod_f8e5m2_0_0_1v.has_dyn_sized_stack, or(0, .L_ZN12_GLOBAL__N_17runRingI14__hip_fp8_e5m28FuncProdIS1_E11ProtoSimpleILi1ELi1ELi0ELi1ELi0ELi0EELi0ELi1ELi0EEEviiP15ncclDevWorkColl.has_dyn_sized_stack)
	.set .L_Z48ncclDevFunc_Reduce_RING_SIMPLE_Prod_f8e5m2_0_0_1v.has_recursion, or(1, .L_ZN12_GLOBAL__N_17runRingI14__hip_fp8_e5m28FuncProdIS1_E11ProtoSimpleILi1ELi1ELi0ELi1ELi0ELi0EELi0ELi1ELi0EEEviiP15ncclDevWorkColl.has_recursion)
	.set .L_Z48ncclDevFunc_Reduce_RING_SIMPLE_Prod_f8e5m2_0_0_1v.has_indirect_call, or(0, .L_ZN12_GLOBAL__N_17runRingI14__hip_fp8_e5m28FuncProdIS1_E11ProtoSimpleILi1ELi1ELi0ELi1ELi0ELi0EELi0ELi1ELi0EEEviiP15ncclDevWorkColl.has_indirect_call)
	.section	.AMDGPU.csdata,"",@progbits
; Function info:
; codeLenInByte = 464
; TotalNumSgprs: 64
; NumVgprs: 120
; ScratchSize: 192
; MemoryBound: 0
	.text
	.p2align	2                               ; -- Begin function _ZN12_GLOBAL__N_17runRingI14__hip_fp8_e5m28FuncProdIS1_E11ProtoSimpleILi1ELi1ELi0ELi2ELi0ELi0EELi0ELi2ELi0EEEviiP15ncclDevWorkColl
	.type	_ZN12_GLOBAL__N_17runRingI14__hip_fp8_e5m28FuncProdIS1_E11ProtoSimpleILi1ELi1ELi0ELi2ELi0ELi0EELi0ELi2ELi0EEEviiP15ncclDevWorkColl,@function
_ZN12_GLOBAL__N_17runRingI14__hip_fp8_e5m28FuncProdIS1_E11ProtoSimpleILi1ELi1ELi0ELi2ELi0ELi0EELi0ELi2ELi0EEEviiP15ncclDevWorkColl: ; @_ZN12_GLOBAL__N_17runRingI14__hip_fp8_e5m28FuncProdIS1_E11ProtoSimpleILi1ELi1ELi0ELi2ELi0ELi0EELi0ELi2ELi0EEEviiP15ncclDevWorkColl
; %bb.0:
	s_wait_loadcnt_dscnt 0x0
	s_wait_kmcnt 0x0
	s_mov_b32 s45, s33
	s_mov_b32 s33, s32
	s_or_saveexec_b32 s0, -1
	scratch_store_b32 off, v127, s33 offset:204 ; 4-byte Folded Spill
	s_wait_xcnt 0x0
	s_mov_b32 exec_lo, s0
	s_addk_co_i32 s32, 0xe0
	s_clause 0x2e
	scratch_store_b32 off, v40, s33 offset:184
	; meta instruction
	scratch_store_b32 off, v41, s33 offset:180
	; meta instruction
	;; [unrolled: 2-line block ×46, first 2 shown]
	scratch_store_b32 off, v126, s33
	v_writelane_b32 v127, s30, 0
	v_writelane_b32 v127, s31, 1
	s_trap 2
	ds_load_b64 v[14:15], v0
	ds_load_b32 v9, v0
	flat_load_b64 v[6:7], v[2:3]
	s_wait_xcnt 0x6
	v_mov_b32_e32 v121, v0
                                        ; implicit-def: $vgpr18_vgpr19
                                        ; implicit-def: $vgpr4_vgpr5
                                        ; implicit-def: $vgpr26_vgpr27
	s_wait_dscnt 0x2
	v_readfirstlane_b32 s0, v14
	v_readfirstlane_b32 s1, v15
	flat_load_u16 v17, v[2:3] offset:8
	flat_load_b32 v0, v15, s[0:1] offset:-4 scale_offset
	s_wait_xcnt 0x0
	s_mov_b32 s0, exec_lo
	s_wait_loadcnt_dscnt 0x202
	v_and_b32_e32 v8, 0xff, v6
	v_mov_b32_e32 v16, v7
	s_delay_alu instid0(VALU_DEP_2)
	v_cmpx_ne_u32_e64 v9, v8
	s_xor_b32 s0, exec_lo, s0
	s_cbranch_execz .LBB4_6
; %bb.1:
	v_bfe_u32 v10, v6, 8, 8
	v_not_b32_e32 v8, v8
	s_mov_b32 s1, exec_lo
                                        ; implicit-def: $vgpr18_vgpr19
                                        ; implicit-def: $vgpr4_vgpr5
                                        ; implicit-def: $vgpr26_vgpr27
	s_delay_alu instid0(VALU_DEP_2)
	v_cmpx_ne_u32_e64 v9, v10
	s_xor_b32 s1, exec_lo, s1
	s_cbranch_execz .LBB4_3
; %bb.2:
	s_clause 0x1
	flat_load_b128 v[4:7], v[2:3] offset:72
	flat_load_b64 v[10:11], v[2:3] offset:96
	v_add_nc_u32_e32 v8, v9, v8
	s_wait_loadcnt_dscnt 0x101
	s_delay_alu instid0(VALU_DEP_1) | instskip(SKIP_3) | instid1(VALU_DEP_3)
	v_mad_nc_u64_u32 v[26:27], v6, v8, v[4:5]
	v_ashrrev_i32_e32 v5, 31, v8
	s_wait_loadcnt_dscnt 0x0
	v_lshrrev_b64 v[18:19], 12, v[10:11]
                                        ; implicit-def: $vgpr10
	v_mad_u32 v4, v7, v8, v27
                                        ; implicit-def: $vgpr8
	s_delay_alu instid0(VALU_DEP_1)
	v_mad_u32 v27, v6, v5, v4
	v_mov_b64_e32 v[4:5], v[6:7]
.LBB4_3:
	s_wait_xcnt 0x0
	s_and_not1_saveexec_b32 s1, s1
	s_cbranch_execz .LBB4_5
; %bb.4:
	s_clause 0x1
	flat_load_b128 v[18:21], v[2:3] offset:72
	flat_load_b128 v[4:7], v[2:3] offset:88
	s_wait_loadcnt_dscnt 0x0
	v_add_nc_u32_e32 v6, v10, v8
	s_delay_alu instid0(VALU_DEP_1) | instskip(SKIP_1) | instid1(VALU_DEP_2)
	v_mad_nc_u64_u32 v[26:27], v20, v6, v[18:19]
	v_lshrrev_b32_e32 v18, 1, v7
	v_mad_u32 v8, v21, v6, v27
	v_ashrrev_i32_e32 v6, 31, v6
	s_delay_alu instid0(VALU_DEP_1)
	v_mad_u32 v27, v20, v6, v8
.LBB4_5:
	s_wait_xcnt 0x0
	s_or_b32 exec_lo, exec_lo, s1
.LBB4_6:
	s_and_not1_saveexec_b32 s0, s0
	s_cbranch_execz .LBB4_8
; %bb.7:
	s_clause 0x1
	flat_load_b64 v[6:7], v[2:3] offset:96
	flat_load_b64 v[4:5], v[2:3] offset:72
	v_mov_b64_e32 v[26:27], 0
	s_wait_loadcnt_dscnt 0x101
	v_lshlrev_b64_e32 v[18:19], 9, v[6:7]
.LBB4_8:
	s_wait_xcnt 0x0
	s_or_b32 exec_lo, exec_lo, s0
	s_trap 2
	s_wait_loadcnt_dscnt 0x0
	ds_load_b64 v[6:7], v0
	s_mov_b32 s1, 0
	s_mov_b32 s2, exec_lo
	s_wait_dscnt 0x0
	v_cmp_ne_u32_e32 vcc_lo, -1, v6
	v_cndmask_b32_e64 v15, 0, 1, vcc_lo
	v_cmp_ne_u32_e32 vcc_lo, -1, v7
	s_delay_alu instid0(VALU_DEP_2) | instskip(NEXT) | instid1(VALU_DEP_1)
	v_add_co_ci_u32_e64 v6, null, 0, v15, vcc_lo
	v_lshlrev_b32_e32 v7, 1, v6
	s_delay_alu instid0(VALU_DEP_1)
	v_cmpx_le_u32_e64 v7, v1
	s_xor_b32 s14, exec_lo, s2
	s_cbranch_execnz .LBB4_9
; %bb.5816:
	s_add_pc_i64 .LBB4_5813-.Lpost_addpc0
.Lpost_addpc0:
.LBB4_9:
	s_clause 0x1
	flat_load_b128 v[10:13], v[2:3] offset:16
	flat_load_b64 v[20:21], v[2:3] offset:104
	s_trap 2
	s_load_b32 s0, s[8:9], 0x0
	s_bfe_u32 s2, ttmp6, 0x4000c
	s_and_b32 s3, ttmp6, 15
	s_add_co_i32 s2, s2, 1
	s_getreg_b32 s4, hwreg(HW_REG_IB_STS2, 6, 4)
	s_mul_i32 s2, ttmp9, s2
	v_dual_mov_b32 v2, 0 :: v_dual_mov_b32 v120, 4
	s_add_co_i32 s3, s3, s2
	s_cmp_eq_u32 s4, 0
	ds_load_b32 v3, v0
	s_cselect_b32 s2, ttmp9, s3
	s_wait_kmcnt 0x0
	s_cmp_lt_u32 s2, s0
	s_cselect_b32 s0, 12, 18
	s_delay_alu instid0(SALU_CYCLE_1)
	s_add_nc_u64 s[0:1], s[8:9], s[0:1]
	global_load_u16 v2, v2, s[0:1]
	s_wait_xcnt 0x0
	s_mov_b32 s1, exec_lo
	s_wait_dscnt 0x0
	v_readfirstlane_b32 s15, v3
	v_cmpx_ge_i32_e64 v121, v15
	s_cbranch_execz .LBB4_19
; %bb.10:
	v_cmp_ge_u32_e64 s0, v121, v6
                                        ; implicit-def: $vgpr120
	s_and_saveexec_b32 s2, s0
	s_delay_alu instid0(SALU_CYCLE_1)
	s_xor_b32 s0, exec_lo, s2
	s_cbranch_execz .LBB4_16
; %bb.11:
	v_cndmask_b32_e64 v3, 0, 1, vcc_lo
	s_mov_b32 s2, exec_lo
	s_delay_alu instid0(VALU_DEP_1) | instskip(NEXT) | instid1(VALU_DEP_1)
	v_sub_nc_u32_e32 v3, v1, v3
	v_cmpx_ge_u32_e64 v121, v3
	s_xor_b32 s2, exec_lo, s2
; %bb.12:
                                        ; implicit-def: $vgpr6
; %bb.13:
	s_delay_alu instid0(SALU_CYCLE_1)
	s_or_saveexec_b32 s2, s2
	v_mov_b32_e32 v120, 16
	s_xor_b32 exec_lo, exec_lo, s2
; %bb.14:
	v_sub_nc_u32_e32 v3, v1, v6
	s_delay_alu instid0(VALU_DEP_1)
	v_cmp_lt_i32_e32 vcc_lo, v121, v3
	v_cndmask_b32_e64 v120, 32, 0, vcc_lo
; %bb.15:
	s_or_b32 exec_lo, exec_lo, s2
.LBB4_16:
	s_and_not1_saveexec_b32 s0, s0
; %bb.17:
	v_mov_b32_e32 v120, 8
; %bb.18:
	s_or_b32 exec_lo, exec_lo, s0
.LBB4_19:
	s_delay_alu instid0(SALU_CYCLE_1) | instskip(NEXT) | instid1(VALU_DEP_1)
	s_or_b32 exec_lo, exec_lo, s1
	v_and_b32_e32 v3, 36, v120
	s_delay_alu instid0(VALU_DEP_1)
	v_cmp_ne_u32_e32 vcc_lo, 0, v3
	v_mov_b32_e32 v3, -1
	s_and_saveexec_b32 s0, vcc_lo
	s_cbranch_execz .LBB4_21
; %bb.20:
	s_trap 2
	ds_load_b32 v3, v0
.LBB4_21:
	s_or_b32 exec_lo, exec_lo, s0
	v_and_b32_e32 v6, 24, v120
	s_mov_b32 s1, exec_lo
	s_delay_alu instid0(VALU_DEP_1)
	v_cmpx_ne_u32_e32 0, v6
	s_cbranch_execz .LBB4_23
; %bb.22:
	s_trap 2
	s_wait_dscnt 0x0
	ds_load_b32 v3, v0
.LBB4_23:
	s_or_b32 exec_lo, exec_lo, s1
	v_lshrrev_b64 v[6:7], 31, v[16:17]
	v_mov_b64_e32 v[28:29], 0
                                        ; implicit-def: $vgpr34
                                        ; implicit-def: $vgpr38_vgpr39
                                        ; implicit-def: $vgpr36_vgpr37
                                        ; implicit-def: $vgpr32_vgpr33
	s_delay_alu instid0(VALU_DEP_2) | instskip(SKIP_1) | instid1(VALU_DEP_2)
	v_and_b32_e32 v8, 3, v6
	v_mov_b64_e32 v[6:7], 0
	v_and_b32_e32 v17, 0xffff, v8
                                        ; implicit-def: $vgpr8_vgpr9
                                        ; kill: killed $vgpr8_vgpr9
	s_and_saveexec_b32 s0, vcc_lo
	s_cbranch_execz .LBB4_33
; %bb.24:
	s_trap 2
	ds_load_b64 v[6:7], v0
	s_wait_dscnt 0x0
	v_readfirstlane_b32 s2, v6
	v_readfirstlane_b32 s3, v7
	flat_load_b64 v[6:7], v3, s[2:3] scale_offset
	s_wait_loadcnt_dscnt 0x0
	v_mad_nc_u64_u32 v[22:23], 0xa8, v17, v[6:7]
	flat_load_b32 v6, v[22:23] offset:640
	s_wait_loadcnt_dscnt 0x0
	v_cmp_eq_u32_e32 vcc_lo, 1, v6
                                        ; implicit-def: $vgpr6_vgpr7
                                        ; kill: killed $vgpr6_vgpr7
	s_wait_xcnt 0x0
	s_and_saveexec_b32 s1, vcc_lo
	s_cbranch_execz .LBB4_26
; %bb.25:
	flat_load_b64 v[8:9], v[22:23] offset:648
	v_or_b32_e32 v120, 0x2000, v120
	s_wait_loadcnt_dscnt 0x0
	flat_load_b64 v[6:7], v[8:9]
	s_trap 2
	scratch_store_b64 off, v[8:9], s33 offset:188 ; 8-byte Folded Spill
	s_wait_loadcnt_dscnt 0x0
	ds_store_b64 v0, v[6:7]
	flat_load_b64 v[6:7], v[8:9] offset:8
	s_wait_loadcnt_dscnt 0x0
	ds_store_b64 v0, v[6:7]
	flat_load_b64 v[6:7], v[8:9] offset:16
	s_wait_loadcnt_dscnt 0x0
	ds_store_b64 v0, v[6:7]
.LBB4_26:
	s_wait_xcnt 0x0
	s_or_b32 exec_lo, exec_lo, s1
	flat_load_b64 v[8:9], v[22:23] offset:608
	v_and_b32_e32 v6, 32, v120
	s_mov_b32 s1, exec_lo
                                        ; implicit-def: $vgpr32_vgpr33
	s_wait_xcnt 0x0
	s_delay_alu instid0(VALU_DEP_1)
	v_cmpx_ne_u32_e32 0, v6
	s_cbranch_execz .LBB4_28
; %bb.27:
	flat_load_b64 v[32:33], v[22:23] offset:560
	global_wb scope:SCOPE_SYS
	s_wait_storecnt 0x0
	s_wait_xcnt 0x0
	s_wait_loadcnt_dscnt 0x0
	flat_store_b64 v[32:33], v[8:9] scope:SCOPE_SYS
.LBB4_28:
	s_wait_xcnt 0x0
	s_or_b32 exec_lo, exec_lo, s1
	v_add_nc_u64_e32 v[28:29], 0x1f8, v[22:23]
	v_mov_b64_e32 v[6:7], 0
	v_and_b32_e32 v19, 4, v120
	s_mov_b32 s1, exec_lo
                                        ; implicit-def: $vgpr34
                                        ; implicit-def: $vgpr38_vgpr39
                                        ; implicit-def: $vgpr36_vgpr37
	s_delay_alu instid0(VALU_DEP_1)
	v_cmpx_ne_u32_e32 0, v19
	s_cbranch_execz .LBB4_32
; %bb.29:
	v_and_b32_e32 v6, 0x800, v120
	s_mov_b32 s2, exec_lo
	s_delay_alu instid0(VALU_DEP_1)
	v_cmpx_eq_u32_e32 0, v6
	s_cbranch_execz .LBB4_31
; %bb.30:
	s_trap 2
	ds_store_b64 v0, v[28:29]
.LBB4_31:
	s_or_b32 exec_lo, exec_lo, s2
	flat_load_b64 v[32:33], v[22:23] offset:552
	v_or_b32_e32 v19, 0x100, v120
	s_wait_loadcnt_dscnt 0x0
	flat_load_b64 v[38:39], v[32:33] scope:SCOPE_SYS
	s_clause 0x2
	flat_load_b64 v[6:7], v[22:23] offset:600
	flat_load_b32 v34, v[22:23] offset:576
	flat_load_b64 v[36:37], v[22:23] offset:520
	s_wait_loadcnt_dscnt 0x202
	v_cmp_eq_u64_e32 vcc_lo, 0, v[6:7]
	v_cndmask_b32_e32 v120, v19, v120, vcc_lo
.LBB4_32:
	s_wait_xcnt 0x0
	s_or_b32 exec_lo, exec_lo, s1
.LBB4_33:
	s_delay_alu instid0(SALU_CYCLE_1) | instskip(NEXT) | instid1(VALU_DEP_1)
	s_or_b32 exec_lo, exec_lo, s0
	v_and_b32_e32 v19, 24, v120
	s_mov_b32 s0, exec_lo
                                        ; implicit-def: $vgpr52_vgpr53
	s_delay_alu instid0(VALU_DEP_1)
	v_cmpx_ne_u32_e32 0, v19
	s_cbranch_execz .LBB4_41
; %bb.34:
	s_trap 2
	ds_load_b64 v[6:7], v0
	s_mov_b32 s1, exec_lo
                                        ; implicit-def: $vgpr52_vgpr53
	s_wait_dscnt 0x0
	v_readfirstlane_b32 s2, v6
	v_readfirstlane_b32 s3, v7
	flat_load_b64 v[6:7], v3, s[2:3] scale_offset
	s_wait_xcnt 0x0
	v_or_b32_e32 v3, 0x100, v120
	s_wait_loadcnt_dscnt 0x0
	v_mad_nc_u64_u32 v[28:29], 0xa8, v17, v[6:7]
	flat_load_b128 v[6:9], v[28:29] offset:96
	s_wait_loadcnt_dscnt 0x0
	v_cmp_eq_u64_e32 vcc_lo, 0, v[6:7]
	v_cndmask_b32_e32 v120, v3, v120, vcc_lo
	s_delay_alu instid0(VALU_DEP_1) | instskip(SKIP_1) | instid1(VALU_DEP_1)
	v_and_b32_e32 v3, 16, v120
	s_wait_xcnt 0x0
	v_cmpx_ne_u32_e32 0, v3
	s_cbranch_execz .LBB4_36
; %bb.35:
	s_clause 0x2
	flat_load_b64 v[32:33], v[28:29] offset:48
	flat_load_b64 v[52:53], v[28:29] offset:120
	flat_load_b64 v[36:37], v[28:29] offset:16
.LBB4_36:
	s_wait_xcnt 0x0
	s_or_b32 exec_lo, exec_lo, s1
	v_and_b32_e32 v3, 8, v120
	s_mov_b32 s1, exec_lo
	s_delay_alu instid0(VALU_DEP_1)
	v_cmpx_ne_u32_e32 0, v3
	s_cbranch_execz .LBB4_40
; %bb.37:
	v_and_b32_e32 v3, 0x800, v120
	s_mov_b32 s2, exec_lo
	s_delay_alu instid0(VALU_DEP_1)
	v_cmpx_eq_u32_e32 0, v3
	s_cbranch_execz .LBB4_39
; %bb.38:
	s_trap 2
	ds_store_b64 v0, v[28:29]
.LBB4_39:
	s_or_b32 exec_lo, exec_lo, s2
	s_wait_loadcnt_dscnt 0x202
	flat_load_b64 v[32:33], v[28:29] offset:56
	s_wait_loadcnt_dscnt 0x0
	flat_load_b64 v[38:39], v[32:33] scope:SCOPE_SYS
	s_clause 0x1
	flat_load_b32 v34, v[28:29] offset:72
	flat_load_b64 v[36:37], v[28:29] offset:16
.LBB4_40:
	s_wait_xcnt 0x0
	s_or_b32 exec_lo, exec_lo, s1
.LBB4_41:
	s_delay_alu instid0(SALU_CYCLE_1)
	s_or_b32 exec_lo, exec_lo, s0
	v_cmp_eq_u32_e64 s0, 0, v121
	s_and_saveexec_b32 s1, s0
	s_cbranch_execz .LBB4_43
; %bb.42:
	v_mov_b64_e32 v[22:23], 0
	s_wait_loadcnt 0x2
	ds_store_2addr_b64 v0, v[12:13], v[10:11] offset1:1
	s_trap 2
	ds_store_b64 v0, v[22:23]
	s_wait_loadcnt 0x1
	ds_store_b64 v0, v[20:21]
.LBB4_43:
	s_or_b32 exec_lo, exec_lo, s1
	s_wait_dscnt 0x0
	v_bfe_u32 v3, v16, 1, 30
	v_and_b32_e32 v50, 0x3ffffe00, v18
	v_mov_b32_e32 v51, 0
	s_wait_loadcnt 0x0
	v_and_b32_e32 v2, 0xffff, v2
                                        ; implicit-def: $vgpr48_vgpr49
	s_mov_b32 s1, exec_lo
	v_cmpx_ne_u32_e64 v0, v3
	s_xor_b32 s16, exec_lo, s1
	s_cbranch_execnz .LBB4_44
; %bb.5818:
	s_add_pc_i64 .LBB4_5605-.Lpost_addpc1
.Lpost_addpc1:
.LBB4_44:
                                        ; implicit-def: $vgpr48_vgpr49
	s_mov_b32 s1, exec_lo
	v_cmpx_ne_u32_e64 v14, v3
	s_xor_b32 s17, exec_lo, s1
	s_cbranch_execz .LBB4_2830
; %bb.45:
	v_mov_b64_e32 v[48:49], 0
	s_mov_b32 s18, exec_lo
	v_cmpx_ne_u64_e32 0, v[4:5]
	s_cbranch_execz .LBB4_2829
; %bb.46:
	v_dual_ashrrev_i32 v0, 31, v121 :: v_dual_ashrrev_i32 v35, 31, v34
	s_ashr_i32 s4, s15, 31
	v_cmp_eq_u32_e32 vcc_lo, 32, v1
	s_lshr_b32 s4, s4, 24
	s_delay_alu instid0(VALU_DEP_2) | instskip(SKIP_3) | instid1(VALU_DEP_4)
	v_dual_lshrrev_b32 v0, 27, v0 :: v_dual_bitop2_b32 v3, 31, v31 bitop3:0x40
	v_mov_b64_e32 v[76:77], 0
	v_cmp_eq_u64_e64 s7, 0, v[52:53]
	v_mov_b64_e32 v[84:85], 0
	v_dual_add_nc_u32 v0, v121, v0 :: v_dual_lshrrev_b32 v54, 5, v1
	v_mov_b32_e32 v65, 0
	v_mov_b64_e32 v[48:49], 0
	v_cmp_ge_i32_e64 s1, v121, v1
	s_delay_alu instid0(VALU_DEP_4)
	v_and_b32_e32 v10, 0xffffffe0, v0
	v_ashrrev_i32_e32 v122, 5, v0
	v_cmp_ne_u32_e64 s2, 32, v1
	v_cmp_ne_u32_e64 s3, v1, v2
	v_and_b32_e32 v66, 0x1fe0, v1
	v_sub_nc_u32_e32 v123, v121, v10
	v_dual_mov_b32 v55, v65 :: v_dual_lshlrev_b32 v0, 10, v122
	s_add_co_i32 s10, s15, s4
	v_cmp_eq_u32_e64 s4, 0, v3
	v_dual_mov_b32 v71, v65 :: v_dual_lshlrev_b32 v70, 10, v54
	s_delay_alu instid0(VALU_DEP_3) | instskip(SKIP_2) | instid1(VALU_DEP_3)
	v_lshl_add_u32 v10, v123, 4, v0
	v_dual_mov_b32 v81, v65 :: v_dual_lshlrev_b32 v80, 9, v54
	v_dual_mov_b32 v67, v65 :: v_dual_mov_b32 v124, 1
	v_ashrrev_i32_e32 v11, 31, v10
	v_cmp_le_i32_e64 s5, v123, v15
	v_cmp_lt_i32_e64 s6, v123, v15
	v_mov_b32_e32 v125, 0x90
	v_mov_b32_e32 v126, 0x7f800000
	;; [unrolled: 1-line block ×3, first 2 shown]
	s_mov_b64 s[12:13], 0xffffffffffffff
	s_ashr_i32 s20, s10, 8
	s_mov_b32 s19, 0
	s_xor_b32 s21, vcc_lo, -1
	scratch_store_b64 off, v[10:11], s33 offset:196 ; 8-byte Folded Spill
	s_trap 2
	s_branch .LBB4_49
.LBB4_47:                               ;   in Loop: Header=BB4_49 Depth=1
	s_wait_xcnt 0x0
	s_or_b32 exec_lo, exec_lo, s10
.LBB4_48:                               ;   in Loop: Header=BB4_49 Depth=1
	s_delay_alu instid0(SALU_CYCLE_1) | instskip(SKIP_1) | instid1(VALU_DEP_1)
	s_or_b32 exec_lo, exec_lo, s11
	v_add_nc_u64_e32 v[84:85], v[84:85], v[50:51]
	v_cmp_ge_u64_e32 vcc_lo, v[84:85], v[4:5]
	s_or_b32 s19, vcc_lo, s19
	s_delay_alu instid0(SALU_CYCLE_1)
	s_and_not1_b32 exec_lo, exec_lo, s19
	s_cbranch_execz .LBB4_2828
.LBB4_49:                               ; =>This Loop Header: Depth=1
                                        ;     Child Loop BB4_58 Depth 2
                                        ;     Child Loop BB4_86 Depth 2
	;; [unrolled: 1-line block ×10, first 2 shown]
	s_wait_xcnt 0x0
	v_sub_nc_u64_e32 v[10:11], v[4:5], v[84:85]
	s_delay_alu instid0(VALU_DEP_1) | instskip(NEXT) | instid1(VALU_DEP_1)
	v_min_u64 v[86:87], v[50:51], v[10:11]
	v_add_nc_u32_e32 v0, 15, v86
	s_delay_alu instid0(VALU_DEP_2) | instskip(NEXT) | instid1(VALU_DEP_2)
	v_cmp_eq_u64_e32 vcc_lo, 0, v[86:87]
	v_and_b32_e32 v0, 0x7ffffff0, v0
	s_or_b32 s22, s1, vcc_lo
	s_delay_alu instid0(SALU_CYCLE_1) | instskip(NEXT) | instid1(VALU_DEP_1)
	s_xor_b32 s10, s22, -1
	v_dual_mov_b32 v0, v65 :: v_dual_max_i32 v96, s20, v0
	s_and_saveexec_b32 s23, s10
	s_cbranch_execz .LBB4_2776
; %bb.50:                               ;   in Loop: Header=BB4_49 Depth=1
	s_and_saveexec_b32 s10, s0
	s_cbranch_execz .LBB4_52
; %bb.51:                               ;   in Loop: Header=BB4_49 Depth=1
	s_trap 2
	ds_load_b64 v[10:11], v0
	s_wait_dscnt 0x0
	v_add_nc_u64_e32 v[10:11], v[10:11], v[26:27]
	s_delay_alu instid0(VALU_DEP_1)
	v_add_nc_u64_e32 v[10:11], v[10:11], v[84:85]
	ds_store_b64 v0, v[10:11]
	ds_store_b64 v0, v[76:77]
.LBB4_52:                               ;   in Loop: Header=BB4_49 Depth=1
	s_or_b32 exec_lo, exec_lo, s10
	v_and_b32_e32 v0, 12, v120
	v_min_u32_e32 v96, v96, v86
	s_mov_b32 s11, exec_lo
	s_delay_alu instid0(VALU_DEP_2)
	v_cmpx_ne_u32_e32 0, v0
	s_cbranch_execz .LBB4_78
; %bb.53:                               ;   in Loop: Header=BB4_49 Depth=1
	v_and_b32_e32 v64, 8, v120
	v_add_nc_u64_e32 v[10:11], 1, v[8:9]
	s_mov_b32 s24, exec_lo
	s_wait_loadcnt 0x0
	s_delay_alu instid0(VALU_DEP_2) | instskip(NEXT) | instid1(VALU_DEP_1)
	v_add_nc_u64_e32 v[12:13], v[38:39], v[64:65]
	v_cmpx_lt_u64_e64 v[12:13], v[10:11]
	s_cbranch_execz .LBB4_65
; %bb.54:                               ;   in Loop: Header=BB4_49 Depth=1
	v_and_b32_e32 v0, 64, v120
	s_mov_b32 s25, 0
	s_mov_b32 s29, 0
                                        ; implicit-def: $sgpr26
                                        ; implicit-def: $sgpr27
                                        ; implicit-def: $sgpr28
	s_delay_alu instid0(VALU_DEP_1)
	v_cmp_eq_u32_e32 vcc_lo, 0, v0
	s_branch .LBB4_58
.LBB4_55:                               ;   in Loop: Header=BB4_58 Depth=2
	s_wait_loadcnt_dscnt 0x0
	v_add_nc_u64_e32 v[12:13], v[38:39], v[64:65]
	s_or_b32 s42, s42, exec_lo
	s_delay_alu instid0(VALU_DEP_1)
	v_cmp_ge_u64_e64 s10, v[12:13], v[10:11]
	s_or_not1_b32 s41, s10, exec_lo
.LBB4_56:                               ;   in Loop: Header=BB4_58 Depth=2
	s_or_b32 exec_lo, exec_lo, s44
	s_delay_alu instid0(SALU_CYCLE_1)
	s_and_not1_b32 s10, s28, exec_lo
	s_and_b32 s28, s42, exec_lo
	s_and_not1_b32 s27, s27, exec_lo
	s_and_b32 s41, s41, exec_lo
	s_or_b32 s28, s10, s28
	s_or_b32 s27, s27, s41
.LBB4_57:                               ;   in Loop: Header=BB4_58 Depth=2
	s_or_b32 exec_lo, exec_lo, s40
	s_delay_alu instid0(SALU_CYCLE_1) | instskip(NEXT) | instid1(SALU_CYCLE_1)
	s_and_b32 s10, exec_lo, s27
	s_or_b32 s25, s10, s25
	s_and_not1_b32 s10, s26, exec_lo
	s_and_b32 s26, s28, exec_lo
	s_delay_alu instid0(SALU_CYCLE_1)
	s_or_b32 s26, s10, s26
	s_and_not1_b32 exec_lo, exec_lo, s25
	s_cbranch_execz .LBB4_62
.LBB4_58:                               ;   Parent Loop BB4_49 Depth=1
                                        ; =>  This Inner Loop Header: Depth=2
	s_sleep 1
	s_wait_loadcnt_dscnt 0x0
	flat_load_b64 v[38:39], v[32:33] scope:SCOPE_SYS
	s_or_b32 s28, s28, exec_lo
	s_or_b32 s27, s27, exec_lo
                                        ; implicit-def: $vgpr0
	s_wait_xcnt 0x0
	s_and_saveexec_b32 s40, vcc_lo
	s_cbranch_execz .LBB4_57
; %bb.59:                               ;   in Loop: Header=BB4_58 Depth=2
	s_cmp_lt_i32 s29, 0x270f
	s_mov_b32 s41, -1
	s_cselect_b32 s43, -1, 0
	s_cmp_gt_i32 s29, 0x270e
	s_cbranch_scc0 .LBB4_61
; %bb.60:                               ;   in Loop: Header=BB4_58 Depth=2
	s_trap 2
	ds_load_b64 v[12:13], v0
	s_and_not1_b32 s29, s43, exec_lo
	s_mov_b32 s42, 0
	s_wait_storecnt 0x0
	s_wait_loadcnt_dscnt 0x0
	flat_load_b32 v0, v[12:13] scope:SCOPE_SYS
	s_wait_loadcnt_dscnt 0x0
	global_inv scope:SCOPE_SYS
	v_cmp_eq_u32_e64 s10, 0, v0
	s_and_b32 s10, s10, exec_lo
	s_delay_alu instid0(SALU_CYCLE_1)
	s_or_b32 s43, s29, s10
	s_mov_b32 s29, 0
	s_and_saveexec_b32 s44, s43
	s_cbranch_execz .LBB4_56
	s_branch .LBB4_55
.LBB4_61:                               ;   in Loop: Header=BB4_58 Depth=2
	s_add_co_i32 s29, s29, 1
	s_mov_b32 s42, -1
                                        ; implicit-def: $vgpr0
	s_and_saveexec_b32 s44, s43
	s_cbranch_execz .LBB4_56
	s_branch .LBB4_55
.LBB4_62:                               ;   in Loop: Header=BB4_49 Depth=1
	s_or_b32 exec_lo, exec_lo, s25
	s_xor_b32 s10, s26, -1
	s_delay_alu instid0(SALU_CYCLE_1) | instskip(NEXT) | instid1(SALU_CYCLE_1)
	s_and_saveexec_b32 s25, s10
	s_xor_b32 s10, exec_lo, s25
	s_cbranch_execz .LBB4_64
; %bb.63:                               ;   in Loop: Header=BB4_49 Depth=1
	v_or_b32_e32 v120, 64, v120
	s_wait_storecnt 0x0
	s_wait_loadcnt_dscnt 0x0
	ds_store_b32 v0, v0
	s_trap 2
.LBB4_64:                               ;   in Loop: Header=BB4_49 Depth=1
	s_or_b32 exec_lo, exec_lo, s10
.LBB4_65:                               ;   in Loop: Header=BB4_49 Depth=1
	s_delay_alu instid0(SALU_CYCLE_1) | instskip(SKIP_4) | instid1(VALU_DEP_2)
	s_or_b32 exec_lo, exec_lo, s24
	v_and_b32_e32 v0, 0x108, v120
	v_and_b32_e32 v8, 7, v8
	s_mov_b32 s10, exec_lo
	;;#ASMSTART
	s_wakeup
	;;#ASMEND
	v_cmpx_ne_u32_e32 0x108, v0
	s_xor_b32 s10, exec_lo, s10
; %bb.66:                               ;   in Loop: Header=BB4_49 Depth=1
	v_mov_b32_e32 v9, v65
; %bb.67:                               ;   in Loop: Header=BB4_49 Depth=1
	s_and_not1_saveexec_b32 s10, s10
	s_cbranch_execz .LBB4_69
; %bb.68:                               ;   in Loop: Header=BB4_49 Depth=1
	v_mad_nc_u64_u32 v[12:13], v8, 24, v[6:7]
	v_dual_mov_b32 v97, v65 :: v_dual_mov_b32 v9, v65
	flat_store_b64 v[12:13], v[96:97] offset:8
.LBB4_69:                               ;   in Loop: Header=BB4_49 Depth=1
	s_wait_xcnt 0x0
	s_or_b32 exec_lo, exec_lo, s10
	v_and_b32_e32 v0, 0x100, v120
	s_mov_b32 s10, -1
	s_mov_b32 s24, exec_lo
                                        ; implicit-def: $vgpr12_vgpr13
	s_delay_alu instid0(VALU_DEP_1)
	v_cmpx_ne_u32_e32 0, v0
	s_cbranch_execz .LBB4_73
; %bb.70:                               ;   in Loop: Header=BB4_49 Depth=1
	v_mad_nc_u64_u32 v[14:15], v8, 24, v[6:7]
	s_mov_b32 s25, exec_lo
                                        ; implicit-def: $vgpr12_vgpr13
	s_delay_alu instid0(VALU_DEP_1)
	v_mad_u32 v15, v9, 24, v15
	flat_load_b32 v0, v[14:15]
	s_wait_loadcnt_dscnt 0x0
	v_cmp_ne_u32_e32 vcc_lo, 1, v0
	s_wait_xcnt 0x0
	v_cmpx_eq_u32_e32 1, v0
	s_cbranch_execz .LBB4_72
; %bb.71:                               ;   in Loop: Header=BB4_49 Depth=1
	flat_load_b32 v12, v[14:15] offset:4 scope:SCOPE_SYS
	s_wait_loadcnt_dscnt 0x0
	v_ashrrev_i32_e32 v13, 31, v12
.LBB4_72:                               ;   in Loop: Header=BB4_49 Depth=1
	s_wait_xcnt 0x0
	s_or_b32 exec_lo, exec_lo, s25
	s_delay_alu instid0(SALU_CYCLE_1)
	s_or_not1_b32 s10, vcc_lo, exec_lo
.LBB4_73:                               ;   in Loop: Header=BB4_49 Depth=1
	s_or_b32 exec_lo, exec_lo, s24
	s_and_saveexec_b32 s24, s10
; %bb.74:                               ;   in Loop: Header=BB4_49 Depth=1
	v_mul_u64_e32 v[12:13], v[8:9], v[34:35]
; %bb.75:                               ;   in Loop: Header=BB4_49 Depth=1
	s_or_b32 exec_lo, exec_lo, s24
	v_cmp_eq_u32_e32 vcc_lo, 0, v64
	s_delay_alu instid0(VALU_DEP_2) | instskip(SKIP_3) | instid1(VALU_DEP_1)
	v_add_nc_u64_e32 v[8:9], v[36:37], v[12:13]
	v_and_b32_e32 v3, 0x2000, v120
	s_mov_b32 s10, exec_lo
	v_cndmask_b32_e32 v0, 0xc8, v125, vcc_lo
	v_add_nc_u32_e32 v0, v0, v0
	ds_store_b64 v0, v[8:9] offset:584
	v_cmpx_ne_u32_e32 0, v3
	s_cbranch_execz .LBB4_77
; %bb.76:                               ;   in Loop: Header=BB4_49 Depth=1
	ds_load_b64 v[8:9], v0 offset:872
	s_wait_dscnt 0x0
	v_add_nc_u64_e32 v[8:9], 1, v[8:9]
	ds_store_b64 v0, v[8:9] offset:872
.LBB4_77:                               ;   in Loop: Header=BB4_49 Depth=1
	s_or_b32 exec_lo, exec_lo, s10
	v_mov_b64_e32 v[8:9], v[10:11]
.LBB4_78:                               ;   in Loop: Header=BB4_49 Depth=1
	s_or_b32 exec_lo, exec_lo, s11
	s_and_saveexec_b32 s10, s2
	s_cbranch_execz .LBB4_97
; %bb.79:                               ;   in Loop: Header=BB4_49 Depth=1
	s_and_saveexec_b32 s11, s3
	s_delay_alu instid0(SALU_CYCLE_1)
	s_xor_b32 s11, exec_lo, s11
	s_cbranch_execz .LBB4_94
; %bb.80:                               ;   in Loop: Header=BB4_49 Depth=1
	s_and_saveexec_b32 s24, s4
	s_cbranch_execz .LBB4_93
; %bb.81:                               ;   in Loop: Header=BB4_49 Depth=1
	s_mov_b32 s26, exec_lo
	s_mov_b32 s25, exec_lo
	v_mbcnt_lo_u32_b32 v0, s26, 0
	global_wb scope:SCOPE_DEV
	s_wait_storecnt 0x0
	s_wait_loadcnt_dscnt 0x0
	global_inv scope:SCOPE_DEV
	v_cmpx_eq_u32_e32 0, v0
	s_cbranch_execz .LBB4_83
; %bb.82:                               ;   in Loop: Header=BB4_49 Depth=1
	s_bcnt1_i32_b32 s26, s26
	s_delay_alu instid0(SALU_CYCLE_1)
	v_mov_b32_e32 v64, s26
	s_wait_loadcnt 0x0
	ds_add_u64 v0, v[64:65]
	s_trap 2
.LBB4_83:                               ;   in Loop: Header=BB4_49 Depth=1
	s_or_b32 exec_lo, exec_lo, s25
	s_trap 2
	ds_load_b64 v[10:11], v0
	s_wait_dscnt 0x0
	v_add_nc_u64_e32 v[48:49], v[48:49], v[54:55]
	s_mov_b32 s25, exec_lo
	s_delay_alu instid0(VALU_DEP_1)
	v_cmpx_lt_u64_e64 v[10:11], v[48:49]
	s_cbranch_execz .LBB4_92
; %bb.84:                               ;   in Loop: Header=BB4_49 Depth=1
	s_mov_b32 s26, 0
	s_mov_b32 s29, 0
                                        ; implicit-def: $sgpr27
                                        ; implicit-def: $sgpr28
	s_branch .LBB4_86
.LBB4_85:                               ;   in Loop: Header=BB4_86 Depth=2
	s_or_b32 exec_lo, exec_lo, s41
	s_delay_alu instid0(SALU_CYCLE_1) | instskip(NEXT) | instid1(SALU_CYCLE_1)
	s_and_b32 s40, exec_lo, s42
	s_or_b32 s26, s40, s26
	s_and_not1_b32 s27, s27, exec_lo
	s_and_b32 s40, s28, exec_lo
	s_delay_alu instid0(SALU_CYCLE_1)
	s_or_b32 s27, s27, s40
	s_and_not1_b32 exec_lo, exec_lo, s26
	s_cbranch_execz .LBB4_90
.LBB4_86:                               ;   Parent Loop BB4_49 Depth=1
                                        ; =>  This Inner Loop Header: Depth=2
	s_add_co_i32 s29, s29, 1
	s_delay_alu instid0(SALU_CYCLE_1) | instskip(SKIP_1) | instid1(SALU_CYCLE_1)
	s_cmp_lg_u32 s29, 0x2710
	s_cselect_b32 s40, -1, 0
	s_and_b32 vcc_lo, exec_lo, s40
	s_cbranch_vccz .LBB4_88
; %bb.87:                               ;   in Loop: Header=BB4_86 Depth=2
	s_mov_b32 s42, -1
	s_or_b32 s28, s28, exec_lo
	s_and_saveexec_b32 s41, s40
	s_cbranch_execz .LBB4_85
	s_branch .LBB4_89
.LBB4_88:                               ;   in Loop: Header=BB4_86 Depth=2
	s_trap 2
	ds_load_b64 v[10:11], v0
	s_and_not1_b32 s40, s40, exec_lo
	s_mov_b32 s29, 0
	s_wait_loadcnt_dscnt 0x0
	flat_load_b32 v0, v[10:11] scope:SCOPE_SYS
	s_wait_loadcnt_dscnt 0x0
	global_inv scope:SCOPE_SYS
	v_cmp_eq_u32_e32 vcc_lo, 0, v0
	s_and_b32 s41, vcc_lo, exec_lo
	s_delay_alu instid0(SALU_CYCLE_1)
	s_or_b32 s40, s40, s41
	s_mov_b32 s42, -1
	s_or_b32 s28, s28, exec_lo
	s_and_saveexec_b32 s41, s40
	s_cbranch_execz .LBB4_85
.LBB4_89:                               ;   in Loop: Header=BB4_86 Depth=2
	s_sleep 1
	s_trap 2
	ds_load_b64 v[10:11], v0
	s_wait_dscnt 0x0
	s_and_not1_b32 s28, s28, exec_lo
	v_cmp_ge_u64_e32 vcc_lo, v[10:11], v[48:49]
	s_or_not1_b32 s42, vcc_lo, exec_lo
	s_branch .LBB4_85
.LBB4_90:                               ;   in Loop: Header=BB4_49 Depth=1
	s_or_b32 exec_lo, exec_lo, s26
	s_and_saveexec_b32 s26, s27
	s_delay_alu instid0(SALU_CYCLE_1)
	s_xor_b32 s26, exec_lo, s26
	s_cbranch_execz .LBB4_92
; %bb.91:                               ;   in Loop: Header=BB4_49 Depth=1
	ds_store_b32 v0, v124
	s_trap 2
.LBB4_92:                               ;   in Loop: Header=BB4_49 Depth=1
	s_or_b32 exec_lo, exec_lo, s25
	;;#ASMSTART
	s_wakeup
	;;#ASMEND
.LBB4_93:                               ;   in Loop: Header=BB4_49 Depth=1
	s_or_b32 exec_lo, exec_lo, s24
.LBB4_94:                               ;   in Loop: Header=BB4_49 Depth=1
	s_and_not1_saveexec_b32 s11, s11
	s_cbranch_execz .LBB4_96
; %bb.95:                               ;   in Loop: Header=BB4_49 Depth=1
	global_wb scope:SCOPE_DEV
	s_wait_storecnt 0x0
	s_wait_loadcnt_dscnt 0x0
	global_inv scope:SCOPE_DEV
	s_barrier_signal -1
	s_barrier_wait -1
.LBB4_96:                               ;   in Loop: Header=BB4_49 Depth=1
	s_or_b32 exec_lo, exec_lo, s11
.LBB4_97:                               ;   in Loop: Header=BB4_49 Depth=1
	s_delay_alu instid0(SALU_CYCLE_1) | instskip(SKIP_3) | instid1(VALU_DEP_1)
	s_or_b32 exec_lo, exec_lo, s10
	s_trap 2
	ds_load_b32 v0, v0
	v_and_b32_e32 v3, 0x4000, v120
	v_cmp_ne_u32_e32 vcc_lo, 0, v3
	s_and_b32 s11, s21, vcc_lo
	s_delay_alu instid0(SALU_CYCLE_1)
	s_and_saveexec_b32 s10, s11
	s_cbranch_execz .LBB4_116
; %bb.98:                               ;   in Loop: Header=BB4_49 Depth=1
	s_and_saveexec_b32 s11, s3
	s_delay_alu instid0(SALU_CYCLE_1)
	s_xor_b32 s11, exec_lo, s11
	s_cbranch_execz .LBB4_113
; %bb.99:                               ;   in Loop: Header=BB4_49 Depth=1
	s_and_saveexec_b32 s24, s4
	s_cbranch_execz .LBB4_112
; %bb.100:                              ;   in Loop: Header=BB4_49 Depth=1
	s_mov_b32 s26, exec_lo
	s_mov_b32 s25, exec_lo
	v_mbcnt_lo_u32_b32 v3, s26, 0
	global_wb scope:SCOPE_DEV
	s_wait_storecnt 0x0
	s_wait_loadcnt_dscnt 0x0
	global_inv scope:SCOPE_DEV
	v_cmpx_eq_u32_e32 0, v3
	s_cbranch_execz .LBB4_102
; %bb.101:                              ;   in Loop: Header=BB4_49 Depth=1
	s_bcnt1_i32_b32 s26, s26
	s_delay_alu instid0(SALU_CYCLE_1)
	v_mov_b32_e32 v64, s26
	s_wait_loadcnt 0x0
	ds_add_u64 v0, v[64:65]
	s_trap 2
.LBB4_102:                              ;   in Loop: Header=BB4_49 Depth=1
	s_or_b32 exec_lo, exec_lo, s25
	s_trap 2
	ds_load_b64 v[10:11], v0
	s_wait_dscnt 0x0
	v_add_nc_u64_e32 v[48:49], v[48:49], v[54:55]
	s_mov_b32 s25, exec_lo
	s_delay_alu instid0(VALU_DEP_1)
	v_cmpx_lt_u64_e64 v[10:11], v[48:49]
	s_cbranch_execz .LBB4_111
; %bb.103:                              ;   in Loop: Header=BB4_49 Depth=1
	s_mov_b32 s26, 0
	s_mov_b32 s29, 0
                                        ; implicit-def: $sgpr27
                                        ; implicit-def: $sgpr28
	s_branch .LBB4_105
.LBB4_104:                              ;   in Loop: Header=BB4_105 Depth=2
	s_or_b32 exec_lo, exec_lo, s41
	s_delay_alu instid0(SALU_CYCLE_1) | instskip(NEXT) | instid1(SALU_CYCLE_1)
	s_and_b32 s40, exec_lo, s42
	s_or_b32 s26, s40, s26
	s_and_not1_b32 s27, s27, exec_lo
	s_and_b32 s40, s28, exec_lo
	s_delay_alu instid0(SALU_CYCLE_1)
	s_or_b32 s27, s27, s40
	s_and_not1_b32 exec_lo, exec_lo, s26
	s_cbranch_execz .LBB4_109
.LBB4_105:                              ;   Parent Loop BB4_49 Depth=1
                                        ; =>  This Inner Loop Header: Depth=2
	s_add_co_i32 s29, s29, 1
	s_delay_alu instid0(SALU_CYCLE_1) | instskip(SKIP_1) | instid1(SALU_CYCLE_1)
	s_cmp_lg_u32 s29, 0x2710
	s_cselect_b32 s40, -1, 0
	s_and_b32 vcc_lo, exec_lo, s40
	s_cbranch_vccz .LBB4_107
; %bb.106:                              ;   in Loop: Header=BB4_105 Depth=2
	s_mov_b32 s42, -1
	s_or_b32 s28, s28, exec_lo
	s_and_saveexec_b32 s41, s40
	s_cbranch_execz .LBB4_104
	s_branch .LBB4_108
.LBB4_107:                              ;   in Loop: Header=BB4_105 Depth=2
	s_trap 2
	ds_load_b64 v[10:11], v0
	s_and_not1_b32 s40, s40, exec_lo
	s_mov_b32 s29, 0
	s_wait_loadcnt_dscnt 0x0
	flat_load_b32 v3, v[10:11] scope:SCOPE_SYS
	s_wait_loadcnt_dscnt 0x0
	global_inv scope:SCOPE_SYS
	v_cmp_eq_u32_e32 vcc_lo, 0, v3
	s_and_b32 s41, vcc_lo, exec_lo
	s_delay_alu instid0(SALU_CYCLE_1)
	s_or_b32 s40, s40, s41
	s_mov_b32 s42, -1
	s_or_b32 s28, s28, exec_lo
	s_and_saveexec_b32 s41, s40
	s_cbranch_execz .LBB4_104
.LBB4_108:                              ;   in Loop: Header=BB4_105 Depth=2
	s_sleep 1
	s_trap 2
	ds_load_b64 v[10:11], v0
	s_wait_dscnt 0x0
	s_and_not1_b32 s28, s28, exec_lo
	v_cmp_ge_u64_e32 vcc_lo, v[10:11], v[48:49]
	s_or_not1_b32 s42, vcc_lo, exec_lo
	s_branch .LBB4_104
.LBB4_109:                              ;   in Loop: Header=BB4_49 Depth=1
	s_or_b32 exec_lo, exec_lo, s26
	s_and_saveexec_b32 s26, s27
	s_delay_alu instid0(SALU_CYCLE_1)
	s_xor_b32 s26, exec_lo, s26
	s_cbranch_execz .LBB4_111
; %bb.110:                              ;   in Loop: Header=BB4_49 Depth=1
	ds_store_b32 v0, v124
	s_trap 2
.LBB4_111:                              ;   in Loop: Header=BB4_49 Depth=1
	s_or_b32 exec_lo, exec_lo, s25
	;;#ASMSTART
	s_wakeup
	;;#ASMEND
.LBB4_112:                              ;   in Loop: Header=BB4_49 Depth=1
	s_or_b32 exec_lo, exec_lo, s24
.LBB4_113:                              ;   in Loop: Header=BB4_49 Depth=1
	s_and_not1_saveexec_b32 s11, s11
	s_cbranch_execz .LBB4_115
; %bb.114:                              ;   in Loop: Header=BB4_49 Depth=1
	global_wb scope:SCOPE_DEV
	s_wait_storecnt 0x0
	s_wait_loadcnt_dscnt 0x0
	global_inv scope:SCOPE_DEV
	s_barrier_signal -1
	s_barrier_wait -1
.LBB4_115:                              ;   in Loop: Header=BB4_49 Depth=1
	s_or_b32 exec_lo, exec_lo, s11
.LBB4_116:                              ;   in Loop: Header=BB4_49 Depth=1
	s_delay_alu instid0(SALU_CYCLE_1)
	s_or_b32 exec_lo, exec_lo, s10
	s_trap 2
	s_wait_dscnt 0x0
	ds_load_b64 v[98:99], v0
	s_wait_dscnt 0x0
	v_cmp_eq_u64_e32 vcc_lo, 0, v[98:99]
	s_cbranch_vccnz .LBB4_124
; %bb.117:                              ;   in Loop: Header=BB4_49 Depth=1
	s_trap 2
	ds_load_b64 v[100:101], v0
	s_wait_dscnt 0x0
	v_cmp_eq_u64_e32 vcc_lo, 0, v[100:101]
	s_cbranch_vccnz .LBB4_124
; %bb.118:                              ;   in Loop: Header=BB4_49 Depth=1
	s_mov_b32 s10, -1
	s_and_saveexec_b32 s11, s5
	s_cbranch_execz .LBB4_120
; %bb.119:                              ;   in Loop: Header=BB4_49 Depth=1
	ds_load_b32 v3, v0 offset:720
	s_wait_dscnt 0x0
	v_and_b32_e32 v3, 15, v3
	s_delay_alu instid0(VALU_DEP_1)
	v_cmp_eq_u32_e32 vcc_lo, 0, v3
	s_or_not1_b32 s10, vcc_lo, exec_lo
.LBB4_120:                              ;   in Loop: Header=BB4_49 Depth=1
	s_or_b32 exec_lo, exec_lo, s11
	s_and_saveexec_b32 s11, s6
	s_cbranch_execz .LBB4_122
; %bb.121:                              ;   in Loop: Header=BB4_49 Depth=1
	ds_load_b32 v3, v0 offset:784
	s_wait_dscnt 0x0
	v_and_b32_e32 v3, 15, v3
	s_delay_alu instid0(VALU_DEP_1) | instskip(SKIP_3) | instid1(SALU_CYCLE_1)
	v_cmp_eq_u32_e32 vcc_lo, 0, v3
	s_and_b32 s24, s10, vcc_lo
	s_and_not1_b32 s10, s10, exec_lo
	s_and_b32 s24, s24, exec_lo
	s_or_b32 s10, s10, s24
.LBB4_122:                              ;   in Loop: Header=BB4_49 Depth=1
	s_or_b32 exec_lo, exec_lo, s11
	v_cmp_eq_u32_e32 vcc_lo, 0, v0
	s_xor_b32 s10, s10, -1
	v_mov_b32_e32 v10, v122
	v_cndmask_b32_e64 v3, 0, 1, s10
	s_mov_b32 s10, -1
	v_dual_cndmask_b32 v69, 0, v96 :: v_dual_mov_b32 v30, 0
	v_mov_b32_e32 v0, v121
	s_delay_alu instid0(VALU_DEP_3) | instskip(NEXT) | instid1(VALU_DEP_3)
	v_cmp_ne_u32_e32 vcc_lo, 0, v3
	v_mov_b32_e32 v97, v69
	s_cbranch_vccz .LBB4_125
; %bb.123:                              ;   in Loop: Header=BB4_49 Depth=1
	s_and_saveexec_b32 s11, s10
	s_cbranch_execnz .LBB4_1994
	s_branch .LBB4_2750
.LBB4_124:                              ;   in Loop: Header=BB4_49 Depth=1
	s_mov_b32 s10, 0
	s_and_saveexec_b32 s11, s2
	s_cbranch_execnz .LBB4_2751
	s_branch .LBB4_2769
.LBB4_125:                              ;   in Loop: Header=BB4_49 Depth=1
	v_lshrrev_b32_e32 v0, 10, v69
	s_mov_b32 s11, exec_lo
	s_delay_alu instid0(VALU_DEP_1) | instskip(NEXT) | instid1(VALU_DEP_1)
	v_sub_nc_u32_e32 v87, v0, v122
	v_cmpx_lt_i32_e32 0, v87
	s_cbranch_execz .LBB4_1409
; %bb.126:                              ;   in Loop: Header=BB4_49 Depth=1
	s_trap 2
	scratch_load_b64 v[12:13], off, s33 offset:196 ; 8-byte Folded Reload
	ds_load_b64 v[10:11], v0
	s_mov_b32 s24, 0
	s_wait_loadcnt 0x0
	v_add_nc_u64_e32 v[102:103], v[98:99], v[12:13]
	s_wait_dscnt 0x0
	v_add_nc_u64_e32 v[112:113], v[10:11], v[12:13]
	v_add_nc_u64_e32 v[114:115], v[100:101], v[12:13]
	s_branch .LBB4_129
.LBB4_127:                              ;   in Loop: Header=BB4_129 Depth=2
	s_or_b32 exec_lo, exec_lo, s25
.LBB4_128:                              ;   in Loop: Header=BB4_129 Depth=2
	s_delay_alu instid0(SALU_CYCLE_1)
	s_or_b32 exec_lo, exec_lo, s10
	v_lshl_or_b32 v11, v44, 8, v43
	v_dual_lshlrev_b32 v12, 16, v116 :: v_dual_lshlrev_b32 v13, 24, v30
	v_lshl_or_b32 v15, v40, 8, v97
	v_dual_lshlrev_b32 v16, 16, v41 :: v_dual_lshlrev_b32 v17, 24, v42
	;; [unrolled: 2-line block ×3, first 2 shown]
	v_or3_b32 v117, v11, v12, v13
	v_dual_lshlrev_b32 v3, 24, v3 :: v_dual_lshlrev_b32 v0, 16, v0
	v_lshl_or_b32 v11, v47, 8, v46
	v_or3_b32 v116, v15, v16, v17
	v_lshl_or_b32 v12, v57, 8, v56
	v_dual_lshlrev_b32 v13, 16, v19 :: v_dual_lshlrev_b32 v15, 24, v18
	v_lshl_or_b32 v16, v23, 8, v22
	v_dual_lshlrev_b32 v17, 16, v24 :: v_dual_lshlrev_b32 v18, 24, v25
	;; [unrolled: 2-line block ×3, first 2 shown]
	v_lshlrev_b32_e32 v22, 24, v10
	v_lshlrev_b32_e32 v14, 16, v14
	v_lshl_or_b32 v23, v61, 8, v60
	v_or3_b32 v118, v30, v64, v82
	v_or3_b32 v119, v11, v0, v3
	v_sub_nc_u32_e32 v87, v87, v54
	v_or3_b32 v11, v12, v13, v15
	v_or3_b32 v10, v16, v17, v18
	;; [unrolled: 1-line block ×4, first 2 shown]
	s_clause 0x1
	global_store_b128 v[114:115], v[116:119], off th:TH_STORE_NT
	global_store_b128 v[114:115], v[10:13], off offset:512 th:TH_STORE_NT
	v_add_nc_u64_e32 v[102:103], v[102:103], v[70:71]
	v_add_nc_u64_e32 v[112:113], v[112:113], v[70:71]
	v_cmp_gt_i32_e32 vcc_lo, 1, v87
	s_wait_xcnt 0x0
	v_add_nc_u64_e32 v[114:115], v[114:115], v[70:71]
	s_or_b32 s24, vcc_lo, s24
	s_delay_alu instid0(SALU_CYCLE_1)
	s_and_not1_b32 exec_lo, exec_lo, s24
	s_cbranch_execz .LBB4_1408
.LBB4_129:                              ;   Parent Loop BB4_49 Depth=1
                                        ; =>  This Inner Loop Header: Depth=2
	s_clause 0x1
	global_load_b128 v[22:25], v[102:103], off th:TH_LOAD_NT
	global_load_b128 v[14:17], v[102:103], off offset:512 th:TH_LOAD_NT
	s_clause 0x1
	global_load_b128 v[18:21], v[112:113], off th:TH_LOAD_NT
	global_load_b128 v[10:13], v[112:113], off offset:512 th:TH_LOAD_NT
	v_mov_b32_e32 v0, 0
	s_wait_loadcnt 0x3
	v_and_b32_e32 v3, 0xff, v22
	s_delay_alu instid0(VALU_DEP_1)
	v_cmp_ne_u16_e32 vcc_lo, 0, v3
	v_mov_b32_e32 v3, 0
	s_wait_xcnt 0x0
	s_and_saveexec_b32 s10, vcc_lo
	s_cbranch_execz .LBB4_139
; %bb.130:                              ;   in Loop: Header=BB4_129 Depth=2
	v_bfe_i32 v64, v22, 0, 8
	v_bfrev_b32_e32 v3, 1
	s_mov_b32 s25, exec_lo
	s_delay_alu instid0(VALU_DEP_2)
	v_cmpx_ne_u16_e32 0xff80, v64
	s_cbranch_execz .LBB4_138
; %bb.131:                              ;   in Loop: Header=BB4_129 Depth=2
	v_and_b32_e32 v3, 0x7c, v22
	v_and_b32_e32 v30, 3, v22
	s_delay_alu instid0(VALU_DEP_2) | instskip(SKIP_1) | instid1(SALU_CYCLE_1)
	v_cmp_ne_u32_e32 vcc_lo, 0x7c, v3
                                        ; implicit-def: $vgpr3
	s_and_saveexec_b32 s26, vcc_lo
	s_xor_b32 s26, exec_lo, s26
	s_cbranch_execz .LBB4_135
; %bb.132:                              ;   in Loop: Header=BB4_129 Depth=2
	v_bfe_u32 v3, v22, 2, 5
	s_mov_b32 s27, exec_lo
	s_delay_alu instid0(VALU_DEP_1)
	v_cmpx_eq_u32_e32 0, v3
; %bb.133:                              ;   in Loop: Header=BB4_129 Depth=2
	v_clz_i32_u32_e32 v3, v30
	s_delay_alu instid0(VALU_DEP_1) | instskip(NEXT) | instid1(VALU_DEP_1)
	v_min_u32_e32 v3, 32, v3
	v_subrev_nc_u32_e32 v30, 29, v3
	s_delay_alu instid0(VALU_DEP_1) | instskip(NEXT) | instid1(VALU_DEP_1)
	v_lshlrev_b64_e32 v[116:117], v30, v[22:23]
	v_dual_sub_nc_u32 v3, 30, v3 :: v_dual_bitop2_b32 v30, 3, v116 bitop3:0x40
; %bb.134:                              ;   in Loop: Header=BB4_129 Depth=2
	s_or_b32 exec_lo, exec_lo, s27
	v_lshlrev_b32_e32 v64, 24, v22
	s_delay_alu instid0(VALU_DEP_1) | instskip(NEXT) | instid1(VALU_DEP_1)
	v_and_b32_e32 v64, 0x80000000, v64
	v_lshl_add_u32 v3, v3, 23, v64
                                        ; implicit-def: $vgpr64
	s_delay_alu instid0(VALU_DEP_1) | instskip(NEXT) | instid1(VALU_DEP_1)
	v_lshl_or_b32 v3, v30, 21, v3
                                        ; implicit-def: $vgpr30
	v_add_nc_u32_e32 v3, 0x38000000, v3
.LBB4_135:                              ;   in Loop: Header=BB4_129 Depth=2
	s_and_not1_saveexec_b32 s26, s26
; %bb.136:                              ;   in Loop: Header=BB4_129 Depth=2
	v_cmp_lt_i16_e32 vcc_lo, -1, v64
	v_cndmask_b32_e32 v3, 0xff800000, v126, vcc_lo
	v_cmp_eq_u32_e32 vcc_lo, 0, v30
	s_delay_alu instid0(VALU_DEP_2)
	v_cndmask_b32_e32 v3, 0x7f800001, v3, vcc_lo
; %bb.137:                              ;   in Loop: Header=BB4_129 Depth=2
	s_or_b32 exec_lo, exec_lo, s26
.LBB4_138:                              ;   in Loop: Header=BB4_129 Depth=2
	s_delay_alu instid0(SALU_CYCLE_1)
	s_or_b32 exec_lo, exec_lo, s25
.LBB4_139:                              ;   in Loop: Header=BB4_129 Depth=2
	s_delay_alu instid0(SALU_CYCLE_1) | instskip(SKIP_3) | instid1(VALU_DEP_1)
	s_or_b32 exec_lo, exec_lo, s10
	s_wait_loadcnt 0x1
	v_and_b32_e32 v30, 0xff, v18
	s_mov_b32 s10, exec_lo
	v_cmpx_ne_u16_e32 0, v30
	s_cbranch_execz .LBB4_149
; %bb.140:                              ;   in Loop: Header=BB4_129 Depth=2
	v_bfe_i32 v64, v18, 0, 8
	v_bfrev_b32_e32 v0, 1
	s_mov_b32 s25, exec_lo
	s_delay_alu instid0(VALU_DEP_2)
	v_cmpx_ne_u16_e32 0xff80, v64
	s_cbranch_execz .LBB4_148
; %bb.141:                              ;   in Loop: Header=BB4_129 Depth=2
	v_and_b32_e32 v0, 0x7c, v18
	v_and_b32_e32 v30, 3, v18
	s_delay_alu instid0(VALU_DEP_2) | instskip(SKIP_1) | instid1(SALU_CYCLE_1)
	v_cmp_ne_u32_e32 vcc_lo, 0x7c, v0
                                        ; implicit-def: $vgpr0
	s_and_saveexec_b32 s26, vcc_lo
	s_xor_b32 s26, exec_lo, s26
	s_cbranch_execz .LBB4_145
; %bb.142:                              ;   in Loop: Header=BB4_129 Depth=2
	v_bfe_u32 v0, v18, 2, 5
	s_mov_b32 s27, exec_lo
	s_delay_alu instid0(VALU_DEP_1)
	v_cmpx_eq_u32_e32 0, v0
; %bb.143:                              ;   in Loop: Header=BB4_129 Depth=2
	v_clz_i32_u32_e32 v0, v30
	s_delay_alu instid0(VALU_DEP_1) | instskip(NEXT) | instid1(VALU_DEP_1)
	v_min_u32_e32 v0, 32, v0
	v_subrev_nc_u32_e32 v30, 29, v0
	v_sub_nc_u32_e32 v0, 30, v0
	s_delay_alu instid0(VALU_DEP_2) | instskip(NEXT) | instid1(VALU_DEP_1)
	v_lshlrev_b64_e32 v[116:117], v30, v[18:19]
	v_and_b32_e32 v30, 3, v116
; %bb.144:                              ;   in Loop: Header=BB4_129 Depth=2
	s_or_b32 exec_lo, exec_lo, s27
	v_lshlrev_b32_e32 v64, 24, v18
	s_delay_alu instid0(VALU_DEP_1) | instskip(NEXT) | instid1(VALU_DEP_1)
	v_and_b32_e32 v64, 0x80000000, v64
	v_lshl_add_u32 v0, v0, 23, v64
                                        ; implicit-def: $vgpr64
	s_delay_alu instid0(VALU_DEP_1) | instskip(NEXT) | instid1(VALU_DEP_1)
	v_lshl_or_b32 v0, v30, 21, v0
                                        ; implicit-def: $vgpr30
	v_add_nc_u32_e32 v0, 0x38000000, v0
.LBB4_145:                              ;   in Loop: Header=BB4_129 Depth=2
	s_and_not1_saveexec_b32 s26, s26
; %bb.146:                              ;   in Loop: Header=BB4_129 Depth=2
	v_cmp_lt_i16_e32 vcc_lo, -1, v64
	v_cndmask_b32_e32 v0, 0xff800000, v126, vcc_lo
	v_cmp_eq_u32_e32 vcc_lo, 0, v30
	s_delay_alu instid0(VALU_DEP_2)
	v_cndmask_b32_e32 v0, 0x7f800001, v0, vcc_lo
; %bb.147:                              ;   in Loop: Header=BB4_129 Depth=2
	s_or_b32 exec_lo, exec_lo, s26
.LBB4_148:                              ;   in Loop: Header=BB4_129 Depth=2
	s_delay_alu instid0(SALU_CYCLE_1)
	s_or_b32 exec_lo, exec_lo, s25
.LBB4_149:                              ;   in Loop: Header=BB4_129 Depth=2
	s_delay_alu instid0(SALU_CYCLE_1) | instskip(NEXT) | instid1(VALU_DEP_1)
	s_or_b32 exec_lo, exec_lo, s10
	v_dual_mul_f32 v3, v3, v0 :: v_dual_mov_b32 v117, v65
                                        ; implicit-def: $vgpr97
	s_mov_b32 s10, exec_lo
	s_delay_alu instid0(VALU_DEP_1) | instskip(SKIP_2) | instid1(VALU_DEP_3)
	v_and_b32_e32 v116, 0x7f800000, v3
	v_and_b32_e32 v64, 0x7fffff, v3
	v_lshrrev_b32_e32 v0, 24, v3
	v_cmpx_ne_u64_e32 0x7f800000, v[116:117]
	s_xor_b32 s25, exec_lo, s10
	s_cbranch_execz .LBB4_163
; %bb.150:                              ;   in Loop: Header=BB4_129 Depth=2
	v_and_b32_e32 v116, 0x7fffffff, v3
	v_mov_b32_e32 v117, v65
	v_and_b32_e32 v0, 0x80, v0
                                        ; implicit-def: $vgpr97
	s_mov_b32 s10, exec_lo
	s_delay_alu instid0(VALU_DEP_2)
	v_cmpx_gt_u64_e32 0x47600001, v[116:117]
	s_xor_b32 s26, exec_lo, s10
	s_cbranch_execz .LBB4_160
; %bb.151:                              ;   in Loop: Header=BB4_129 Depth=2
	v_mov_b32_e32 v97, 0
	s_mov_b32 s27, exec_lo
	v_cmpx_ne_u32_e32 0, v3
	s_cbranch_execz .LBB4_159
; %bb.152:                              ;   in Loop: Header=BB4_129 Depth=2
	v_bfe_u32 v3, v3, 23, 8
	v_or_b32_e32 v83, 0x800000, v64
	s_delay_alu instid0(VALU_DEP_2) | instskip(SKIP_1) | instid1(VALU_DEP_2)
	v_sub_nc_u32_e32 v30, 0x71, v3
	v_cmp_gt_u32_e32 vcc_lo, 0x72, v3
	v_cndmask_b32_e32 v30, 0, v30, vcc_lo
	v_cmp_eq_u32_e32 vcc_lo, 0, v3
	v_cndmask_b32_e32 v64, v83, v64, vcc_lo
	s_delay_alu instid0(VALU_DEP_3) | instskip(NEXT) | instid1(VALU_DEP_1)
	v_cndmask_b32_e64 v30, v30, 0x70, vcc_lo
	v_add_nc_u32_e32 v82, 21, v30
	s_delay_alu instid0(VALU_DEP_1) | instskip(SKIP_1) | instid1(VALU_DEP_1)
	v_lshlrev_b64_e64 v[116:117], v82, -1
	v_add_nc_u32_e32 v82, 20, v30
	v_lshlrev_b64_e64 v[118:119], v82, 1
	s_delay_alu instid0(VALU_DEP_3) | instskip(NEXT) | instid1(VALU_DEP_4)
	v_bfi_b32 v41, v117, 0, 0
	v_bfi_b32 v40, v116, 0, v64
	v_lshrrev_b64 v[116:117], v30, v[64:65]
	s_delay_alu instid0(VALU_DEP_2) | instskip(NEXT) | instid1(VALU_DEP_2)
	v_cmp_eq_u64_e64 s10, v[40:41], v[118:119]
	v_mov_b64_e32 v[118:119], v[116:117]
	s_and_saveexec_b32 s28, s10
; %bb.153:                              ;   in Loop: Header=BB4_129 Depth=2
	v_bfe_u32 v64, v116, 21, 1
	s_delay_alu instid0(VALU_DEP_1) | instskip(NEXT) | instid1(VALU_DEP_1)
	v_add_nc_u64_e32 v[118:119], v[116:117], v[64:65]
	v_add_nc_u64_e32 v[118:119], -1, v[118:119]
; %bb.154:                              ;   in Loop: Header=BB4_129 Depth=2
	s_or_b32 exec_lo, exec_lo, s28
	v_add_nc_u32_e32 v3, 0xffffff81, v3
	v_lshrrev_b32_e32 v64, 23, v116
	s_mov_b32 s10, exec_lo
	s_delay_alu instid0(VALU_DEP_2) | instskip(NEXT) | instid1(VALU_DEP_1)
	v_cndmask_b32_e64 v3, v3, 0xffffff82, vcc_lo
	v_add3_u32 v30, v30, v3, v64
	v_and_b32_e32 v3, 0x1fffff, v118
	s_delay_alu instid0(VALU_DEP_1) | instskip(NEXT) | instid1(VALU_DEP_1)
	v_dual_add_nc_u32 v97, 14, v30 :: v_dual_add_nc_u32 v64, v3, v116
                                        ; implicit-def: $vgpr116_vgpr117
                                        ; implicit-def: $vgpr3
	v_cmpx_ne_u32_e32 0, v97
	s_xor_b32 s10, exec_lo, s10
; %bb.155:                              ;   in Loop: Header=BB4_129 Depth=2
	s_delay_alu instid0(VALU_DEP_2) | instskip(SKIP_2) | instid1(VALU_DEP_2)
	v_cmp_lt_u64_e32 vcc_lo, 0xffffff, v[64:65]
	v_add_nc_u32_e32 v3, 15, v30
	v_cndmask_b32_e64 v30, 0, 1, vcc_lo
	v_cndmask_b32_e32 v3, v97, v3, vcc_lo
	s_delay_alu instid0(VALU_DEP_2)
	v_lshrrev_b64 v[116:117], v30, v[64:65]
; %bb.156:                              ;   in Loop: Header=BB4_129 Depth=2
	s_and_not1_saveexec_b32 s10, s10
; %bb.157:                              ;   in Loop: Header=BB4_129 Depth=2
	v_mov_b64_e32 v[116:117], v[64:65]
	v_bfe_u32 v3, v64, 23, 1
; %bb.158:                              ;   in Loop: Header=BB4_129 Depth=2
	s_or_b32 exec_lo, exec_lo, s10
	s_delay_alu instid0(VALU_DEP_2) | instskip(NEXT) | instid1(VALU_DEP_2)
	v_lshrrev_b64 v[116:117], 21, v[116:117]
	v_cmp_gt_i32_e32 vcc_lo, 32, v3
	v_min_i32_e32 v30, 31, v3
	v_cmp_eq_u32_e64 s10, 0, v3
	s_delay_alu instid0(VALU_DEP_2) | instskip(SKIP_1) | instid1(VALU_DEP_2)
	v_dual_cndmask_b32 v117, 0, v117 :: v_dual_lshlrev_b32 v30, 2, v30
	v_cndmask_b32_e32 v116, 3, v116, vcc_lo
	v_and_b32_e32 v30, 0xfc, v30
	s_delay_alu instid0(VALU_DEP_2) | instskip(NEXT) | instid1(VALU_DEP_2)
	v_cmp_eq_u64_e32 vcc_lo, 0, v[116:117]
	v_and_or_b32 v3, v116, 3, v30
	s_and_b32 s10, s10, vcc_lo
	s_delay_alu instid0(VALU_DEP_1) | instid1(SALU_CYCLE_1)
	v_cndmask_b32_e64 v3, v3, 0, s10
	s_delay_alu instid0(VALU_DEP_1)
	v_or_b32_e32 v97, v3, v0
.LBB4_159:                              ;   in Loop: Header=BB4_129 Depth=2
	s_or_b32 exec_lo, exec_lo, s27
                                        ; implicit-def: $vgpr0
.LBB4_160:                              ;   in Loop: Header=BB4_129 Depth=2
	s_and_not1_saveexec_b32 s10, s26
; %bb.161:                              ;   in Loop: Header=BB4_129 Depth=2
	v_or_b32_e32 v97, 0x7b, v0
; %bb.162:                              ;   in Loop: Header=BB4_129 Depth=2
	s_or_b32 exec_lo, exec_lo, s10
                                        ; implicit-def: $vgpr3
                                        ; implicit-def: $vgpr0
.LBB4_163:                              ;   in Loop: Header=BB4_129 Depth=2
	s_and_not1_saveexec_b32 s10, s25
	s_cbranch_execz .LBB4_169
; %bb.164:                              ;   in Loop: Header=BB4_129 Depth=2
	s_mov_b32 s25, exec_lo
                                        ; implicit-def: $vgpr97
	v_cmpx_ne_u64_e32 0, v[64:65]
	s_xor_b32 s25, exec_lo, s25
; %bb.165:                              ;   in Loop: Header=BB4_129 Depth=2
	v_or_b32_e32 v97, 0x7f, v0
                                        ; implicit-def: $vgpr3
; %bb.166:                              ;   in Loop: Header=BB4_129 Depth=2
	s_and_not1_saveexec_b32 s25, s25
; %bb.167:                              ;   in Loop: Header=BB4_129 Depth=2
	v_cmp_lt_i32_e32 vcc_lo, -1, v3
	v_cndmask_b32_e32 v97, 0xfc, v68, vcc_lo
; %bb.168:                              ;   in Loop: Header=BB4_129 Depth=2
	s_or_b32 exec_lo, exec_lo, s25
.LBB4_169:                              ;   in Loop: Header=BB4_129 Depth=2
	s_delay_alu instid0(SALU_CYCLE_1) | instskip(SKIP_3) | instid1(VALU_DEP_2)
	s_or_b32 exec_lo, exec_lo, s10
	v_lshrrev_b16 v64, 8, v22
	v_dual_mov_b32 v0, 0 :: v_dual_mov_b32 v3, 0
	s_mov_b32 s10, exec_lo
	v_cmpx_ne_u16_e32 0, v64
	s_cbranch_execz .LBB4_179
; %bb.170:                              ;   in Loop: Header=BB4_129 Depth=2
	v_bfrev_b32_e32 v3, 1
	s_mov_b32 s25, exec_lo
	v_cmpx_ne_u16_e32 0x80, v64
	s_cbranch_execz .LBB4_178
; %bb.171:                              ;   in Loop: Header=BB4_129 Depth=2
	v_and_b32_e32 v116, 0xffff, v64
	s_delay_alu instid0(VALU_DEP_1) | instskip(SKIP_1) | instid1(VALU_DEP_2)
	v_and_b32_e32 v3, 0x7c, v116
	v_and_b32_e32 v30, 3, v116
	v_cmp_ne_u32_e32 vcc_lo, 0x7c, v3
                                        ; implicit-def: $vgpr3
	s_and_saveexec_b32 s26, vcc_lo
	s_delay_alu instid0(SALU_CYCLE_1)
	s_xor_b32 s26, exec_lo, s26
	s_cbranch_execz .LBB4_175
; %bb.172:                              ;   in Loop: Header=BB4_129 Depth=2
	v_bfe_u32 v3, v116, 2, 5
	s_mov_b32 s27, exec_lo
	s_delay_alu instid0(VALU_DEP_1)
	v_cmpx_eq_u32_e32 0, v3
; %bb.173:                              ;   in Loop: Header=BB4_129 Depth=2
	v_clz_i32_u32_e32 v3, v30
	s_delay_alu instid0(VALU_DEP_1) | instskip(NEXT) | instid1(VALU_DEP_1)
	v_min_u32_e32 v3, 32, v3
	v_subrev_nc_u32_e32 v30, 29, v3
	s_delay_alu instid0(VALU_DEP_1) | instskip(NEXT) | instid1(VALU_DEP_1)
	v_lshlrev_b64_e32 v[116:117], v30, v[64:65]
	v_dual_sub_nc_u32 v3, 30, v3 :: v_dual_bitop2_b32 v30, 3, v116 bitop3:0x40
; %bb.174:                              ;   in Loop: Header=BB4_129 Depth=2
	s_or_b32 exec_lo, exec_lo, s27
	v_lshlrev_b32_e32 v64, 16, v22
	s_delay_alu instid0(VALU_DEP_1) | instskip(NEXT) | instid1(VALU_DEP_1)
	v_and_b32_e32 v64, 0x80000000, v64
	v_lshl_add_u32 v3, v3, 23, v64
	s_delay_alu instid0(VALU_DEP_1) | instskip(NEXT) | instid1(VALU_DEP_1)
	v_lshl_or_b32 v3, v30, 21, v3
                                        ; implicit-def: $vgpr30
	v_add_nc_u32_e32 v3, 0x38000000, v3
.LBB4_175:                              ;   in Loop: Header=BB4_129 Depth=2
	s_and_not1_saveexec_b32 s26, s26
; %bb.176:                              ;   in Loop: Header=BB4_129 Depth=2
	v_cmp_lt_i16_e32 vcc_lo, -1, v22
	v_cndmask_b32_e32 v3, 0xff800000, v126, vcc_lo
	v_cmp_eq_u32_e32 vcc_lo, 0, v30
	s_delay_alu instid0(VALU_DEP_2)
	v_cndmask_b32_e32 v3, 0x7f800001, v3, vcc_lo
; %bb.177:                              ;   in Loop: Header=BB4_129 Depth=2
	s_or_b32 exec_lo, exec_lo, s26
.LBB4_178:                              ;   in Loop: Header=BB4_129 Depth=2
	s_delay_alu instid0(SALU_CYCLE_1)
	s_or_b32 exec_lo, exec_lo, s25
.LBB4_179:                              ;   in Loop: Header=BB4_129 Depth=2
	s_delay_alu instid0(SALU_CYCLE_1) | instskip(SKIP_2) | instid1(VALU_DEP_1)
	s_or_b32 exec_lo, exec_lo, s10
	v_lshrrev_b16 v64, 8, v18
	s_mov_b32 s10, exec_lo
	v_cmpx_ne_u16_e32 0, v64
	s_cbranch_execz .LBB4_189
; %bb.180:                              ;   in Loop: Header=BB4_129 Depth=2
	v_bfrev_b32_e32 v0, 1
	s_mov_b32 s25, exec_lo
	v_cmpx_ne_u16_e32 0x80, v64
	s_cbranch_execz .LBB4_188
; %bb.181:                              ;   in Loop: Header=BB4_129 Depth=2
	v_and_b32_e32 v116, 0xffff, v64
	s_delay_alu instid0(VALU_DEP_1) | instskip(SKIP_1) | instid1(VALU_DEP_2)
	v_and_b32_e32 v0, 0x7c, v116
	v_and_b32_e32 v30, 3, v116
	v_cmp_ne_u32_e32 vcc_lo, 0x7c, v0
                                        ; implicit-def: $vgpr0
	s_and_saveexec_b32 s26, vcc_lo
	s_delay_alu instid0(SALU_CYCLE_1)
	s_xor_b32 s26, exec_lo, s26
	s_cbranch_execz .LBB4_185
; %bb.182:                              ;   in Loop: Header=BB4_129 Depth=2
	v_bfe_u32 v0, v116, 2, 5
	s_mov_b32 s27, exec_lo
	s_delay_alu instid0(VALU_DEP_1)
	v_cmpx_eq_u32_e32 0, v0
; %bb.183:                              ;   in Loop: Header=BB4_129 Depth=2
	v_clz_i32_u32_e32 v0, v30
	s_delay_alu instid0(VALU_DEP_1) | instskip(NEXT) | instid1(VALU_DEP_1)
	v_min_u32_e32 v0, 32, v0
	v_subrev_nc_u32_e32 v30, 29, v0
	v_sub_nc_u32_e32 v0, 30, v0
	s_delay_alu instid0(VALU_DEP_2) | instskip(NEXT) | instid1(VALU_DEP_1)
	v_lshlrev_b64_e32 v[116:117], v30, v[64:65]
	v_and_b32_e32 v30, 3, v116
; %bb.184:                              ;   in Loop: Header=BB4_129 Depth=2
	s_or_b32 exec_lo, exec_lo, s27
	v_lshlrev_b32_e32 v64, 16, v18
	s_delay_alu instid0(VALU_DEP_1) | instskip(NEXT) | instid1(VALU_DEP_1)
	v_and_b32_e32 v64, 0x80000000, v64
	v_lshl_add_u32 v0, v0, 23, v64
	s_delay_alu instid0(VALU_DEP_1) | instskip(NEXT) | instid1(VALU_DEP_1)
	v_lshl_or_b32 v0, v30, 21, v0
                                        ; implicit-def: $vgpr30
	v_add_nc_u32_e32 v0, 0x38000000, v0
.LBB4_185:                              ;   in Loop: Header=BB4_129 Depth=2
	s_and_not1_saveexec_b32 s26, s26
; %bb.186:                              ;   in Loop: Header=BB4_129 Depth=2
	v_cmp_lt_i16_e32 vcc_lo, -1, v18
	v_cndmask_b32_e32 v0, 0xff800000, v126, vcc_lo
	v_cmp_eq_u32_e32 vcc_lo, 0, v30
	s_delay_alu instid0(VALU_DEP_2)
	v_cndmask_b32_e32 v0, 0x7f800001, v0, vcc_lo
; %bb.187:                              ;   in Loop: Header=BB4_129 Depth=2
	s_or_b32 exec_lo, exec_lo, s26
.LBB4_188:                              ;   in Loop: Header=BB4_129 Depth=2
	s_delay_alu instid0(SALU_CYCLE_1)
	s_or_b32 exec_lo, exec_lo, s25
.LBB4_189:                              ;   in Loop: Header=BB4_129 Depth=2
	s_delay_alu instid0(SALU_CYCLE_1) | instskip(NEXT) | instid1(VALU_DEP_1)
	s_or_b32 exec_lo, exec_lo, s10
	v_dual_mul_f32 v3, v3, v0 :: v_dual_mov_b32 v117, v65
                                        ; implicit-def: $vgpr40
	s_mov_b32 s10, exec_lo
	s_delay_alu instid0(VALU_DEP_1) | instskip(SKIP_2) | instid1(VALU_DEP_3)
	v_and_b32_e32 v116, 0x7f800000, v3
	v_and_b32_e32 v64, 0x7fffff, v3
	v_lshrrev_b32_e32 v0, 24, v3
	v_cmpx_ne_u64_e32 0x7f800000, v[116:117]
	s_xor_b32 s25, exec_lo, s10
	s_cbranch_execz .LBB4_203
; %bb.190:                              ;   in Loop: Header=BB4_129 Depth=2
	v_and_b32_e32 v116, 0x7fffffff, v3
	v_mov_b32_e32 v117, v65
	v_and_b32_e32 v0, 0x80, v0
                                        ; implicit-def: $vgpr40
	s_mov_b32 s10, exec_lo
	s_delay_alu instid0(VALU_DEP_2)
	v_cmpx_gt_u64_e32 0x47600001, v[116:117]
	s_xor_b32 s26, exec_lo, s10
	s_cbranch_execz .LBB4_200
; %bb.191:                              ;   in Loop: Header=BB4_129 Depth=2
	v_mov_b32_e32 v40, 0
	s_mov_b32 s27, exec_lo
	v_cmpx_ne_u32_e32 0, v3
	s_cbranch_execz .LBB4_199
; %bb.192:                              ;   in Loop: Header=BB4_129 Depth=2
	v_bfe_u32 v3, v3, 23, 8
	v_or_b32_e32 v83, 0x800000, v64
	s_delay_alu instid0(VALU_DEP_2) | instskip(SKIP_1) | instid1(VALU_DEP_2)
	v_sub_nc_u32_e32 v30, 0x71, v3
	v_cmp_gt_u32_e32 vcc_lo, 0x72, v3
	v_cndmask_b32_e32 v30, 0, v30, vcc_lo
	v_cmp_eq_u32_e32 vcc_lo, 0, v3
	v_cndmask_b32_e32 v64, v83, v64, vcc_lo
	s_delay_alu instid0(VALU_DEP_3) | instskip(NEXT) | instid1(VALU_DEP_1)
	v_cndmask_b32_e64 v30, v30, 0x70, vcc_lo
	v_add_nc_u32_e32 v82, 21, v30
	s_delay_alu instid0(VALU_DEP_1) | instskip(SKIP_1) | instid1(VALU_DEP_1)
	v_lshlrev_b64_e64 v[116:117], v82, -1
	v_add_nc_u32_e32 v82, 20, v30
	v_lshlrev_b64_e64 v[118:119], v82, 1
	s_delay_alu instid0(VALU_DEP_3) | instskip(NEXT) | instid1(VALU_DEP_4)
	v_bfi_b32 v41, v117, 0, 0
	v_bfi_b32 v40, v116, 0, v64
	v_lshrrev_b64 v[116:117], v30, v[64:65]
	s_delay_alu instid0(VALU_DEP_2) | instskip(NEXT) | instid1(VALU_DEP_2)
	v_cmp_eq_u64_e64 s10, v[40:41], v[118:119]
	v_mov_b64_e32 v[118:119], v[116:117]
	s_and_saveexec_b32 s28, s10
; %bb.193:                              ;   in Loop: Header=BB4_129 Depth=2
	v_bfe_u32 v64, v116, 21, 1
	s_delay_alu instid0(VALU_DEP_1) | instskip(NEXT) | instid1(VALU_DEP_1)
	v_add_nc_u64_e32 v[118:119], v[116:117], v[64:65]
	v_add_nc_u64_e32 v[118:119], -1, v[118:119]
; %bb.194:                              ;   in Loop: Header=BB4_129 Depth=2
	s_or_b32 exec_lo, exec_lo, s28
	v_add_nc_u32_e32 v3, 0xffffff81, v3
	v_lshrrev_b32_e32 v64, 23, v116
	s_mov_b32 s10, exec_lo
	s_delay_alu instid0(VALU_DEP_2) | instskip(NEXT) | instid1(VALU_DEP_1)
	v_cndmask_b32_e64 v3, v3, 0xffffff82, vcc_lo
	v_add3_u32 v30, v30, v3, v64
	v_and_b32_e32 v3, 0x1fffff, v118
	s_delay_alu instid0(VALU_DEP_1) | instskip(NEXT) | instid1(VALU_DEP_1)
	v_dual_add_nc_u32 v118, 14, v30 :: v_dual_add_nc_u32 v64, v3, v116
                                        ; implicit-def: $vgpr116_vgpr117
                                        ; implicit-def: $vgpr3
	v_cmpx_ne_u32_e32 0, v118
	s_xor_b32 s10, exec_lo, s10
; %bb.195:                              ;   in Loop: Header=BB4_129 Depth=2
	s_delay_alu instid0(VALU_DEP_2) | instskip(SKIP_2) | instid1(VALU_DEP_2)
	v_cmp_lt_u64_e32 vcc_lo, 0xffffff, v[64:65]
	v_add_nc_u32_e32 v3, 15, v30
	v_cndmask_b32_e64 v30, 0, 1, vcc_lo
	v_cndmask_b32_e32 v3, v118, v3, vcc_lo
	s_delay_alu instid0(VALU_DEP_2)
	v_lshrrev_b64 v[116:117], v30, v[64:65]
; %bb.196:                              ;   in Loop: Header=BB4_129 Depth=2
	s_and_not1_saveexec_b32 s10, s10
; %bb.197:                              ;   in Loop: Header=BB4_129 Depth=2
	v_mov_b64_e32 v[116:117], v[64:65]
	v_bfe_u32 v3, v64, 23, 1
; %bb.198:                              ;   in Loop: Header=BB4_129 Depth=2
	s_or_b32 exec_lo, exec_lo, s10
	s_delay_alu instid0(VALU_DEP_2) | instskip(NEXT) | instid1(VALU_DEP_2)
	v_lshrrev_b64 v[116:117], 21, v[116:117]
	v_cmp_gt_i32_e32 vcc_lo, 32, v3
	v_min_i32_e32 v30, 31, v3
	v_cmp_eq_u32_e64 s10, 0, v3
	s_delay_alu instid0(VALU_DEP_2) | instskip(SKIP_1) | instid1(VALU_DEP_2)
	v_dual_cndmask_b32 v117, 0, v117 :: v_dual_lshlrev_b32 v30, 2, v30
	v_cndmask_b32_e32 v116, 3, v116, vcc_lo
	v_and_b32_e32 v30, 0xfc, v30
	s_delay_alu instid0(VALU_DEP_2) | instskip(NEXT) | instid1(VALU_DEP_2)
	v_cmp_eq_u64_e32 vcc_lo, 0, v[116:117]
	v_and_or_b32 v3, v116, 3, v30
	s_and_b32 s10, s10, vcc_lo
	s_delay_alu instid0(VALU_DEP_1) | instid1(SALU_CYCLE_1)
	v_cndmask_b32_e64 v3, v3, 0, s10
	s_delay_alu instid0(VALU_DEP_1)
	v_or_b32_e32 v40, v3, v0
.LBB4_199:                              ;   in Loop: Header=BB4_129 Depth=2
	s_or_b32 exec_lo, exec_lo, s27
                                        ; implicit-def: $vgpr0
.LBB4_200:                              ;   in Loop: Header=BB4_129 Depth=2
	s_and_not1_saveexec_b32 s10, s26
; %bb.201:                              ;   in Loop: Header=BB4_129 Depth=2
	v_or_b32_e32 v40, 0x7b, v0
; %bb.202:                              ;   in Loop: Header=BB4_129 Depth=2
	s_or_b32 exec_lo, exec_lo, s10
                                        ; implicit-def: $vgpr3
                                        ; implicit-def: $vgpr0
.LBB4_203:                              ;   in Loop: Header=BB4_129 Depth=2
	s_and_not1_saveexec_b32 s10, s25
	s_cbranch_execz .LBB4_209
; %bb.204:                              ;   in Loop: Header=BB4_129 Depth=2
	s_mov_b32 s25, exec_lo
                                        ; implicit-def: $vgpr40
	v_cmpx_ne_u64_e32 0, v[64:65]
	s_xor_b32 s25, exec_lo, s25
; %bb.205:                              ;   in Loop: Header=BB4_129 Depth=2
	v_or_b32_e32 v40, 0x7f, v0
                                        ; implicit-def: $vgpr3
; %bb.206:                              ;   in Loop: Header=BB4_129 Depth=2
	s_and_not1_saveexec_b32 s25, s25
; %bb.207:                              ;   in Loop: Header=BB4_129 Depth=2
	v_cmp_lt_i32_e32 vcc_lo, -1, v3
	v_cndmask_b32_e32 v40, 0xfc, v68, vcc_lo
; %bb.208:                              ;   in Loop: Header=BB4_129 Depth=2
	s_or_b32 exec_lo, exec_lo, s25
.LBB4_209:                              ;   in Loop: Header=BB4_129 Depth=2
	s_delay_alu instid0(SALU_CYCLE_1) | instskip(SKIP_3) | instid1(VALU_DEP_2)
	s_or_b32 exec_lo, exec_lo, s10
	v_dual_lshrrev_b32 v30, 16, v22 :: v_dual_mov_b32 v0, 0
	v_mov_b32_e32 v3, 0
	s_mov_b32 s10, exec_lo
	v_and_b32_e32 v64, 0xff, v30
	s_delay_alu instid0(VALU_DEP_1)
	v_cmpx_ne_u16_e32 0, v64
	s_cbranch_execz .LBB4_219
; %bb.210:                              ;   in Loop: Header=BB4_129 Depth=2
	v_bfrev_b32_e32 v3, 1
	s_mov_b32 s25, exec_lo
	v_cmpx_ne_u16_e32 0x80, v64
	s_cbranch_execz .LBB4_218
; %bb.211:                              ;   in Loop: Header=BB4_129 Depth=2
	v_and_b32_e32 v3, 0x7c0000, v22
	v_bfe_u32 v64, v22, 16, 2
	s_delay_alu instid0(VALU_DEP_2) | instskip(SKIP_1) | instid1(SALU_CYCLE_1)
	v_cmp_ne_u32_e32 vcc_lo, 0x7c0000, v3
                                        ; implicit-def: $vgpr3
	s_and_saveexec_b32 s26, vcc_lo
	s_xor_b32 s26, exec_lo, s26
	s_cbranch_execz .LBB4_215
; %bb.212:                              ;   in Loop: Header=BB4_129 Depth=2
	v_bfe_u32 v3, v22, 18, 5
	s_mov_b32 s27, exec_lo
	s_delay_alu instid0(VALU_DEP_1)
	v_cmpx_eq_u32_e32 0, v3
; %bb.213:                              ;   in Loop: Header=BB4_129 Depth=2
	v_clz_i32_u32_e32 v3, v64
	s_delay_alu instid0(VALU_DEP_1) | instskip(NEXT) | instid1(VALU_DEP_1)
	v_min_u32_e32 v3, 32, v3
	v_subrev_nc_u32_e32 v64, 29, v3
	s_delay_alu instid0(VALU_DEP_1) | instskip(NEXT) | instid1(VALU_DEP_1)
	v_lshlrev_b64_e32 v[116:117], v64, v[30:31]
	v_dual_sub_nc_u32 v3, 30, v3 :: v_dual_bitop2_b32 v64, 3, v116 bitop3:0x40
; %bb.214:                              ;   in Loop: Header=BB4_129 Depth=2
	s_or_b32 exec_lo, exec_lo, s27
	v_lshlrev_b32_e32 v30, 24, v30
	s_delay_alu instid0(VALU_DEP_1) | instskip(NEXT) | instid1(VALU_DEP_1)
	v_and_b32_e32 v30, 0x80000000, v30
	v_lshl_add_u32 v3, v3, 23, v30
                                        ; implicit-def: $vgpr30
	s_delay_alu instid0(VALU_DEP_1) | instskip(NEXT) | instid1(VALU_DEP_1)
	v_lshl_or_b32 v3, v64, 21, v3
                                        ; implicit-def: $vgpr64
	v_add_nc_u32_e32 v3, 0x38000000, v3
.LBB4_215:                              ;   in Loop: Header=BB4_129 Depth=2
	s_and_not1_saveexec_b32 s26, s26
; %bb.216:                              ;   in Loop: Header=BB4_129 Depth=2
	v_bfe_i32 v3, v30, 0, 8
	s_delay_alu instid0(VALU_DEP_1) | instskip(SKIP_2) | instid1(VALU_DEP_2)
	v_cmp_lt_i16_e32 vcc_lo, -1, v3
	v_cndmask_b32_e32 v3, 0xff800000, v126, vcc_lo
	v_cmp_eq_u32_e32 vcc_lo, 0, v64
	v_cndmask_b32_e32 v3, 0x7f800001, v3, vcc_lo
; %bb.217:                              ;   in Loop: Header=BB4_129 Depth=2
	s_or_b32 exec_lo, exec_lo, s26
.LBB4_218:                              ;   in Loop: Header=BB4_129 Depth=2
	s_delay_alu instid0(SALU_CYCLE_1)
	s_or_b32 exec_lo, exec_lo, s25
.LBB4_219:                              ;   in Loop: Header=BB4_129 Depth=2
	s_delay_alu instid0(SALU_CYCLE_1) | instskip(SKIP_2) | instid1(VALU_DEP_1)
	s_or_b32 exec_lo, exec_lo, s10
	v_lshrrev_b32_e32 v30, 16, v18
	s_mov_b32 s10, exec_lo
	v_and_b32_e32 v64, 0xff, v30
	s_delay_alu instid0(VALU_DEP_1)
	v_cmpx_ne_u16_e32 0, v64
	s_cbranch_execz .LBB4_229
; %bb.220:                              ;   in Loop: Header=BB4_129 Depth=2
	v_bfrev_b32_e32 v0, 1
	s_mov_b32 s25, exec_lo
	v_cmpx_ne_u16_e32 0x80, v64
	s_cbranch_execz .LBB4_228
; %bb.221:                              ;   in Loop: Header=BB4_129 Depth=2
	v_and_b32_e32 v0, 0x7c0000, v18
	v_bfe_u32 v64, v18, 16, 2
	s_delay_alu instid0(VALU_DEP_2) | instskip(SKIP_1) | instid1(SALU_CYCLE_1)
	v_cmp_ne_u32_e32 vcc_lo, 0x7c0000, v0
                                        ; implicit-def: $vgpr0
	s_and_saveexec_b32 s26, vcc_lo
	s_xor_b32 s26, exec_lo, s26
	s_cbranch_execz .LBB4_225
; %bb.222:                              ;   in Loop: Header=BB4_129 Depth=2
	v_bfe_u32 v0, v18, 18, 5
	s_mov_b32 s27, exec_lo
	s_delay_alu instid0(VALU_DEP_1)
	v_cmpx_eq_u32_e32 0, v0
; %bb.223:                              ;   in Loop: Header=BB4_129 Depth=2
	v_clz_i32_u32_e32 v0, v64
	s_delay_alu instid0(VALU_DEP_1) | instskip(NEXT) | instid1(VALU_DEP_1)
	v_min_u32_e32 v0, 32, v0
	v_subrev_nc_u32_e32 v64, 29, v0
	v_sub_nc_u32_e32 v0, 30, v0
	s_delay_alu instid0(VALU_DEP_2) | instskip(NEXT) | instid1(VALU_DEP_1)
	v_lshlrev_b64_e32 v[116:117], v64, v[30:31]
	v_and_b32_e32 v64, 3, v116
; %bb.224:                              ;   in Loop: Header=BB4_129 Depth=2
	s_or_b32 exec_lo, exec_lo, s27
	v_lshlrev_b32_e32 v30, 24, v30
	s_delay_alu instid0(VALU_DEP_1) | instskip(NEXT) | instid1(VALU_DEP_1)
	v_and_b32_e32 v30, 0x80000000, v30
	v_lshl_add_u32 v0, v0, 23, v30
                                        ; implicit-def: $vgpr30
	s_delay_alu instid0(VALU_DEP_1) | instskip(NEXT) | instid1(VALU_DEP_1)
	v_lshl_or_b32 v0, v64, 21, v0
                                        ; implicit-def: $vgpr64
	v_add_nc_u32_e32 v0, 0x38000000, v0
.LBB4_225:                              ;   in Loop: Header=BB4_129 Depth=2
	s_and_not1_saveexec_b32 s26, s26
; %bb.226:                              ;   in Loop: Header=BB4_129 Depth=2
	v_bfe_i32 v0, v30, 0, 8
	s_delay_alu instid0(VALU_DEP_1) | instskip(SKIP_2) | instid1(VALU_DEP_2)
	v_cmp_lt_i16_e32 vcc_lo, -1, v0
	v_cndmask_b32_e32 v0, 0xff800000, v126, vcc_lo
	v_cmp_eq_u32_e32 vcc_lo, 0, v64
	v_cndmask_b32_e32 v0, 0x7f800001, v0, vcc_lo
; %bb.227:                              ;   in Loop: Header=BB4_129 Depth=2
	s_or_b32 exec_lo, exec_lo, s26
.LBB4_228:                              ;   in Loop: Header=BB4_129 Depth=2
	s_delay_alu instid0(SALU_CYCLE_1)
	s_or_b32 exec_lo, exec_lo, s25
.LBB4_229:                              ;   in Loop: Header=BB4_129 Depth=2
	s_delay_alu instid0(SALU_CYCLE_1) | instskip(NEXT) | instid1(VALU_DEP_1)
	s_or_b32 exec_lo, exec_lo, s10
	v_dual_mul_f32 v3, v3, v0 :: v_dual_mov_b32 v117, v65
                                        ; implicit-def: $vgpr41
	s_mov_b32 s10, exec_lo
	s_delay_alu instid0(VALU_DEP_1) | instskip(SKIP_2) | instid1(VALU_DEP_3)
	v_and_b32_e32 v116, 0x7f800000, v3
	v_and_b32_e32 v64, 0x7fffff, v3
	v_lshrrev_b32_e32 v0, 24, v3
	v_cmpx_ne_u64_e32 0x7f800000, v[116:117]
	s_xor_b32 s25, exec_lo, s10
	s_cbranch_execz .LBB4_243
; %bb.230:                              ;   in Loop: Header=BB4_129 Depth=2
	v_and_b32_e32 v116, 0x7fffffff, v3
	v_mov_b32_e32 v117, v65
	v_and_b32_e32 v0, 0x80, v0
                                        ; implicit-def: $vgpr41
	s_mov_b32 s10, exec_lo
	s_delay_alu instid0(VALU_DEP_2)
	v_cmpx_gt_u64_e32 0x47600001, v[116:117]
	s_xor_b32 s26, exec_lo, s10
	s_cbranch_execz .LBB4_240
; %bb.231:                              ;   in Loop: Header=BB4_129 Depth=2
	v_mov_b32_e32 v41, 0
	s_mov_b32 s27, exec_lo
	v_cmpx_ne_u32_e32 0, v3
	s_cbranch_execz .LBB4_239
; %bb.232:                              ;   in Loop: Header=BB4_129 Depth=2
	v_bfe_u32 v3, v3, 23, 8
	v_or_b32_e32 v83, 0x800000, v64
	s_delay_alu instid0(VALU_DEP_2) | instskip(SKIP_1) | instid1(VALU_DEP_2)
	v_sub_nc_u32_e32 v30, 0x71, v3
	v_cmp_gt_u32_e32 vcc_lo, 0x72, v3
	v_cndmask_b32_e32 v30, 0, v30, vcc_lo
	v_cmp_eq_u32_e32 vcc_lo, 0, v3
	v_cndmask_b32_e32 v64, v83, v64, vcc_lo
	s_delay_alu instid0(VALU_DEP_3) | instskip(NEXT) | instid1(VALU_DEP_1)
	v_cndmask_b32_e64 v30, v30, 0x70, vcc_lo
	v_add_nc_u32_e32 v82, 21, v30
	s_delay_alu instid0(VALU_DEP_1) | instskip(SKIP_1) | instid1(VALU_DEP_1)
	v_lshlrev_b64_e64 v[116:117], v82, -1
	v_add_nc_u32_e32 v82, 20, v30
	v_lshlrev_b64_e64 v[118:119], v82, 1
	s_delay_alu instid0(VALU_DEP_3) | instskip(NEXT) | instid1(VALU_DEP_4)
	v_bfi_b32 v43, v117, 0, 0
	v_bfi_b32 v42, v116, 0, v64
	v_lshrrev_b64 v[116:117], v30, v[64:65]
	s_delay_alu instid0(VALU_DEP_2) | instskip(NEXT) | instid1(VALU_DEP_2)
	v_cmp_eq_u64_e64 s10, v[42:43], v[118:119]
	v_mov_b64_e32 v[118:119], v[116:117]
	s_and_saveexec_b32 s28, s10
; %bb.233:                              ;   in Loop: Header=BB4_129 Depth=2
	v_bfe_u32 v64, v116, 21, 1
	s_delay_alu instid0(VALU_DEP_1) | instskip(NEXT) | instid1(VALU_DEP_1)
	v_add_nc_u64_e32 v[118:119], v[116:117], v[64:65]
	v_add_nc_u64_e32 v[118:119], -1, v[118:119]
; %bb.234:                              ;   in Loop: Header=BB4_129 Depth=2
	s_or_b32 exec_lo, exec_lo, s28
	v_add_nc_u32_e32 v3, 0xffffff81, v3
	v_lshrrev_b32_e32 v64, 23, v116
	s_mov_b32 s10, exec_lo
	s_delay_alu instid0(VALU_DEP_2) | instskip(NEXT) | instid1(VALU_DEP_1)
	v_cndmask_b32_e64 v3, v3, 0xffffff82, vcc_lo
	v_add3_u32 v30, v30, v3, v64
	v_and_b32_e32 v3, 0x1fffff, v118
	s_delay_alu instid0(VALU_DEP_1) | instskip(NEXT) | instid1(VALU_DEP_1)
	v_dual_add_nc_u32 v118, 14, v30 :: v_dual_add_nc_u32 v64, v3, v116
                                        ; implicit-def: $vgpr116_vgpr117
                                        ; implicit-def: $vgpr3
	v_cmpx_ne_u32_e32 0, v118
	s_xor_b32 s10, exec_lo, s10
; %bb.235:                              ;   in Loop: Header=BB4_129 Depth=2
	s_delay_alu instid0(VALU_DEP_2) | instskip(SKIP_2) | instid1(VALU_DEP_2)
	v_cmp_lt_u64_e32 vcc_lo, 0xffffff, v[64:65]
	v_add_nc_u32_e32 v3, 15, v30
	v_cndmask_b32_e64 v30, 0, 1, vcc_lo
	v_cndmask_b32_e32 v3, v118, v3, vcc_lo
	s_delay_alu instid0(VALU_DEP_2)
	v_lshrrev_b64 v[116:117], v30, v[64:65]
; %bb.236:                              ;   in Loop: Header=BB4_129 Depth=2
	s_and_not1_saveexec_b32 s10, s10
; %bb.237:                              ;   in Loop: Header=BB4_129 Depth=2
	v_mov_b64_e32 v[116:117], v[64:65]
	v_bfe_u32 v3, v64, 23, 1
; %bb.238:                              ;   in Loop: Header=BB4_129 Depth=2
	s_or_b32 exec_lo, exec_lo, s10
	s_delay_alu instid0(VALU_DEP_2) | instskip(NEXT) | instid1(VALU_DEP_2)
	v_lshrrev_b64 v[116:117], 21, v[116:117]
	v_cmp_gt_i32_e32 vcc_lo, 32, v3
	v_min_i32_e32 v30, 31, v3
	v_cmp_eq_u32_e64 s10, 0, v3
	s_delay_alu instid0(VALU_DEP_2) | instskip(SKIP_1) | instid1(VALU_DEP_2)
	v_dual_cndmask_b32 v117, 0, v117 :: v_dual_lshlrev_b32 v30, 2, v30
	v_cndmask_b32_e32 v116, 3, v116, vcc_lo
	v_and_b32_e32 v30, 0xfc, v30
	s_delay_alu instid0(VALU_DEP_2) | instskip(NEXT) | instid1(VALU_DEP_2)
	v_cmp_eq_u64_e32 vcc_lo, 0, v[116:117]
	v_and_or_b32 v3, v116, 3, v30
	s_and_b32 s10, s10, vcc_lo
	s_delay_alu instid0(VALU_DEP_1) | instid1(SALU_CYCLE_1)
	v_cndmask_b32_e64 v3, v3, 0, s10
	s_delay_alu instid0(VALU_DEP_1)
	v_or_b32_e32 v41, v3, v0
.LBB4_239:                              ;   in Loop: Header=BB4_129 Depth=2
	s_or_b32 exec_lo, exec_lo, s27
                                        ; implicit-def: $vgpr0
.LBB4_240:                              ;   in Loop: Header=BB4_129 Depth=2
	s_and_not1_saveexec_b32 s10, s26
; %bb.241:                              ;   in Loop: Header=BB4_129 Depth=2
	v_or_b32_e32 v41, 0x7b, v0
; %bb.242:                              ;   in Loop: Header=BB4_129 Depth=2
	s_or_b32 exec_lo, exec_lo, s10
                                        ; implicit-def: $vgpr3
                                        ; implicit-def: $vgpr0
.LBB4_243:                              ;   in Loop: Header=BB4_129 Depth=2
	s_and_not1_saveexec_b32 s10, s25
	s_cbranch_execz .LBB4_249
; %bb.244:                              ;   in Loop: Header=BB4_129 Depth=2
	s_mov_b32 s25, exec_lo
                                        ; implicit-def: $vgpr41
	v_cmpx_ne_u64_e32 0, v[64:65]
	s_xor_b32 s25, exec_lo, s25
; %bb.245:                              ;   in Loop: Header=BB4_129 Depth=2
	v_or_b32_e32 v41, 0x7f, v0
                                        ; implicit-def: $vgpr3
; %bb.246:                              ;   in Loop: Header=BB4_129 Depth=2
	s_and_not1_saveexec_b32 s25, s25
; %bb.247:                              ;   in Loop: Header=BB4_129 Depth=2
	v_cmp_lt_i32_e32 vcc_lo, -1, v3
	v_cndmask_b32_e32 v41, 0xfc, v68, vcc_lo
; %bb.248:                              ;   in Loop: Header=BB4_129 Depth=2
	s_or_b32 exec_lo, exec_lo, s25
.LBB4_249:                              ;   in Loop: Header=BB4_129 Depth=2
	s_delay_alu instid0(SALU_CYCLE_1)
	s_or_b32 exec_lo, exec_lo, s10
	v_dual_mov_b32 v0, 0 :: v_dual_mov_b32 v3, 0
	s_mov_b32 s10, exec_lo
	v_cmpx_lt_u32_e32 0xffffff, v22
	s_cbranch_execz .LBB4_259
; %bb.250:                              ;   in Loop: Header=BB4_129 Depth=2
	v_lshrrev_b32_e32 v30, 24, v22
	v_bfrev_b32_e32 v3, 1
	s_mov_b32 s25, exec_lo
	s_delay_alu instid0(VALU_DEP_2)
	v_cmpx_ne_u32_e32 0x80, v30
	s_cbranch_execz .LBB4_258
; %bb.251:                              ;   in Loop: Header=BB4_129 Depth=2
	v_and_b32_e32 v3, 0x7c000000, v22
	v_bfe_u32 v64, v22, 24, 2
	s_delay_alu instid0(VALU_DEP_2) | instskip(SKIP_1) | instid1(SALU_CYCLE_1)
	v_cmp_ne_u32_e32 vcc_lo, 0x7c000000, v3
                                        ; implicit-def: $vgpr3
	s_and_saveexec_b32 s26, vcc_lo
	s_xor_b32 s26, exec_lo, s26
	s_cbranch_execz .LBB4_255
; %bb.252:                              ;   in Loop: Header=BB4_129 Depth=2
	v_bfe_u32 v3, v22, 26, 5
	s_mov_b32 s27, exec_lo
	s_delay_alu instid0(VALU_DEP_1)
	v_cmpx_eq_u32_e32 0, v3
; %bb.253:                              ;   in Loop: Header=BB4_129 Depth=2
	v_clz_i32_u32_e32 v3, v64
	s_delay_alu instid0(VALU_DEP_1) | instskip(NEXT) | instid1(VALU_DEP_1)
	v_min_u32_e32 v3, 32, v3
	v_subrev_nc_u32_e32 v64, 29, v3
	s_delay_alu instid0(VALU_DEP_1) | instskip(NEXT) | instid1(VALU_DEP_1)
	v_lshlrev_b64_e32 v[116:117], v64, v[30:31]
	v_dual_sub_nc_u32 v3, 30, v3 :: v_dual_bitop2_b32 v64, 3, v116 bitop3:0x40
; %bb.254:                              ;   in Loop: Header=BB4_129 Depth=2
	s_or_b32 exec_lo, exec_lo, s27
	v_and_b32_e32 v30, 0x80000000, v22
	s_delay_alu instid0(VALU_DEP_1) | instskip(NEXT) | instid1(VALU_DEP_1)
	v_lshl_add_u32 v3, v3, 23, v30
	v_lshl_or_b32 v3, v64, 21, v3
                                        ; implicit-def: $vgpr64
	s_delay_alu instid0(VALU_DEP_1)
	v_add_nc_u32_e32 v3, 0x38000000, v3
.LBB4_255:                              ;   in Loop: Header=BB4_129 Depth=2
	s_and_not1_saveexec_b32 s26, s26
; %bb.256:                              ;   in Loop: Header=BB4_129 Depth=2
	v_cmp_lt_i32_e32 vcc_lo, -1, v22
	v_cndmask_b32_e32 v3, 0xff800000, v126, vcc_lo
	v_cmp_eq_u32_e32 vcc_lo, 0, v64
	s_delay_alu instid0(VALU_DEP_2)
	v_cndmask_b32_e32 v3, 0x7f800001, v3, vcc_lo
; %bb.257:                              ;   in Loop: Header=BB4_129 Depth=2
	s_or_b32 exec_lo, exec_lo, s26
.LBB4_258:                              ;   in Loop: Header=BB4_129 Depth=2
	s_delay_alu instid0(SALU_CYCLE_1)
	s_or_b32 exec_lo, exec_lo, s25
.LBB4_259:                              ;   in Loop: Header=BB4_129 Depth=2
	s_delay_alu instid0(SALU_CYCLE_1) | instskip(NEXT) | instid1(SALU_CYCLE_1)
	s_or_b32 exec_lo, exec_lo, s10
	s_mov_b32 s10, exec_lo
	v_cmpx_lt_u32_e32 0xffffff, v18
	s_cbranch_execz .LBB4_269
; %bb.260:                              ;   in Loop: Header=BB4_129 Depth=2
	v_lshrrev_b32_e32 v30, 24, v18
	v_bfrev_b32_e32 v0, 1
	s_mov_b32 s25, exec_lo
	s_delay_alu instid0(VALU_DEP_2)
	v_cmpx_ne_u32_e32 0x80, v30
	s_cbranch_execz .LBB4_268
; %bb.261:                              ;   in Loop: Header=BB4_129 Depth=2
	v_and_b32_e32 v0, 0x7c000000, v18
	v_bfe_u32 v64, v18, 24, 2
	s_delay_alu instid0(VALU_DEP_2) | instskip(SKIP_1) | instid1(SALU_CYCLE_1)
	v_cmp_ne_u32_e32 vcc_lo, 0x7c000000, v0
                                        ; implicit-def: $vgpr0
	s_and_saveexec_b32 s26, vcc_lo
	s_xor_b32 s26, exec_lo, s26
	s_cbranch_execz .LBB4_265
; %bb.262:                              ;   in Loop: Header=BB4_129 Depth=2
	v_bfe_u32 v0, v18, 26, 5
	s_mov_b32 s27, exec_lo
	s_delay_alu instid0(VALU_DEP_1)
	v_cmpx_eq_u32_e32 0, v0
; %bb.263:                              ;   in Loop: Header=BB4_129 Depth=2
	v_clz_i32_u32_e32 v0, v64
	s_delay_alu instid0(VALU_DEP_1) | instskip(NEXT) | instid1(VALU_DEP_1)
	v_min_u32_e32 v0, 32, v0
	v_subrev_nc_u32_e32 v64, 29, v0
	v_sub_nc_u32_e32 v0, 30, v0
	s_delay_alu instid0(VALU_DEP_2) | instskip(NEXT) | instid1(VALU_DEP_1)
	v_lshlrev_b64_e32 v[116:117], v64, v[30:31]
	v_and_b32_e32 v64, 3, v116
; %bb.264:                              ;   in Loop: Header=BB4_129 Depth=2
	s_or_b32 exec_lo, exec_lo, s27
	v_and_b32_e32 v30, 0x80000000, v18
	s_delay_alu instid0(VALU_DEP_1) | instskip(NEXT) | instid1(VALU_DEP_1)
	v_lshl_add_u32 v0, v0, 23, v30
	v_lshl_or_b32 v0, v64, 21, v0
                                        ; implicit-def: $vgpr64
	s_delay_alu instid0(VALU_DEP_1)
	v_add_nc_u32_e32 v0, 0x38000000, v0
.LBB4_265:                              ;   in Loop: Header=BB4_129 Depth=2
	s_and_not1_saveexec_b32 s26, s26
; %bb.266:                              ;   in Loop: Header=BB4_129 Depth=2
	v_cmp_lt_i32_e32 vcc_lo, -1, v18
	v_cndmask_b32_e32 v0, 0xff800000, v126, vcc_lo
	v_cmp_eq_u32_e32 vcc_lo, 0, v64
	s_delay_alu instid0(VALU_DEP_2)
	v_cndmask_b32_e32 v0, 0x7f800001, v0, vcc_lo
; %bb.267:                              ;   in Loop: Header=BB4_129 Depth=2
	s_or_b32 exec_lo, exec_lo, s26
.LBB4_268:                              ;   in Loop: Header=BB4_129 Depth=2
	s_delay_alu instid0(SALU_CYCLE_1)
	s_or_b32 exec_lo, exec_lo, s25
.LBB4_269:                              ;   in Loop: Header=BB4_129 Depth=2
	s_delay_alu instid0(SALU_CYCLE_1) | instskip(NEXT) | instid1(VALU_DEP_1)
	s_or_b32 exec_lo, exec_lo, s10
	v_dual_mul_f32 v3, v3, v0 :: v_dual_mov_b32 v117, v65
                                        ; implicit-def: $vgpr42
	s_mov_b32 s10, exec_lo
	s_delay_alu instid0(VALU_DEP_1) | instskip(SKIP_2) | instid1(VALU_DEP_3)
	v_and_b32_e32 v116, 0x7f800000, v3
	v_and_b32_e32 v64, 0x7fffff, v3
	v_lshrrev_b32_e32 v0, 24, v3
	v_cmpx_ne_u64_e32 0x7f800000, v[116:117]
	s_xor_b32 s25, exec_lo, s10
	s_cbranch_execz .LBB4_283
; %bb.270:                              ;   in Loop: Header=BB4_129 Depth=2
	v_and_b32_e32 v116, 0x7fffffff, v3
	v_mov_b32_e32 v117, v65
	v_and_b32_e32 v0, 0x80, v0
                                        ; implicit-def: $vgpr42
	s_mov_b32 s10, exec_lo
	s_delay_alu instid0(VALU_DEP_2)
	v_cmpx_gt_u64_e32 0x47600001, v[116:117]
	s_xor_b32 s26, exec_lo, s10
	s_cbranch_execz .LBB4_280
; %bb.271:                              ;   in Loop: Header=BB4_129 Depth=2
	v_mov_b32_e32 v42, 0
	s_mov_b32 s27, exec_lo
	v_cmpx_ne_u32_e32 0, v3
	s_cbranch_execz .LBB4_279
; %bb.272:                              ;   in Loop: Header=BB4_129 Depth=2
	v_bfe_u32 v3, v3, 23, 8
	v_or_b32_e32 v83, 0x800000, v64
	s_delay_alu instid0(VALU_DEP_2) | instskip(SKIP_1) | instid1(VALU_DEP_2)
	v_sub_nc_u32_e32 v30, 0x71, v3
	v_cmp_gt_u32_e32 vcc_lo, 0x72, v3
	v_cndmask_b32_e32 v30, 0, v30, vcc_lo
	v_cmp_eq_u32_e32 vcc_lo, 0, v3
	v_cndmask_b32_e32 v64, v83, v64, vcc_lo
	s_delay_alu instid0(VALU_DEP_3) | instskip(NEXT) | instid1(VALU_DEP_1)
	v_cndmask_b32_e64 v30, v30, 0x70, vcc_lo
	v_add_nc_u32_e32 v82, 21, v30
	s_delay_alu instid0(VALU_DEP_1) | instskip(SKIP_1) | instid1(VALU_DEP_1)
	v_lshlrev_b64_e64 v[116:117], v82, -1
	v_add_nc_u32_e32 v82, 20, v30
	v_lshlrev_b64_e64 v[118:119], v82, 1
	s_delay_alu instid0(VALU_DEP_3) | instskip(NEXT) | instid1(VALU_DEP_4)
	v_bfi_b32 v43, v117, 0, 0
	v_bfi_b32 v42, v116, 0, v64
	v_lshrrev_b64 v[116:117], v30, v[64:65]
	s_delay_alu instid0(VALU_DEP_2) | instskip(NEXT) | instid1(VALU_DEP_2)
	v_cmp_eq_u64_e64 s10, v[42:43], v[118:119]
	v_mov_b64_e32 v[118:119], v[116:117]
	s_and_saveexec_b32 s28, s10
; %bb.273:                              ;   in Loop: Header=BB4_129 Depth=2
	v_bfe_u32 v64, v116, 21, 1
	s_delay_alu instid0(VALU_DEP_1) | instskip(NEXT) | instid1(VALU_DEP_1)
	v_add_nc_u64_e32 v[118:119], v[116:117], v[64:65]
	v_add_nc_u64_e32 v[118:119], -1, v[118:119]
; %bb.274:                              ;   in Loop: Header=BB4_129 Depth=2
	s_or_b32 exec_lo, exec_lo, s28
	v_add_nc_u32_e32 v3, 0xffffff81, v3
	v_lshrrev_b32_e32 v64, 23, v116
	s_mov_b32 s10, exec_lo
	s_delay_alu instid0(VALU_DEP_2) | instskip(NEXT) | instid1(VALU_DEP_1)
	v_cndmask_b32_e64 v3, v3, 0xffffff82, vcc_lo
	v_add3_u32 v30, v30, v3, v64
	v_and_b32_e32 v3, 0x1fffff, v118
	s_delay_alu instid0(VALU_DEP_1) | instskip(NEXT) | instid1(VALU_DEP_1)
	v_dual_add_nc_u32 v118, 14, v30 :: v_dual_add_nc_u32 v64, v3, v116
                                        ; implicit-def: $vgpr116_vgpr117
                                        ; implicit-def: $vgpr3
	v_cmpx_ne_u32_e32 0, v118
	s_xor_b32 s10, exec_lo, s10
; %bb.275:                              ;   in Loop: Header=BB4_129 Depth=2
	s_delay_alu instid0(VALU_DEP_2) | instskip(SKIP_2) | instid1(VALU_DEP_2)
	v_cmp_lt_u64_e32 vcc_lo, 0xffffff, v[64:65]
	v_add_nc_u32_e32 v3, 15, v30
	v_cndmask_b32_e64 v30, 0, 1, vcc_lo
	v_cndmask_b32_e32 v3, v118, v3, vcc_lo
	s_delay_alu instid0(VALU_DEP_2)
	v_lshrrev_b64 v[116:117], v30, v[64:65]
; %bb.276:                              ;   in Loop: Header=BB4_129 Depth=2
	s_and_not1_saveexec_b32 s10, s10
; %bb.277:                              ;   in Loop: Header=BB4_129 Depth=2
	v_mov_b64_e32 v[116:117], v[64:65]
	v_bfe_u32 v3, v64, 23, 1
; %bb.278:                              ;   in Loop: Header=BB4_129 Depth=2
	s_or_b32 exec_lo, exec_lo, s10
	s_delay_alu instid0(VALU_DEP_2) | instskip(NEXT) | instid1(VALU_DEP_2)
	v_lshrrev_b64 v[116:117], 21, v[116:117]
	v_cmp_gt_i32_e32 vcc_lo, 32, v3
	v_min_i32_e32 v30, 31, v3
	v_cmp_eq_u32_e64 s10, 0, v3
	s_delay_alu instid0(VALU_DEP_2) | instskip(SKIP_1) | instid1(VALU_DEP_2)
	v_dual_cndmask_b32 v117, 0, v117 :: v_dual_lshlrev_b32 v30, 2, v30
	v_cndmask_b32_e32 v116, 3, v116, vcc_lo
	v_and_b32_e32 v30, 0xfc, v30
	s_delay_alu instid0(VALU_DEP_2) | instskip(NEXT) | instid1(VALU_DEP_2)
	v_cmp_eq_u64_e32 vcc_lo, 0, v[116:117]
	v_and_or_b32 v3, v116, 3, v30
	s_and_b32 s10, s10, vcc_lo
	s_delay_alu instid0(VALU_DEP_1) | instid1(SALU_CYCLE_1)
	v_cndmask_b32_e64 v3, v3, 0, s10
	s_delay_alu instid0(VALU_DEP_1)
	v_or_b32_e32 v42, v3, v0
.LBB4_279:                              ;   in Loop: Header=BB4_129 Depth=2
	s_or_b32 exec_lo, exec_lo, s27
                                        ; implicit-def: $vgpr0
.LBB4_280:                              ;   in Loop: Header=BB4_129 Depth=2
	s_and_not1_saveexec_b32 s10, s26
; %bb.281:                              ;   in Loop: Header=BB4_129 Depth=2
	v_or_b32_e32 v42, 0x7b, v0
; %bb.282:                              ;   in Loop: Header=BB4_129 Depth=2
	s_or_b32 exec_lo, exec_lo, s10
                                        ; implicit-def: $vgpr3
                                        ; implicit-def: $vgpr0
.LBB4_283:                              ;   in Loop: Header=BB4_129 Depth=2
	s_and_not1_saveexec_b32 s10, s25
	s_cbranch_execz .LBB4_289
; %bb.284:                              ;   in Loop: Header=BB4_129 Depth=2
	s_mov_b32 s25, exec_lo
                                        ; implicit-def: $vgpr42
	v_cmpx_ne_u64_e32 0, v[64:65]
	s_xor_b32 s25, exec_lo, s25
; %bb.285:                              ;   in Loop: Header=BB4_129 Depth=2
	v_or_b32_e32 v42, 0x7f, v0
                                        ; implicit-def: $vgpr3
; %bb.286:                              ;   in Loop: Header=BB4_129 Depth=2
	s_and_not1_saveexec_b32 s25, s25
; %bb.287:                              ;   in Loop: Header=BB4_129 Depth=2
	v_cmp_lt_i32_e32 vcc_lo, -1, v3
	v_cndmask_b32_e32 v42, 0xfc, v68, vcc_lo
; %bb.288:                              ;   in Loop: Header=BB4_129 Depth=2
	s_or_b32 exec_lo, exec_lo, s25
.LBB4_289:                              ;   in Loop: Header=BB4_129 Depth=2
	s_delay_alu instid0(SALU_CYCLE_1) | instskip(SKIP_4) | instid1(VALU_DEP_3)
	s_or_b32 exec_lo, exec_lo, s10
	v_and_b32_e32 v30, 0xff, v23
	v_dual_mov_b32 v64, v23 :: v_dual_mov_b32 v3, 0
	v_mov_b32_e32 v0, 0
	s_mov_b32 s10, exec_lo
	v_cmpx_ne_u16_e32 0, v30
	s_cbranch_execz .LBB4_299
; %bb.290:                              ;   in Loop: Header=BB4_129 Depth=2
	v_bfrev_b32_e32 v0, 1
	s_mov_b32 s25, exec_lo
	v_cmpx_ne_u16_e32 0x80, v30
	s_cbranch_execz .LBB4_298
; %bb.291:                              ;   in Loop: Header=BB4_129 Depth=2
	v_and_b32_e32 v0, 0x7c, v23
	v_and_b32_e32 v30, 3, v23
	s_delay_alu instid0(VALU_DEP_2) | instskip(SKIP_1) | instid1(SALU_CYCLE_1)
	v_cmp_ne_u32_e32 vcc_lo, 0x7c, v0
                                        ; implicit-def: $vgpr0
	s_and_saveexec_b32 s26, vcc_lo
	s_xor_b32 s26, exec_lo, s26
	s_cbranch_execz .LBB4_295
; %bb.292:                              ;   in Loop: Header=BB4_129 Depth=2
	v_bfe_u32 v0, v23, 2, 5
	s_mov_b32 s27, exec_lo
	s_delay_alu instid0(VALU_DEP_1)
	v_cmpx_eq_u32_e32 0, v0
; %bb.293:                              ;   in Loop: Header=BB4_129 Depth=2
	v_clz_i32_u32_e32 v0, v30
	s_delay_alu instid0(VALU_DEP_1) | instskip(NEXT) | instid1(VALU_DEP_1)
	v_min_u32_e32 v0, 32, v0
	v_subrev_nc_u32_e32 v30, 29, v0
	v_sub_nc_u32_e32 v0, 30, v0
	s_delay_alu instid0(VALU_DEP_2) | instskip(NEXT) | instid1(VALU_DEP_1)
	v_lshlrev_b64_e32 v[116:117], v30, v[64:65]
	v_and_b32_e32 v30, 3, v116
; %bb.294:                              ;   in Loop: Header=BB4_129 Depth=2
	s_or_b32 exec_lo, exec_lo, s27
	v_lshlrev_b32_e32 v82, 24, v23
	s_delay_alu instid0(VALU_DEP_1) | instskip(NEXT) | instid1(VALU_DEP_1)
	v_and_b32_e32 v82, 0x80000000, v82
	v_lshl_add_u32 v0, v0, 23, v82
	s_delay_alu instid0(VALU_DEP_1) | instskip(NEXT) | instid1(VALU_DEP_1)
	v_lshl_or_b32 v0, v30, 21, v0
                                        ; implicit-def: $vgpr30
	v_add_nc_u32_e32 v0, 0x38000000, v0
.LBB4_295:                              ;   in Loop: Header=BB4_129 Depth=2
	s_and_not1_saveexec_b32 s26, s26
; %bb.296:                              ;   in Loop: Header=BB4_129 Depth=2
	v_bfe_i32 v0, v23, 0, 8
	s_delay_alu instid0(VALU_DEP_1) | instskip(SKIP_2) | instid1(VALU_DEP_2)
	v_cmp_lt_i16_e32 vcc_lo, -1, v0
	v_cndmask_b32_e32 v0, 0xff800000, v126, vcc_lo
	v_cmp_eq_u32_e32 vcc_lo, 0, v30
	v_cndmask_b32_e32 v0, 0x7f800001, v0, vcc_lo
; %bb.297:                              ;   in Loop: Header=BB4_129 Depth=2
	s_or_b32 exec_lo, exec_lo, s26
.LBB4_298:                              ;   in Loop: Header=BB4_129 Depth=2
	s_delay_alu instid0(SALU_CYCLE_1)
	s_or_b32 exec_lo, exec_lo, s25
.LBB4_299:                              ;   in Loop: Header=BB4_129 Depth=2
	s_delay_alu instid0(SALU_CYCLE_1) | instskip(SKIP_2) | instid1(VALU_DEP_1)
	s_or_b32 exec_lo, exec_lo, s10
	v_and_b32_e32 v30, 0xff, v19
	s_mov_b32 s10, exec_lo
	v_cmpx_ne_u16_e32 0, v30
	s_cbranch_execz .LBB4_309
; %bb.300:                              ;   in Loop: Header=BB4_129 Depth=2
	v_bfrev_b32_e32 v3, 1
	s_mov_b32 s25, exec_lo
	v_cmpx_ne_u16_e32 0x80, v30
	s_cbranch_execz .LBB4_308
; %bb.301:                              ;   in Loop: Header=BB4_129 Depth=2
	v_and_b32_e32 v3, 0x7c, v19
	v_and_b32_e32 v30, 3, v19
	s_delay_alu instid0(VALU_DEP_2) | instskip(SKIP_1) | instid1(SALU_CYCLE_1)
	v_cmp_ne_u32_e32 vcc_lo, 0x7c, v3
                                        ; implicit-def: $vgpr3
	s_and_saveexec_b32 s26, vcc_lo
	s_xor_b32 s26, exec_lo, s26
	s_cbranch_execz .LBB4_305
; %bb.302:                              ;   in Loop: Header=BB4_129 Depth=2
	v_bfe_u32 v3, v19, 2, 5
	s_mov_b32 s27, exec_lo
	s_delay_alu instid0(VALU_DEP_1)
	v_cmpx_eq_u32_e32 0, v3
; %bb.303:                              ;   in Loop: Header=BB4_129 Depth=2
	v_clz_i32_u32_e32 v3, v30
	v_dual_mov_b32 v116, v19 :: v_dual_mov_b32 v117, v65
	s_delay_alu instid0(VALU_DEP_2) | instskip(NEXT) | instid1(VALU_DEP_1)
	v_min_u32_e32 v3, 32, v3
	v_subrev_nc_u32_e32 v30, 29, v3
	s_delay_alu instid0(VALU_DEP_1) | instskip(NEXT) | instid1(VALU_DEP_1)
	v_lshlrev_b64_e32 v[116:117], v30, v[116:117]
	v_dual_sub_nc_u32 v3, 30, v3 :: v_dual_bitop2_b32 v30, 3, v116 bitop3:0x40
; %bb.304:                              ;   in Loop: Header=BB4_129 Depth=2
	s_or_b32 exec_lo, exec_lo, s27
	v_lshlrev_b32_e32 v82, 24, v19
	s_delay_alu instid0(VALU_DEP_1) | instskip(NEXT) | instid1(VALU_DEP_1)
	v_and_b32_e32 v82, 0x80000000, v82
	v_lshl_add_u32 v3, v3, 23, v82
	s_delay_alu instid0(VALU_DEP_1) | instskip(NEXT) | instid1(VALU_DEP_1)
	v_lshl_or_b32 v3, v30, 21, v3
                                        ; implicit-def: $vgpr30
	v_add_nc_u32_e32 v3, 0x38000000, v3
.LBB4_305:                              ;   in Loop: Header=BB4_129 Depth=2
	s_and_not1_saveexec_b32 s26, s26
; %bb.306:                              ;   in Loop: Header=BB4_129 Depth=2
	v_bfe_i32 v3, v19, 0, 8
	s_delay_alu instid0(VALU_DEP_1) | instskip(SKIP_2) | instid1(VALU_DEP_2)
	v_cmp_lt_i16_e32 vcc_lo, -1, v3
	v_cndmask_b32_e32 v3, 0xff800000, v126, vcc_lo
	v_cmp_eq_u32_e32 vcc_lo, 0, v30
	v_cndmask_b32_e32 v3, 0x7f800001, v3, vcc_lo
; %bb.307:                              ;   in Loop: Header=BB4_129 Depth=2
	s_or_b32 exec_lo, exec_lo, s26
.LBB4_308:                              ;   in Loop: Header=BB4_129 Depth=2
	s_delay_alu instid0(SALU_CYCLE_1)
	s_or_b32 exec_lo, exec_lo, s25
.LBB4_309:                              ;   in Loop: Header=BB4_129 Depth=2
	s_delay_alu instid0(SALU_CYCLE_1) | instskip(NEXT) | instid1(VALU_DEP_1)
	s_or_b32 exec_lo, exec_lo, s10
	v_dual_mul_f32 v3, v0, v3 :: v_dual_mov_b32 v119, v65
	v_mov_b32_e32 v117, v65
                                        ; implicit-def: $vgpr43
	s_mov_b32 s10, exec_lo
	s_delay_alu instid0(VALU_DEP_2) | instskip(SKIP_2) | instid1(VALU_DEP_3)
	v_and_b32_e32 v118, 0x7f800000, v3
	v_and_b32_e32 v116, 0x7fffff, v3
	v_lshrrev_b32_e32 v0, 24, v3
	v_cmpx_ne_u64_e32 0x7f800000, v[118:119]
	s_xor_b32 s25, exec_lo, s10
	s_cbranch_execz .LBB4_323
; %bb.310:                              ;   in Loop: Header=BB4_129 Depth=2
	v_and_b32_e32 v118, 0x7fffffff, v3
	v_mov_b32_e32 v119, v65
	v_and_b32_e32 v0, 0x80, v0
                                        ; implicit-def: $vgpr43
	s_mov_b32 s10, exec_lo
	s_delay_alu instid0(VALU_DEP_2)
	v_cmpx_gt_u64_e32 0x47600001, v[118:119]
	s_xor_b32 s26, exec_lo, s10
	s_cbranch_execz .LBB4_320
; %bb.311:                              ;   in Loop: Header=BB4_129 Depth=2
	v_mov_b32_e32 v43, 0
	s_mov_b32 s27, exec_lo
	v_cmpx_ne_u32_e32 0, v3
	s_cbranch_execz .LBB4_319
; %bb.312:                              ;   in Loop: Header=BB4_129 Depth=2
	v_bfe_u32 v3, v3, 23, 8
	v_or_b32_e32 v83, 0x800000, v116
	s_delay_alu instid0(VALU_DEP_2) | instskip(SKIP_1) | instid1(VALU_DEP_2)
	v_sub_nc_u32_e32 v30, 0x71, v3
	v_cmp_gt_u32_e32 vcc_lo, 0x72, v3
	v_cndmask_b32_e32 v30, 0, v30, vcc_lo
	v_cmp_eq_u32_e32 vcc_lo, 0, v3
	v_cndmask_b32_e32 v116, v83, v116, vcc_lo
	s_delay_alu instid0(VALU_DEP_3) | instskip(NEXT) | instid1(VALU_DEP_1)
	v_cndmask_b32_e64 v30, v30, 0x70, vcc_lo
	v_add_nc_u32_e32 v82, 21, v30
	s_delay_alu instid0(VALU_DEP_1) | instskip(SKIP_1) | instid1(VALU_DEP_1)
	v_lshlrev_b64_e64 v[118:119], v82, -1
	v_add_nc_u32_e32 v82, 20, v30
	v_lshlrev_b64_e64 v[44:45], v82, 1
	s_delay_alu instid0(VALU_DEP_3) | instskip(SKIP_2) | instid1(VALU_DEP_1)
	v_bfi_b32 v118, v118, 0, v116
	v_lshrrev_b64 v[116:117], v30, v[116:117]
	v_bfi_b32 v119, v119, 0, 0
	v_cmp_eq_u64_e64 s10, v[118:119], v[44:45]
	s_delay_alu instid0(VALU_DEP_3)
	v_mov_b64_e32 v[118:119], v[116:117]
	s_and_saveexec_b32 s28, s10
; %bb.313:                              ;   in Loop: Header=BB4_129 Depth=2
	v_bfe_u32 v118, v116, 21, 1
	v_mov_b32_e32 v119, v65
	s_delay_alu instid0(VALU_DEP_1) | instskip(NEXT) | instid1(VALU_DEP_1)
	v_add_nc_u64_e32 v[118:119], v[116:117], v[118:119]
	v_add_nc_u64_e32 v[118:119], -1, v[118:119]
; %bb.314:                              ;   in Loop: Header=BB4_129 Depth=2
	s_or_b32 exec_lo, exec_lo, s28
	v_add_nc_u32_e32 v3, 0xffffff81, v3
	v_lshrrev_b32_e32 v82, 23, v116
	s_mov_b32 s10, exec_lo
	v_mov_b32_e32 v117, v65
	s_delay_alu instid0(VALU_DEP_3) | instskip(NEXT) | instid1(VALU_DEP_1)
	v_cndmask_b32_e64 v3, v3, 0xffffff82, vcc_lo
	v_add3_u32 v30, v30, v3, v82
	v_and_b32_e32 v3, 0x1fffff, v118
	s_delay_alu instid0(VALU_DEP_1) | instskip(NEXT) | instid1(VALU_DEP_1)
	v_dual_add_nc_u32 v118, 14, v30 :: v_dual_add_nc_u32 v116, v3, v116
                                        ; implicit-def: $vgpr3
	v_cmpx_ne_u32_e32 0, v118
	s_xor_b32 s10, exec_lo, s10
; %bb.315:                              ;   in Loop: Header=BB4_129 Depth=2
	s_delay_alu instid0(VALU_DEP_2) | instskip(SKIP_2) | instid1(VALU_DEP_2)
	v_cmp_lt_u64_e32 vcc_lo, 0xffffff, v[116:117]
	v_add_nc_u32_e32 v3, 15, v30
	v_cndmask_b32_e64 v30, 0, 1, vcc_lo
	v_cndmask_b32_e32 v3, v118, v3, vcc_lo
	s_delay_alu instid0(VALU_DEP_2)
	v_lshrrev_b64 v[116:117], v30, v[116:117]
; %bb.316:                              ;   in Loop: Header=BB4_129 Depth=2
	s_and_not1_saveexec_b32 s10, s10
; %bb.317:                              ;   in Loop: Header=BB4_129 Depth=2
	s_delay_alu instid0(VALU_DEP_1)
	v_bfe_u32 v3, v116, 23, 1
; %bb.318:                              ;   in Loop: Header=BB4_129 Depth=2
	s_or_b32 exec_lo, exec_lo, s10
	s_delay_alu instid0(VALU_DEP_2) | instskip(NEXT) | instid1(VALU_DEP_2)
	v_lshrrev_b64 v[116:117], 21, v[116:117]
	v_cmp_gt_i32_e32 vcc_lo, 32, v3
	v_min_i32_e32 v30, 31, v3
	v_cmp_eq_u32_e64 s10, 0, v3
	s_delay_alu instid0(VALU_DEP_2) | instskip(SKIP_1) | instid1(VALU_DEP_2)
	v_dual_cndmask_b32 v117, 0, v117 :: v_dual_lshlrev_b32 v30, 2, v30
	v_cndmask_b32_e32 v116, 3, v116, vcc_lo
	v_and_b32_e32 v30, 0xfc, v30
	s_delay_alu instid0(VALU_DEP_2) | instskip(NEXT) | instid1(VALU_DEP_2)
	v_cmp_eq_u64_e32 vcc_lo, 0, v[116:117]
	v_and_or_b32 v3, v116, 3, v30
	s_and_b32 s10, s10, vcc_lo
	s_delay_alu instid0(VALU_DEP_1) | instid1(SALU_CYCLE_1)
	v_cndmask_b32_e64 v3, v3, 0, s10
	s_delay_alu instid0(VALU_DEP_1)
	v_or_b32_e32 v43, v3, v0
.LBB4_319:                              ;   in Loop: Header=BB4_129 Depth=2
	s_or_b32 exec_lo, exec_lo, s27
                                        ; implicit-def: $vgpr0
.LBB4_320:                              ;   in Loop: Header=BB4_129 Depth=2
	s_and_not1_saveexec_b32 s10, s26
; %bb.321:                              ;   in Loop: Header=BB4_129 Depth=2
	v_or_b32_e32 v43, 0x7b, v0
; %bb.322:                              ;   in Loop: Header=BB4_129 Depth=2
	s_or_b32 exec_lo, exec_lo, s10
                                        ; implicit-def: $vgpr3
                                        ; implicit-def: $vgpr116_vgpr117
                                        ; implicit-def: $vgpr0
.LBB4_323:                              ;   in Loop: Header=BB4_129 Depth=2
	s_and_not1_saveexec_b32 s10, s25
	s_cbranch_execz .LBB4_329
; %bb.324:                              ;   in Loop: Header=BB4_129 Depth=2
	s_mov_b32 s25, exec_lo
                                        ; implicit-def: $vgpr43
	v_cmpx_ne_u64_e32 0, v[116:117]
	s_xor_b32 s25, exec_lo, s25
; %bb.325:                              ;   in Loop: Header=BB4_129 Depth=2
	v_or_b32_e32 v43, 0x7f, v0
                                        ; implicit-def: $vgpr3
; %bb.326:                              ;   in Loop: Header=BB4_129 Depth=2
	s_and_not1_saveexec_b32 s25, s25
; %bb.327:                              ;   in Loop: Header=BB4_129 Depth=2
	v_cmp_lt_i32_e32 vcc_lo, -1, v3
	v_cndmask_b32_e32 v43, 0xfc, v68, vcc_lo
; %bb.328:                              ;   in Loop: Header=BB4_129 Depth=2
	s_or_b32 exec_lo, exec_lo, s25
.LBB4_329:                              ;   in Loop: Header=BB4_129 Depth=2
	s_delay_alu instid0(SALU_CYCLE_1) | instskip(SKIP_3) | instid1(VALU_DEP_2)
	s_or_b32 exec_lo, exec_lo, s10
	v_lshrrev_b16 v116, 8, v64
	v_dual_mov_b32 v0, 0 :: v_dual_mov_b32 v3, 0
	s_mov_b32 s10, exec_lo
	v_cmpx_ne_u16_e32 0, v116
	s_cbranch_execz .LBB4_339
; %bb.330:                              ;   in Loop: Header=BB4_129 Depth=2
	v_bfrev_b32_e32 v3, 1
	s_mov_b32 s25, exec_lo
	v_cmpx_ne_u16_e32 0x80, v116
	s_cbranch_execz .LBB4_338
; %bb.331:                              ;   in Loop: Header=BB4_129 Depth=2
	v_and_b32_e32 v117, 0xffff, v116
	s_delay_alu instid0(VALU_DEP_1) | instskip(SKIP_1) | instid1(VALU_DEP_2)
	v_and_b32_e32 v3, 0x7c, v117
	v_and_b32_e32 v30, 3, v117
	v_cmp_ne_u32_e32 vcc_lo, 0x7c, v3
                                        ; implicit-def: $vgpr3
	s_and_saveexec_b32 s26, vcc_lo
	s_delay_alu instid0(SALU_CYCLE_1)
	s_xor_b32 s26, exec_lo, s26
	s_cbranch_execz .LBB4_335
; %bb.332:                              ;   in Loop: Header=BB4_129 Depth=2
	v_bfe_u32 v3, v117, 2, 5
	s_mov_b32 s27, exec_lo
	s_delay_alu instid0(VALU_DEP_1)
	v_cmpx_eq_u32_e32 0, v3
	s_cbranch_execz .LBB4_334
; %bb.333:                              ;   in Loop: Header=BB4_129 Depth=2
	v_clz_i32_u32_e32 v3, v30
	s_delay_alu instid0(VALU_DEP_1) | instskip(SKIP_1) | instid1(VALU_DEP_2)
	v_min_u32_e32 v3, 32, v3
	v_mov_b32_e32 v117, v65
	v_subrev_nc_u32_e32 v30, 29, v3
	v_sub_nc_u32_e32 v3, 30, v3
	s_delay_alu instid0(VALU_DEP_2) | instskip(NEXT) | instid1(VALU_DEP_1)
	v_lshlrev_b64_e32 v[116:117], v30, v[116:117]
	v_and_b32_e32 v30, 3, v116
.LBB4_334:                              ;   in Loop: Header=BB4_129 Depth=2
	s_or_b32 exec_lo, exec_lo, s27
	v_lshlrev_b32_e32 v64, 16, v64
	s_delay_alu instid0(VALU_DEP_1) | instskip(NEXT) | instid1(VALU_DEP_1)
	v_and_b32_e32 v64, 0x80000000, v64
	v_lshl_add_u32 v3, v3, 23, v64
	s_delay_alu instid0(VALU_DEP_1) | instskip(NEXT) | instid1(VALU_DEP_1)
	v_lshl_or_b32 v3, v30, 21, v3
                                        ; implicit-def: $vgpr30
	v_add_nc_u32_e32 v3, 0x38000000, v3
.LBB4_335:                              ;   in Loop: Header=BB4_129 Depth=2
	s_and_not1_saveexec_b32 s26, s26
; %bb.336:                              ;   in Loop: Header=BB4_129 Depth=2
	v_cmp_lt_i16_e32 vcc_lo, -1, v64
	v_cndmask_b32_e32 v3, 0xff800000, v126, vcc_lo
	v_cmp_eq_u32_e32 vcc_lo, 0, v30
	s_delay_alu instid0(VALU_DEP_2)
	v_cndmask_b32_e32 v3, 0x7f800001, v3, vcc_lo
; %bb.337:                              ;   in Loop: Header=BB4_129 Depth=2
	s_or_b32 exec_lo, exec_lo, s26
.LBB4_338:                              ;   in Loop: Header=BB4_129 Depth=2
	s_delay_alu instid0(SALU_CYCLE_1)
	s_or_b32 exec_lo, exec_lo, s25
.LBB4_339:                              ;   in Loop: Header=BB4_129 Depth=2
	s_delay_alu instid0(SALU_CYCLE_1) | instskip(SKIP_2) | instid1(VALU_DEP_1)
	s_or_b32 exec_lo, exec_lo, s10
	v_lshrrev_b16 v64, 8, v19
	s_mov_b32 s10, exec_lo
	v_cmpx_ne_u16_e32 0, v64
	s_cbranch_execz .LBB4_349
; %bb.340:                              ;   in Loop: Header=BB4_129 Depth=2
	v_bfrev_b32_e32 v0, 1
	s_mov_b32 s25, exec_lo
	v_cmpx_ne_u16_e32 0x80, v64
	s_cbranch_execz .LBB4_348
; %bb.341:                              ;   in Loop: Header=BB4_129 Depth=2
	v_and_b32_e32 v116, 0xffff, v64
	s_delay_alu instid0(VALU_DEP_1) | instskip(SKIP_1) | instid1(VALU_DEP_2)
	v_and_b32_e32 v0, 0x7c, v116
	v_and_b32_e32 v30, 3, v116
	v_cmp_ne_u32_e32 vcc_lo, 0x7c, v0
                                        ; implicit-def: $vgpr0
	s_and_saveexec_b32 s26, vcc_lo
	s_delay_alu instid0(SALU_CYCLE_1)
	s_xor_b32 s26, exec_lo, s26
	s_cbranch_execz .LBB4_345
; %bb.342:                              ;   in Loop: Header=BB4_129 Depth=2
	v_bfe_u32 v0, v116, 2, 5
	s_mov_b32 s27, exec_lo
	s_delay_alu instid0(VALU_DEP_1)
	v_cmpx_eq_u32_e32 0, v0
; %bb.343:                              ;   in Loop: Header=BB4_129 Depth=2
	v_clz_i32_u32_e32 v0, v30
	s_delay_alu instid0(VALU_DEP_1) | instskip(NEXT) | instid1(VALU_DEP_1)
	v_min_u32_e32 v0, 32, v0
	v_subrev_nc_u32_e32 v30, 29, v0
	v_sub_nc_u32_e32 v0, 30, v0
	s_delay_alu instid0(VALU_DEP_2) | instskip(NEXT) | instid1(VALU_DEP_1)
	v_lshlrev_b64_e32 v[116:117], v30, v[64:65]
	v_and_b32_e32 v30, 3, v116
; %bb.344:                              ;   in Loop: Header=BB4_129 Depth=2
	s_or_b32 exec_lo, exec_lo, s27
	v_lshlrev_b32_e32 v64, 16, v19
	s_delay_alu instid0(VALU_DEP_1) | instskip(NEXT) | instid1(VALU_DEP_1)
	v_and_b32_e32 v64, 0x80000000, v64
	v_lshl_add_u32 v0, v0, 23, v64
	s_delay_alu instid0(VALU_DEP_1) | instskip(NEXT) | instid1(VALU_DEP_1)
	v_lshl_or_b32 v0, v30, 21, v0
                                        ; implicit-def: $vgpr30
	v_add_nc_u32_e32 v0, 0x38000000, v0
.LBB4_345:                              ;   in Loop: Header=BB4_129 Depth=2
	s_and_not1_saveexec_b32 s26, s26
; %bb.346:                              ;   in Loop: Header=BB4_129 Depth=2
	v_cmp_lt_i16_e32 vcc_lo, -1, v19
	v_cndmask_b32_e32 v0, 0xff800000, v126, vcc_lo
	v_cmp_eq_u32_e32 vcc_lo, 0, v30
	s_delay_alu instid0(VALU_DEP_2)
	v_cndmask_b32_e32 v0, 0x7f800001, v0, vcc_lo
; %bb.347:                              ;   in Loop: Header=BB4_129 Depth=2
	s_or_b32 exec_lo, exec_lo, s26
.LBB4_348:                              ;   in Loop: Header=BB4_129 Depth=2
	s_delay_alu instid0(SALU_CYCLE_1)
	s_or_b32 exec_lo, exec_lo, s25
.LBB4_349:                              ;   in Loop: Header=BB4_129 Depth=2
	s_delay_alu instid0(SALU_CYCLE_1) | instskip(NEXT) | instid1(VALU_DEP_1)
	s_or_b32 exec_lo, exec_lo, s10
	v_dual_mul_f32 v3, v3, v0 :: v_dual_mov_b32 v117, v65
                                        ; implicit-def: $vgpr44
	s_mov_b32 s10, exec_lo
	s_delay_alu instid0(VALU_DEP_1) | instskip(SKIP_2) | instid1(VALU_DEP_3)
	v_and_b32_e32 v116, 0x7f800000, v3
	v_and_b32_e32 v64, 0x7fffff, v3
	v_lshrrev_b32_e32 v0, 24, v3
	v_cmpx_ne_u64_e32 0x7f800000, v[116:117]
	s_xor_b32 s25, exec_lo, s10
	s_cbranch_execz .LBB4_363
; %bb.350:                              ;   in Loop: Header=BB4_129 Depth=2
	v_and_b32_e32 v116, 0x7fffffff, v3
	v_mov_b32_e32 v117, v65
	v_and_b32_e32 v0, 0x80, v0
                                        ; implicit-def: $vgpr44
	s_mov_b32 s10, exec_lo
	s_delay_alu instid0(VALU_DEP_2)
	v_cmpx_gt_u64_e32 0x47600001, v[116:117]
	s_xor_b32 s26, exec_lo, s10
	s_cbranch_execz .LBB4_360
; %bb.351:                              ;   in Loop: Header=BB4_129 Depth=2
	v_mov_b32_e32 v44, 0
	s_mov_b32 s27, exec_lo
	v_cmpx_ne_u32_e32 0, v3
	s_cbranch_execz .LBB4_359
; %bb.352:                              ;   in Loop: Header=BB4_129 Depth=2
	v_bfe_u32 v3, v3, 23, 8
	v_or_b32_e32 v83, 0x800000, v64
	s_delay_alu instid0(VALU_DEP_2) | instskip(SKIP_1) | instid1(VALU_DEP_2)
	v_sub_nc_u32_e32 v30, 0x71, v3
	v_cmp_gt_u32_e32 vcc_lo, 0x72, v3
	v_cndmask_b32_e32 v30, 0, v30, vcc_lo
	v_cmp_eq_u32_e32 vcc_lo, 0, v3
	v_cndmask_b32_e32 v64, v83, v64, vcc_lo
	s_delay_alu instid0(VALU_DEP_3) | instskip(NEXT) | instid1(VALU_DEP_1)
	v_cndmask_b32_e64 v30, v30, 0x70, vcc_lo
	v_add_nc_u32_e32 v82, 21, v30
	s_delay_alu instid0(VALU_DEP_1) | instskip(SKIP_1) | instid1(VALU_DEP_1)
	v_lshlrev_b64_e64 v[116:117], v82, -1
	v_add_nc_u32_e32 v82, 20, v30
	v_lshlrev_b64_e64 v[118:119], v82, 1
	s_delay_alu instid0(VALU_DEP_3) | instskip(NEXT) | instid1(VALU_DEP_4)
	v_bfi_b32 v45, v117, 0, 0
	v_bfi_b32 v44, v116, 0, v64
	v_lshrrev_b64 v[116:117], v30, v[64:65]
	s_delay_alu instid0(VALU_DEP_2) | instskip(NEXT) | instid1(VALU_DEP_2)
	v_cmp_eq_u64_e64 s10, v[44:45], v[118:119]
	v_mov_b64_e32 v[118:119], v[116:117]
	s_and_saveexec_b32 s28, s10
; %bb.353:                              ;   in Loop: Header=BB4_129 Depth=2
	v_bfe_u32 v64, v116, 21, 1
	s_delay_alu instid0(VALU_DEP_1) | instskip(NEXT) | instid1(VALU_DEP_1)
	v_add_nc_u64_e32 v[118:119], v[116:117], v[64:65]
	v_add_nc_u64_e32 v[118:119], -1, v[118:119]
; %bb.354:                              ;   in Loop: Header=BB4_129 Depth=2
	s_or_b32 exec_lo, exec_lo, s28
	v_add_nc_u32_e32 v3, 0xffffff81, v3
	v_lshrrev_b32_e32 v64, 23, v116
	s_mov_b32 s10, exec_lo
	s_delay_alu instid0(VALU_DEP_2) | instskip(NEXT) | instid1(VALU_DEP_1)
	v_cndmask_b32_e64 v3, v3, 0xffffff82, vcc_lo
	v_add3_u32 v30, v30, v3, v64
	v_and_b32_e32 v3, 0x1fffff, v118
	s_delay_alu instid0(VALU_DEP_1) | instskip(NEXT) | instid1(VALU_DEP_1)
	v_dual_add_nc_u32 v118, 14, v30 :: v_dual_add_nc_u32 v64, v3, v116
                                        ; implicit-def: $vgpr116_vgpr117
                                        ; implicit-def: $vgpr3
	v_cmpx_ne_u32_e32 0, v118
	s_xor_b32 s10, exec_lo, s10
; %bb.355:                              ;   in Loop: Header=BB4_129 Depth=2
	s_delay_alu instid0(VALU_DEP_2) | instskip(SKIP_2) | instid1(VALU_DEP_2)
	v_cmp_lt_u64_e32 vcc_lo, 0xffffff, v[64:65]
	v_add_nc_u32_e32 v3, 15, v30
	v_cndmask_b32_e64 v30, 0, 1, vcc_lo
	v_cndmask_b32_e32 v3, v118, v3, vcc_lo
	s_delay_alu instid0(VALU_DEP_2)
	v_lshrrev_b64 v[116:117], v30, v[64:65]
; %bb.356:                              ;   in Loop: Header=BB4_129 Depth=2
	s_and_not1_saveexec_b32 s10, s10
; %bb.357:                              ;   in Loop: Header=BB4_129 Depth=2
	v_mov_b64_e32 v[116:117], v[64:65]
	v_bfe_u32 v3, v64, 23, 1
; %bb.358:                              ;   in Loop: Header=BB4_129 Depth=2
	s_or_b32 exec_lo, exec_lo, s10
	s_delay_alu instid0(VALU_DEP_2) | instskip(NEXT) | instid1(VALU_DEP_2)
	v_lshrrev_b64 v[116:117], 21, v[116:117]
	v_cmp_gt_i32_e32 vcc_lo, 32, v3
	v_min_i32_e32 v30, 31, v3
	v_cmp_eq_u32_e64 s10, 0, v3
	s_delay_alu instid0(VALU_DEP_2) | instskip(SKIP_1) | instid1(VALU_DEP_2)
	v_dual_cndmask_b32 v117, 0, v117 :: v_dual_lshlrev_b32 v30, 2, v30
	v_cndmask_b32_e32 v116, 3, v116, vcc_lo
	v_and_b32_e32 v30, 0xfc, v30
	s_delay_alu instid0(VALU_DEP_2) | instskip(NEXT) | instid1(VALU_DEP_2)
	v_cmp_eq_u64_e32 vcc_lo, 0, v[116:117]
	v_and_or_b32 v3, v116, 3, v30
	s_and_b32 s10, s10, vcc_lo
	s_delay_alu instid0(VALU_DEP_1) | instid1(SALU_CYCLE_1)
	v_cndmask_b32_e64 v3, v3, 0, s10
	s_delay_alu instid0(VALU_DEP_1)
	v_or_b32_e32 v44, v3, v0
.LBB4_359:                              ;   in Loop: Header=BB4_129 Depth=2
	s_or_b32 exec_lo, exec_lo, s27
                                        ; implicit-def: $vgpr0
.LBB4_360:                              ;   in Loop: Header=BB4_129 Depth=2
	s_and_not1_saveexec_b32 s10, s26
; %bb.361:                              ;   in Loop: Header=BB4_129 Depth=2
	v_or_b32_e32 v44, 0x7b, v0
; %bb.362:                              ;   in Loop: Header=BB4_129 Depth=2
	s_or_b32 exec_lo, exec_lo, s10
                                        ; implicit-def: $vgpr3
                                        ; implicit-def: $vgpr0
.LBB4_363:                              ;   in Loop: Header=BB4_129 Depth=2
	s_and_not1_saveexec_b32 s10, s25
	s_cbranch_execz .LBB4_369
; %bb.364:                              ;   in Loop: Header=BB4_129 Depth=2
	s_mov_b32 s25, exec_lo
                                        ; implicit-def: $vgpr44
	v_cmpx_ne_u64_e32 0, v[64:65]
	s_xor_b32 s25, exec_lo, s25
; %bb.365:                              ;   in Loop: Header=BB4_129 Depth=2
	v_or_b32_e32 v44, 0x7f, v0
                                        ; implicit-def: $vgpr3
; %bb.366:                              ;   in Loop: Header=BB4_129 Depth=2
	s_and_not1_saveexec_b32 s25, s25
; %bb.367:                              ;   in Loop: Header=BB4_129 Depth=2
	v_cmp_lt_i32_e32 vcc_lo, -1, v3
	v_cndmask_b32_e32 v44, 0xfc, v68, vcc_lo
; %bb.368:                              ;   in Loop: Header=BB4_129 Depth=2
	s_or_b32 exec_lo, exec_lo, s25
.LBB4_369:                              ;   in Loop: Header=BB4_129 Depth=2
	s_delay_alu instid0(SALU_CYCLE_1) | instskip(SKIP_3) | instid1(VALU_DEP_2)
	s_or_b32 exec_lo, exec_lo, s10
	v_dual_lshrrev_b32 v30, 16, v23 :: v_dual_mov_b32 v0, 0
	v_mov_b32_e32 v3, 0
	s_mov_b32 s10, exec_lo
	v_and_b32_e32 v64, 0xff, v30
	s_delay_alu instid0(VALU_DEP_1)
	v_cmpx_ne_u16_e32 0, v64
	s_cbranch_execz .LBB4_379
; %bb.370:                              ;   in Loop: Header=BB4_129 Depth=2
	v_bfrev_b32_e32 v3, 1
	s_mov_b32 s25, exec_lo
	v_cmpx_ne_u16_e32 0x80, v64
	s_cbranch_execz .LBB4_378
; %bb.371:                              ;   in Loop: Header=BB4_129 Depth=2
	v_and_b32_e32 v3, 0x7c0000, v23
	v_bfe_u32 v64, v23, 16, 2
	s_delay_alu instid0(VALU_DEP_2) | instskip(SKIP_1) | instid1(SALU_CYCLE_1)
	v_cmp_ne_u32_e32 vcc_lo, 0x7c0000, v3
                                        ; implicit-def: $vgpr3
	s_and_saveexec_b32 s26, vcc_lo
	s_xor_b32 s26, exec_lo, s26
	s_cbranch_execz .LBB4_375
; %bb.372:                              ;   in Loop: Header=BB4_129 Depth=2
	v_bfe_u32 v3, v23, 18, 5
	s_mov_b32 s27, exec_lo
	s_delay_alu instid0(VALU_DEP_1)
	v_cmpx_eq_u32_e32 0, v3
; %bb.373:                              ;   in Loop: Header=BB4_129 Depth=2
	v_clz_i32_u32_e32 v3, v64
	s_delay_alu instid0(VALU_DEP_1) | instskip(NEXT) | instid1(VALU_DEP_1)
	v_min_u32_e32 v3, 32, v3
	v_subrev_nc_u32_e32 v64, 29, v3
	s_delay_alu instid0(VALU_DEP_1) | instskip(NEXT) | instid1(VALU_DEP_1)
	v_lshlrev_b64_e32 v[116:117], v64, v[30:31]
	v_dual_sub_nc_u32 v3, 30, v3 :: v_dual_bitop2_b32 v64, 3, v116 bitop3:0x40
; %bb.374:                              ;   in Loop: Header=BB4_129 Depth=2
	s_or_b32 exec_lo, exec_lo, s27
	v_lshlrev_b32_e32 v30, 24, v30
	s_delay_alu instid0(VALU_DEP_1) | instskip(NEXT) | instid1(VALU_DEP_1)
	v_and_b32_e32 v30, 0x80000000, v30
	v_lshl_add_u32 v3, v3, 23, v30
                                        ; implicit-def: $vgpr30
	s_delay_alu instid0(VALU_DEP_1) | instskip(NEXT) | instid1(VALU_DEP_1)
	v_lshl_or_b32 v3, v64, 21, v3
                                        ; implicit-def: $vgpr64
	v_add_nc_u32_e32 v3, 0x38000000, v3
.LBB4_375:                              ;   in Loop: Header=BB4_129 Depth=2
	s_and_not1_saveexec_b32 s26, s26
; %bb.376:                              ;   in Loop: Header=BB4_129 Depth=2
	v_bfe_i32 v3, v30, 0, 8
	s_delay_alu instid0(VALU_DEP_1) | instskip(SKIP_2) | instid1(VALU_DEP_2)
	v_cmp_lt_i16_e32 vcc_lo, -1, v3
	v_cndmask_b32_e32 v3, 0xff800000, v126, vcc_lo
	v_cmp_eq_u32_e32 vcc_lo, 0, v64
	v_cndmask_b32_e32 v3, 0x7f800001, v3, vcc_lo
; %bb.377:                              ;   in Loop: Header=BB4_129 Depth=2
	s_or_b32 exec_lo, exec_lo, s26
.LBB4_378:                              ;   in Loop: Header=BB4_129 Depth=2
	s_delay_alu instid0(SALU_CYCLE_1)
	s_or_b32 exec_lo, exec_lo, s25
.LBB4_379:                              ;   in Loop: Header=BB4_129 Depth=2
	s_delay_alu instid0(SALU_CYCLE_1) | instskip(SKIP_2) | instid1(VALU_DEP_1)
	s_or_b32 exec_lo, exec_lo, s10
	v_lshrrev_b32_e32 v30, 16, v19
	s_mov_b32 s10, exec_lo
	v_and_b32_e32 v64, 0xff, v30
	s_delay_alu instid0(VALU_DEP_1)
	v_cmpx_ne_u16_e32 0, v64
	s_cbranch_execz .LBB4_389
; %bb.380:                              ;   in Loop: Header=BB4_129 Depth=2
	v_bfrev_b32_e32 v0, 1
	s_mov_b32 s25, exec_lo
	v_cmpx_ne_u16_e32 0x80, v64
	s_cbranch_execz .LBB4_388
; %bb.381:                              ;   in Loop: Header=BB4_129 Depth=2
	v_and_b32_e32 v0, 0x7c0000, v19
	v_bfe_u32 v64, v19, 16, 2
	s_delay_alu instid0(VALU_DEP_2) | instskip(SKIP_1) | instid1(SALU_CYCLE_1)
	v_cmp_ne_u32_e32 vcc_lo, 0x7c0000, v0
                                        ; implicit-def: $vgpr0
	s_and_saveexec_b32 s26, vcc_lo
	s_xor_b32 s26, exec_lo, s26
	s_cbranch_execz .LBB4_385
; %bb.382:                              ;   in Loop: Header=BB4_129 Depth=2
	v_bfe_u32 v0, v19, 18, 5
	s_mov_b32 s27, exec_lo
	s_delay_alu instid0(VALU_DEP_1)
	v_cmpx_eq_u32_e32 0, v0
; %bb.383:                              ;   in Loop: Header=BB4_129 Depth=2
	v_clz_i32_u32_e32 v0, v64
	s_delay_alu instid0(VALU_DEP_1) | instskip(NEXT) | instid1(VALU_DEP_1)
	v_min_u32_e32 v0, 32, v0
	v_subrev_nc_u32_e32 v64, 29, v0
	v_sub_nc_u32_e32 v0, 30, v0
	s_delay_alu instid0(VALU_DEP_2) | instskip(NEXT) | instid1(VALU_DEP_1)
	v_lshlrev_b64_e32 v[116:117], v64, v[30:31]
	v_and_b32_e32 v64, 3, v116
; %bb.384:                              ;   in Loop: Header=BB4_129 Depth=2
	s_or_b32 exec_lo, exec_lo, s27
	v_lshlrev_b32_e32 v30, 24, v30
	s_delay_alu instid0(VALU_DEP_1) | instskip(NEXT) | instid1(VALU_DEP_1)
	v_and_b32_e32 v30, 0x80000000, v30
	v_lshl_add_u32 v0, v0, 23, v30
                                        ; implicit-def: $vgpr30
	s_delay_alu instid0(VALU_DEP_1) | instskip(NEXT) | instid1(VALU_DEP_1)
	v_lshl_or_b32 v0, v64, 21, v0
                                        ; implicit-def: $vgpr64
	v_add_nc_u32_e32 v0, 0x38000000, v0
.LBB4_385:                              ;   in Loop: Header=BB4_129 Depth=2
	s_and_not1_saveexec_b32 s26, s26
; %bb.386:                              ;   in Loop: Header=BB4_129 Depth=2
	v_bfe_i32 v0, v30, 0, 8
	s_delay_alu instid0(VALU_DEP_1) | instskip(SKIP_2) | instid1(VALU_DEP_2)
	v_cmp_lt_i16_e32 vcc_lo, -1, v0
	v_cndmask_b32_e32 v0, 0xff800000, v126, vcc_lo
	v_cmp_eq_u32_e32 vcc_lo, 0, v64
	v_cndmask_b32_e32 v0, 0x7f800001, v0, vcc_lo
; %bb.387:                              ;   in Loop: Header=BB4_129 Depth=2
	s_or_b32 exec_lo, exec_lo, s26
.LBB4_388:                              ;   in Loop: Header=BB4_129 Depth=2
	s_delay_alu instid0(SALU_CYCLE_1)
	s_or_b32 exec_lo, exec_lo, s25
.LBB4_389:                              ;   in Loop: Header=BB4_129 Depth=2
	s_delay_alu instid0(SALU_CYCLE_1) | instskip(NEXT) | instid1(VALU_DEP_1)
	s_or_b32 exec_lo, exec_lo, s10
	v_dual_mul_f32 v3, v3, v0 :: v_dual_mov_b32 v117, v65
	s_delay_alu instid0(VALU_DEP_1) | instskip(SKIP_2) | instid1(VALU_DEP_3)
	v_and_b32_e32 v116, 0x7f800000, v3
	v_and_b32_e32 v64, 0x7fffff, v3
	v_lshrrev_b32_e32 v0, 24, v3
	v_cmp_ne_u64_e32 vcc_lo, 0x7f800000, v[116:117]
                                        ; implicit-def: $vgpr116
	s_and_saveexec_b32 s10, vcc_lo
	s_delay_alu instid0(SALU_CYCLE_1)
	s_xor_b32 s25, exec_lo, s10
	s_cbranch_execz .LBB4_403
; %bb.390:                              ;   in Loop: Header=BB4_129 Depth=2
	v_and_b32_e32 v116, 0x7fffffff, v3
	v_mov_b32_e32 v117, v65
	v_and_b32_e32 v0, 0x80, v0
	s_delay_alu instid0(VALU_DEP_2) | instskip(SKIP_1) | instid1(SALU_CYCLE_1)
	v_cmp_gt_u64_e32 vcc_lo, 0x47600001, v[116:117]
                                        ; implicit-def: $vgpr116
	s_and_saveexec_b32 s10, vcc_lo
	s_xor_b32 s26, exec_lo, s10
	s_cbranch_execz .LBB4_400
; %bb.391:                              ;   in Loop: Header=BB4_129 Depth=2
	v_mov_b32_e32 v116, 0
	s_mov_b32 s27, exec_lo
	v_cmpx_ne_u32_e32 0, v3
	s_cbranch_execz .LBB4_399
; %bb.392:                              ;   in Loop: Header=BB4_129 Depth=2
	v_bfe_u32 v3, v3, 23, 8
	v_or_b32_e32 v83, 0x800000, v64
	s_delay_alu instid0(VALU_DEP_2) | instskip(SKIP_1) | instid1(VALU_DEP_2)
	v_sub_nc_u32_e32 v30, 0x71, v3
	v_cmp_gt_u32_e32 vcc_lo, 0x72, v3
	v_cndmask_b32_e32 v30, 0, v30, vcc_lo
	v_cmp_eq_u32_e32 vcc_lo, 0, v3
	v_cndmask_b32_e32 v64, v83, v64, vcc_lo
	s_delay_alu instid0(VALU_DEP_3) | instskip(NEXT) | instid1(VALU_DEP_1)
	v_cndmask_b32_e64 v30, v30, 0x70, vcc_lo
	v_add_nc_u32_e32 v82, 21, v30
	s_delay_alu instid0(VALU_DEP_1) | instskip(SKIP_1) | instid1(VALU_DEP_1)
	v_lshlrev_b64_e64 v[116:117], v82, -1
	v_add_nc_u32_e32 v82, 20, v30
	v_lshlrev_b64_e64 v[118:119], v82, 1
	s_delay_alu instid0(VALU_DEP_3) | instskip(NEXT) | instid1(VALU_DEP_4)
	v_bfi_b32 v47, v117, 0, 0
	v_bfi_b32 v46, v116, 0, v64
	v_lshrrev_b64 v[116:117], v30, v[64:65]
	s_delay_alu instid0(VALU_DEP_2) | instskip(NEXT) | instid1(VALU_DEP_2)
	v_cmp_eq_u64_e64 s10, v[46:47], v[118:119]
	v_mov_b64_e32 v[118:119], v[116:117]
	s_and_saveexec_b32 s28, s10
; %bb.393:                              ;   in Loop: Header=BB4_129 Depth=2
	v_bfe_u32 v64, v116, 21, 1
	s_delay_alu instid0(VALU_DEP_1) | instskip(NEXT) | instid1(VALU_DEP_1)
	v_add_nc_u64_e32 v[118:119], v[116:117], v[64:65]
	v_add_nc_u64_e32 v[118:119], -1, v[118:119]
; %bb.394:                              ;   in Loop: Header=BB4_129 Depth=2
	s_or_b32 exec_lo, exec_lo, s28
	v_add_nc_u32_e32 v3, 0xffffff81, v3
	v_lshrrev_b32_e32 v64, 23, v116
	s_mov_b32 s10, exec_lo
	s_delay_alu instid0(VALU_DEP_2) | instskip(NEXT) | instid1(VALU_DEP_1)
	v_cndmask_b32_e64 v3, v3, 0xffffff82, vcc_lo
	v_add3_u32 v30, v30, v3, v64
	v_and_b32_e32 v3, 0x1fffff, v118
	s_delay_alu instid0(VALU_DEP_1) | instskip(NEXT) | instid1(VALU_DEP_1)
	v_dual_add_nc_u32 v118, 14, v30 :: v_dual_add_nc_u32 v64, v3, v116
                                        ; implicit-def: $vgpr116_vgpr117
                                        ; implicit-def: $vgpr3
	v_cmpx_ne_u32_e32 0, v118
	s_xor_b32 s10, exec_lo, s10
; %bb.395:                              ;   in Loop: Header=BB4_129 Depth=2
	s_delay_alu instid0(VALU_DEP_2) | instskip(SKIP_2) | instid1(VALU_DEP_2)
	v_cmp_lt_u64_e32 vcc_lo, 0xffffff, v[64:65]
	v_add_nc_u32_e32 v3, 15, v30
	v_cndmask_b32_e64 v30, 0, 1, vcc_lo
	v_cndmask_b32_e32 v3, v118, v3, vcc_lo
	s_delay_alu instid0(VALU_DEP_2)
	v_lshrrev_b64 v[116:117], v30, v[64:65]
; %bb.396:                              ;   in Loop: Header=BB4_129 Depth=2
	s_and_not1_saveexec_b32 s10, s10
; %bb.397:                              ;   in Loop: Header=BB4_129 Depth=2
	v_mov_b64_e32 v[116:117], v[64:65]
	v_bfe_u32 v3, v64, 23, 1
; %bb.398:                              ;   in Loop: Header=BB4_129 Depth=2
	s_or_b32 exec_lo, exec_lo, s10
	s_delay_alu instid0(VALU_DEP_2) | instskip(NEXT) | instid1(VALU_DEP_2)
	v_lshrrev_b64 v[116:117], 21, v[116:117]
	v_cmp_gt_i32_e32 vcc_lo, 32, v3
	v_min_i32_e32 v30, 31, v3
	v_cmp_eq_u32_e64 s10, 0, v3
	s_delay_alu instid0(VALU_DEP_2) | instskip(SKIP_1) | instid1(VALU_DEP_2)
	v_dual_cndmask_b32 v117, 0, v117 :: v_dual_lshlrev_b32 v30, 2, v30
	v_cndmask_b32_e32 v116, 3, v116, vcc_lo
	v_and_b32_e32 v30, 0xfc, v30
	s_delay_alu instid0(VALU_DEP_2) | instskip(NEXT) | instid1(VALU_DEP_2)
	v_cmp_eq_u64_e32 vcc_lo, 0, v[116:117]
	v_and_or_b32 v3, v116, 3, v30
	s_and_b32 s10, s10, vcc_lo
	s_delay_alu instid0(VALU_DEP_1) | instid1(SALU_CYCLE_1)
	v_cndmask_b32_e64 v3, v3, 0, s10
	s_delay_alu instid0(VALU_DEP_1)
	v_or_b32_e32 v116, v3, v0
.LBB4_399:                              ;   in Loop: Header=BB4_129 Depth=2
	s_or_b32 exec_lo, exec_lo, s27
                                        ; implicit-def: $vgpr0
.LBB4_400:                              ;   in Loop: Header=BB4_129 Depth=2
	s_and_not1_saveexec_b32 s10, s26
; %bb.401:                              ;   in Loop: Header=BB4_129 Depth=2
	v_or_b32_e32 v116, 0x7b, v0
; %bb.402:                              ;   in Loop: Header=BB4_129 Depth=2
	s_or_b32 exec_lo, exec_lo, s10
                                        ; implicit-def: $vgpr3
                                        ; implicit-def: $vgpr0
.LBB4_403:                              ;   in Loop: Header=BB4_129 Depth=2
	s_and_not1_saveexec_b32 s10, s25
	s_cbranch_execz .LBB4_409
; %bb.404:                              ;   in Loop: Header=BB4_129 Depth=2
	s_mov_b32 s25, exec_lo
                                        ; implicit-def: $vgpr116
	v_cmpx_ne_u64_e32 0, v[64:65]
	s_xor_b32 s25, exec_lo, s25
; %bb.405:                              ;   in Loop: Header=BB4_129 Depth=2
	v_or_b32_e32 v116, 0x7f, v0
                                        ; implicit-def: $vgpr3
; %bb.406:                              ;   in Loop: Header=BB4_129 Depth=2
	s_and_not1_saveexec_b32 s25, s25
; %bb.407:                              ;   in Loop: Header=BB4_129 Depth=2
	v_cmp_lt_i32_e32 vcc_lo, -1, v3
	v_cndmask_b32_e32 v116, 0xfc, v68, vcc_lo
; %bb.408:                              ;   in Loop: Header=BB4_129 Depth=2
	s_or_b32 exec_lo, exec_lo, s25
.LBB4_409:                              ;   in Loop: Header=BB4_129 Depth=2
	s_delay_alu instid0(SALU_CYCLE_1)
	s_or_b32 exec_lo, exec_lo, s10
	v_dual_mov_b32 v0, 0 :: v_dual_mov_b32 v3, 0
	s_mov_b32 s10, exec_lo
	v_cmpx_lt_u64_e64 s[12:13], v[22:23]
	s_cbranch_execz .LBB4_419
; %bb.410:                              ;   in Loop: Header=BB4_129 Depth=2
	v_lshrrev_b32_e32 v30, 24, v23
	v_bfrev_b32_e32 v3, 1
	s_mov_b32 s25, exec_lo
	s_delay_alu instid0(VALU_DEP_2)
	v_cmpx_ne_u32_e32 0x80, v30
	s_cbranch_execz .LBB4_418
; %bb.411:                              ;   in Loop: Header=BB4_129 Depth=2
	v_and_b32_e32 v3, 0x7c000000, v23
	v_bfe_u32 v64, v23, 24, 2
	s_delay_alu instid0(VALU_DEP_2) | instskip(SKIP_1) | instid1(SALU_CYCLE_1)
	v_cmp_ne_u32_e32 vcc_lo, 0x7c000000, v3
                                        ; implicit-def: $vgpr3
	s_and_saveexec_b32 s26, vcc_lo
	s_xor_b32 s26, exec_lo, s26
	s_cbranch_execz .LBB4_415
; %bb.412:                              ;   in Loop: Header=BB4_129 Depth=2
	v_bfe_u32 v3, v23, 26, 5
	s_mov_b32 s27, exec_lo
	s_delay_alu instid0(VALU_DEP_1)
	v_cmpx_eq_u32_e32 0, v3
; %bb.413:                              ;   in Loop: Header=BB4_129 Depth=2
	v_clz_i32_u32_e32 v3, v64
	s_delay_alu instid0(VALU_DEP_1) | instskip(NEXT) | instid1(VALU_DEP_1)
	v_min_u32_e32 v3, 32, v3
	v_subrev_nc_u32_e32 v64, 29, v3
	s_delay_alu instid0(VALU_DEP_1) | instskip(NEXT) | instid1(VALU_DEP_1)
	v_lshlrev_b64_e32 v[118:119], v64, v[30:31]
	v_dual_sub_nc_u32 v3, 30, v3 :: v_dual_bitop2_b32 v64, 3, v118 bitop3:0x40
; %bb.414:                              ;   in Loop: Header=BB4_129 Depth=2
	s_or_b32 exec_lo, exec_lo, s27
	v_and_b32_e32 v30, 0x80000000, v23
	s_delay_alu instid0(VALU_DEP_1) | instskip(NEXT) | instid1(VALU_DEP_1)
	v_lshl_add_u32 v3, v3, 23, v30
	v_lshl_or_b32 v3, v64, 21, v3
                                        ; implicit-def: $vgpr64
	s_delay_alu instid0(VALU_DEP_1)
	v_add_nc_u32_e32 v3, 0x38000000, v3
.LBB4_415:                              ;   in Loop: Header=BB4_129 Depth=2
	s_and_not1_saveexec_b32 s26, s26
; %bb.416:                              ;   in Loop: Header=BB4_129 Depth=2
	v_cmp_lt_i64_e32 vcc_lo, -1, v[22:23]
	v_cndmask_b32_e32 v3, 0xff800000, v126, vcc_lo
	v_cmp_eq_u32_e32 vcc_lo, 0, v64
	s_delay_alu instid0(VALU_DEP_2)
	v_cndmask_b32_e32 v3, 0x7f800001, v3, vcc_lo
; %bb.417:                              ;   in Loop: Header=BB4_129 Depth=2
	s_or_b32 exec_lo, exec_lo, s26
.LBB4_418:                              ;   in Loop: Header=BB4_129 Depth=2
	s_delay_alu instid0(SALU_CYCLE_1)
	s_or_b32 exec_lo, exec_lo, s25
.LBB4_419:                              ;   in Loop: Header=BB4_129 Depth=2
	s_delay_alu instid0(SALU_CYCLE_1) | instskip(NEXT) | instid1(SALU_CYCLE_1)
	s_or_b32 exec_lo, exec_lo, s10
	s_mov_b32 s10, exec_lo
	v_cmpx_lt_u64_e64 s[12:13], v[18:19]
	s_cbranch_execz .LBB4_429
; %bb.420:                              ;   in Loop: Header=BB4_129 Depth=2
	v_lshrrev_b32_e32 v22, 24, v19
	v_bfrev_b32_e32 v0, 1
	s_mov_b32 s25, exec_lo
	s_delay_alu instid0(VALU_DEP_2)
	v_cmpx_ne_u32_e32 0x80, v22
	s_cbranch_execz .LBB4_428
; %bb.421:                              ;   in Loop: Header=BB4_129 Depth=2
	v_and_b32_e32 v0, 0x7c000000, v19
	v_bfe_u32 v23, v19, 24, 2
	s_delay_alu instid0(VALU_DEP_2) | instskip(SKIP_1) | instid1(SALU_CYCLE_1)
	v_cmp_ne_u32_e32 vcc_lo, 0x7c000000, v0
                                        ; implicit-def: $vgpr0
	s_and_saveexec_b32 s26, vcc_lo
	s_xor_b32 s26, exec_lo, s26
	s_cbranch_execz .LBB4_425
; %bb.422:                              ;   in Loop: Header=BB4_129 Depth=2
	v_bfe_u32 v0, v19, 26, 5
	s_mov_b32 s27, exec_lo
	s_delay_alu instid0(VALU_DEP_1)
	v_cmpx_eq_u32_e32 0, v0
; %bb.423:                              ;   in Loop: Header=BB4_129 Depth=2
	v_clz_i32_u32_e32 v0, v23
	s_delay_alu instid0(VALU_DEP_1) | instskip(NEXT) | instid1(VALU_DEP_1)
	v_min_u32_e32 v0, 32, v0
	v_subrev_nc_u32_e32 v23, 29, v0
	s_delay_alu instid0(VALU_DEP_1) | instskip(NEXT) | instid1(VALU_DEP_1)
	v_lshlrev_b64_e32 v[22:23], v23, v[22:23]
	v_dual_sub_nc_u32 v0, 30, v0 :: v_dual_bitop2_b32 v23, 3, v22 bitop3:0x40
; %bb.424:                              ;   in Loop: Header=BB4_129 Depth=2
	s_or_b32 exec_lo, exec_lo, s27
	v_and_b32_e32 v22, 0x80000000, v19
	s_delay_alu instid0(VALU_DEP_1) | instskip(NEXT) | instid1(VALU_DEP_1)
	v_lshl_add_u32 v0, v0, 23, v22
	v_lshl_or_b32 v0, v23, 21, v0
                                        ; implicit-def: $vgpr23
	s_delay_alu instid0(VALU_DEP_1)
	v_add_nc_u32_e32 v0, 0x38000000, v0
.LBB4_425:                              ;   in Loop: Header=BB4_129 Depth=2
	s_and_not1_saveexec_b32 s26, s26
; %bb.426:                              ;   in Loop: Header=BB4_129 Depth=2
	v_cmp_lt_i64_e32 vcc_lo, -1, v[18:19]
	v_cndmask_b32_e32 v0, 0xff800000, v126, vcc_lo
	v_cmp_eq_u32_e32 vcc_lo, 0, v23
	s_delay_alu instid0(VALU_DEP_2)
	v_cndmask_b32_e32 v0, 0x7f800001, v0, vcc_lo
; %bb.427:                              ;   in Loop: Header=BB4_129 Depth=2
	s_or_b32 exec_lo, exec_lo, s26
.LBB4_428:                              ;   in Loop: Header=BB4_129 Depth=2
	s_delay_alu instid0(SALU_CYCLE_1)
	s_or_b32 exec_lo, exec_lo, s25
.LBB4_429:                              ;   in Loop: Header=BB4_129 Depth=2
	s_delay_alu instid0(SALU_CYCLE_1) | instskip(NEXT) | instid1(VALU_DEP_1)
	s_or_b32 exec_lo, exec_lo, s10
	v_dual_mul_f32 v3, v3, v0 :: v_dual_mov_b32 v19, v65
                                        ; implicit-def: $vgpr30
	s_mov_b32 s10, exec_lo
	s_delay_alu instid0(VALU_DEP_1) | instskip(SKIP_2) | instid1(VALU_DEP_3)
	v_and_b32_e32 v18, 0x7f800000, v3
	v_and_b32_e32 v64, 0x7fffff, v3
	v_lshrrev_b32_e32 v0, 24, v3
	v_cmpx_ne_u64_e32 0x7f800000, v[18:19]
	s_xor_b32 s25, exec_lo, s10
	s_cbranch_execz .LBB4_443
; %bb.430:                              ;   in Loop: Header=BB4_129 Depth=2
	v_and_b32_e32 v18, 0x7fffffff, v3
	v_mov_b32_e32 v19, v65
	v_and_b32_e32 v0, 0x80, v0
                                        ; implicit-def: $vgpr30
	s_mov_b32 s10, exec_lo
	s_delay_alu instid0(VALU_DEP_2)
	v_cmpx_gt_u64_e32 0x47600001, v[18:19]
	s_xor_b32 s26, exec_lo, s10
	s_cbranch_execz .LBB4_440
; %bb.431:                              ;   in Loop: Header=BB4_129 Depth=2
	v_mov_b32_e32 v30, 0
	s_mov_b32 s27, exec_lo
	v_cmpx_ne_u32_e32 0, v3
	s_cbranch_execz .LBB4_439
; %bb.432:                              ;   in Loop: Header=BB4_129 Depth=2
	v_bfe_u32 v3, v3, 23, 8
	v_or_b32_e32 v22, 0x800000, v64
	s_delay_alu instid0(VALU_DEP_2) | instskip(SKIP_1) | instid1(VALU_DEP_2)
	v_sub_nc_u32_e32 v18, 0x71, v3
	v_cmp_gt_u32_e32 vcc_lo, 0x72, v3
	v_cndmask_b32_e32 v18, 0, v18, vcc_lo
	v_cmp_eq_u32_e32 vcc_lo, 0, v3
	v_cndmask_b32_e32 v64, v22, v64, vcc_lo
	s_delay_alu instid0(VALU_DEP_3) | instskip(NEXT) | instid1(VALU_DEP_1)
	v_cndmask_b32_e64 v30, v18, 0x70, vcc_lo
	v_dual_add_nc_u32 v18, 21, v30 :: v_dual_add_nc_u32 v23, 20, v30
	s_delay_alu instid0(VALU_DEP_1) | instskip(NEXT) | instid1(VALU_DEP_2)
	v_lshlrev_b64_e64 v[18:19], v18, -1
	v_lshlrev_b64_e64 v[22:23], v23, 1
	s_delay_alu instid0(VALU_DEP_2) | instskip(NEXT) | instid1(VALU_DEP_3)
	v_bfi_b32 v119, v19, 0, 0
	v_bfi_b32 v118, v18, 0, v64
	v_lshrrev_b64 v[18:19], v30, v[64:65]
	s_delay_alu instid0(VALU_DEP_2) | instskip(NEXT) | instid1(VALU_DEP_2)
	v_cmp_eq_u64_e64 s10, v[118:119], v[22:23]
	v_mov_b64_e32 v[22:23], v[18:19]
	s_and_saveexec_b32 s28, s10
; %bb.433:                              ;   in Loop: Header=BB4_129 Depth=2
	v_bfe_u32 v64, v18, 21, 1
	s_delay_alu instid0(VALU_DEP_1) | instskip(NEXT) | instid1(VALU_DEP_1)
	v_add_nc_u64_e32 v[22:23], v[18:19], v[64:65]
	v_add_nc_u64_e32 v[22:23], -1, v[22:23]
; %bb.434:                              ;   in Loop: Header=BB4_129 Depth=2
	s_or_b32 exec_lo, exec_lo, s28
	v_add_nc_u32_e32 v3, 0xffffff81, v3
	v_lshrrev_b32_e32 v19, 23, v18
	s_mov_b32 s10, exec_lo
	s_delay_alu instid0(VALU_DEP_2) | instskip(NEXT) | instid1(VALU_DEP_1)
	v_cndmask_b32_e64 v3, v3, 0xffffff82, vcc_lo
	v_add3_u32 v23, v30, v3, v19
	v_and_b32_e32 v3, 0x1fffff, v22
	s_delay_alu instid0(VALU_DEP_1) | instskip(NEXT) | instid1(VALU_DEP_1)
	v_dual_add_nc_u32 v22, 14, v23 :: v_dual_add_nc_u32 v64, v3, v18
                                        ; implicit-def: $vgpr18_vgpr19
                                        ; implicit-def: $vgpr3
	v_cmpx_ne_u32_e32 0, v22
	s_xor_b32 s10, exec_lo, s10
; %bb.435:                              ;   in Loop: Header=BB4_129 Depth=2
	s_delay_alu instid0(VALU_DEP_2) | instskip(SKIP_2) | instid1(VALU_DEP_2)
	v_cmp_lt_u64_e32 vcc_lo, 0xffffff, v[64:65]
	v_add_nc_u32_e32 v3, 15, v23
	v_cndmask_b32_e64 v18, 0, 1, vcc_lo
	v_cndmask_b32_e32 v3, v22, v3, vcc_lo
	s_delay_alu instid0(VALU_DEP_2)
	v_lshrrev_b64 v[18:19], v18, v[64:65]
; %bb.436:                              ;   in Loop: Header=BB4_129 Depth=2
	s_and_not1_saveexec_b32 s10, s10
; %bb.437:                              ;   in Loop: Header=BB4_129 Depth=2
	v_mov_b64_e32 v[18:19], v[64:65]
	v_bfe_u32 v3, v64, 23, 1
; %bb.438:                              ;   in Loop: Header=BB4_129 Depth=2
	s_or_b32 exec_lo, exec_lo, s10
	s_delay_alu instid0(VALU_DEP_2) | instskip(NEXT) | instid1(VALU_DEP_2)
	v_lshrrev_b64 v[18:19], 21, v[18:19]
	v_cmp_gt_i32_e32 vcc_lo, 32, v3
	v_min_i32_e32 v22, 31, v3
	v_cmp_eq_u32_e64 s10, 0, v3
	s_delay_alu instid0(VALU_DEP_4) | instskip(NEXT) | instid1(VALU_DEP_3)
	v_cndmask_b32_e32 v18, 3, v18, vcc_lo
	v_dual_cndmask_b32 v19, 0, v19 :: v_dual_lshlrev_b32 v22, 2, v22
	s_delay_alu instid0(VALU_DEP_1) | instskip(NEXT) | instid1(VALU_DEP_2)
	v_and_b32_e32 v22, 0xfc, v22
	v_cmp_eq_u64_e32 vcc_lo, 0, v[18:19]
	s_delay_alu instid0(VALU_DEP_2)
	v_and_or_b32 v3, v18, 3, v22
	s_and_b32 s10, s10, vcc_lo
	s_delay_alu instid0(VALU_DEP_1) | instid1(SALU_CYCLE_1)
	v_cndmask_b32_e64 v3, v3, 0, s10
	s_delay_alu instid0(VALU_DEP_1)
	v_or_b32_e32 v30, v3, v0
.LBB4_439:                              ;   in Loop: Header=BB4_129 Depth=2
	s_or_b32 exec_lo, exec_lo, s27
                                        ; implicit-def: $vgpr0
.LBB4_440:                              ;   in Loop: Header=BB4_129 Depth=2
	s_and_not1_saveexec_b32 s10, s26
; %bb.441:                              ;   in Loop: Header=BB4_129 Depth=2
	v_or_b32_e32 v30, 0x7b, v0
; %bb.442:                              ;   in Loop: Header=BB4_129 Depth=2
	s_or_b32 exec_lo, exec_lo, s10
                                        ; implicit-def: $vgpr3
                                        ; implicit-def: $vgpr0
.LBB4_443:                              ;   in Loop: Header=BB4_129 Depth=2
	s_and_not1_saveexec_b32 s10, s25
	s_cbranch_execz .LBB4_449
; %bb.444:                              ;   in Loop: Header=BB4_129 Depth=2
	s_mov_b32 s25, exec_lo
                                        ; implicit-def: $vgpr30
	v_cmpx_ne_u64_e32 0, v[64:65]
	s_xor_b32 s25, exec_lo, s25
; %bb.445:                              ;   in Loop: Header=BB4_129 Depth=2
	v_or_b32_e32 v30, 0x7f, v0
                                        ; implicit-def: $vgpr3
; %bb.446:                              ;   in Loop: Header=BB4_129 Depth=2
	s_and_not1_saveexec_b32 s25, s25
; %bb.447:                              ;   in Loop: Header=BB4_129 Depth=2
	v_cmp_lt_i32_e32 vcc_lo, -1, v3
	v_cndmask_b32_e32 v30, 0xfc, v68, vcc_lo
; %bb.448:                              ;   in Loop: Header=BB4_129 Depth=2
	s_or_b32 exec_lo, exec_lo, s25
.LBB4_449:                              ;   in Loop: Header=BB4_129 Depth=2
	s_delay_alu instid0(SALU_CYCLE_1) | instskip(SKIP_2) | instid1(VALU_DEP_2)
	s_or_b32 exec_lo, exec_lo, s10
	v_and_b32_e32 v3, 0xff, v24
	v_mov_b32_e32 v0, 0
	v_cmp_ne_u16_e32 vcc_lo, 0, v3
	v_mov_b32_e32 v3, 0
	s_and_saveexec_b32 s10, vcc_lo
	s_cbranch_execz .LBB4_459
; %bb.450:                              ;   in Loop: Header=BB4_129 Depth=2
	v_bfe_i32 v19, v24, 0, 8
	v_bfrev_b32_e32 v3, 1
	s_mov_b32 s25, exec_lo
	s_delay_alu instid0(VALU_DEP_2)
	v_cmpx_ne_u16_e32 0xff80, v19
	s_cbranch_execz .LBB4_458
; %bb.451:                              ;   in Loop: Header=BB4_129 Depth=2
	v_and_b32_e32 v3, 0x7c, v24
	v_and_b32_e32 v18, 3, v24
	s_delay_alu instid0(VALU_DEP_2) | instskip(SKIP_1) | instid1(SALU_CYCLE_1)
	v_cmp_ne_u32_e32 vcc_lo, 0x7c, v3
                                        ; implicit-def: $vgpr3
	s_and_saveexec_b32 s26, vcc_lo
	s_xor_b32 s26, exec_lo, s26
	s_cbranch_execz .LBB4_455
; %bb.452:                              ;   in Loop: Header=BB4_129 Depth=2
	v_bfe_u32 v3, v24, 2, 5
	s_mov_b32 s27, exec_lo
	s_delay_alu instid0(VALU_DEP_1)
	v_cmpx_eq_u32_e32 0, v3
; %bb.453:                              ;   in Loop: Header=BB4_129 Depth=2
	v_clz_i32_u32_e32 v3, v18
	s_delay_alu instid0(VALU_DEP_1) | instskip(NEXT) | instid1(VALU_DEP_1)
	v_min_u32_e32 v3, 32, v3
	v_subrev_nc_u32_e32 v18, 29, v3
	s_delay_alu instid0(VALU_DEP_1) | instskip(NEXT) | instid1(VALU_DEP_1)
	v_lshlrev_b64_e32 v[18:19], v18, v[24:25]
	v_dual_sub_nc_u32 v3, 30, v3 :: v_dual_bitop2_b32 v18, 3, v18 bitop3:0x40
; %bb.454:                              ;   in Loop: Header=BB4_129 Depth=2
	s_or_b32 exec_lo, exec_lo, s27
	v_lshlrev_b32_e32 v19, 24, v24
	s_delay_alu instid0(VALU_DEP_1) | instskip(NEXT) | instid1(VALU_DEP_1)
	v_and_b32_e32 v19, 0x80000000, v19
	v_lshl_add_u32 v3, v3, 23, v19
                                        ; implicit-def: $vgpr19
	s_delay_alu instid0(VALU_DEP_1) | instskip(NEXT) | instid1(VALU_DEP_1)
	v_lshl_or_b32 v3, v18, 21, v3
                                        ; implicit-def: $vgpr18
	v_add_nc_u32_e32 v3, 0x38000000, v3
.LBB4_455:                              ;   in Loop: Header=BB4_129 Depth=2
	s_and_not1_saveexec_b32 s26, s26
; %bb.456:                              ;   in Loop: Header=BB4_129 Depth=2
	v_cmp_lt_i16_e32 vcc_lo, -1, v19
	v_cndmask_b32_e32 v3, 0xff800000, v126, vcc_lo
	v_cmp_eq_u32_e32 vcc_lo, 0, v18
	s_delay_alu instid0(VALU_DEP_2)
	v_cndmask_b32_e32 v3, 0x7f800001, v3, vcc_lo
; %bb.457:                              ;   in Loop: Header=BB4_129 Depth=2
	s_or_b32 exec_lo, exec_lo, s26
.LBB4_458:                              ;   in Loop: Header=BB4_129 Depth=2
	s_delay_alu instid0(SALU_CYCLE_1)
	s_or_b32 exec_lo, exec_lo, s25
.LBB4_459:                              ;   in Loop: Header=BB4_129 Depth=2
	s_delay_alu instid0(SALU_CYCLE_1) | instskip(SKIP_2) | instid1(VALU_DEP_1)
	s_or_b32 exec_lo, exec_lo, s10
	v_and_b32_e32 v18, 0xff, v20
	s_mov_b32 s10, exec_lo
	v_cmpx_ne_u16_e32 0, v18
	s_cbranch_execz .LBB4_469
; %bb.460:                              ;   in Loop: Header=BB4_129 Depth=2
	v_bfe_i32 v19, v20, 0, 8
	v_bfrev_b32_e32 v0, 1
	s_mov_b32 s25, exec_lo
	s_delay_alu instid0(VALU_DEP_2)
	v_cmpx_ne_u16_e32 0xff80, v19
	s_cbranch_execz .LBB4_468
; %bb.461:                              ;   in Loop: Header=BB4_129 Depth=2
	v_and_b32_e32 v0, 0x7c, v20
	v_and_b32_e32 v18, 3, v20
	s_delay_alu instid0(VALU_DEP_2) | instskip(SKIP_1) | instid1(SALU_CYCLE_1)
	v_cmp_ne_u32_e32 vcc_lo, 0x7c, v0
                                        ; implicit-def: $vgpr0
	s_and_saveexec_b32 s26, vcc_lo
	s_xor_b32 s26, exec_lo, s26
	s_cbranch_execz .LBB4_465
; %bb.462:                              ;   in Loop: Header=BB4_129 Depth=2
	v_bfe_u32 v0, v20, 2, 5
	s_mov_b32 s27, exec_lo
	s_delay_alu instid0(VALU_DEP_1)
	v_cmpx_eq_u32_e32 0, v0
; %bb.463:                              ;   in Loop: Header=BB4_129 Depth=2
	v_clz_i32_u32_e32 v0, v18
	s_delay_alu instid0(VALU_DEP_1) | instskip(NEXT) | instid1(VALU_DEP_1)
	v_min_u32_e32 v0, 32, v0
	v_subrev_nc_u32_e32 v18, 29, v0
	s_delay_alu instid0(VALU_DEP_1) | instskip(NEXT) | instid1(VALU_DEP_1)
	v_lshlrev_b64_e32 v[18:19], v18, v[20:21]
	v_dual_sub_nc_u32 v0, 30, v0 :: v_dual_bitop2_b32 v18, 3, v18 bitop3:0x40
; %bb.464:                              ;   in Loop: Header=BB4_129 Depth=2
	s_or_b32 exec_lo, exec_lo, s27
	v_lshlrev_b32_e32 v19, 24, v20
	s_delay_alu instid0(VALU_DEP_1) | instskip(NEXT) | instid1(VALU_DEP_1)
	v_and_b32_e32 v19, 0x80000000, v19
	v_lshl_add_u32 v0, v0, 23, v19
                                        ; implicit-def: $vgpr19
	s_delay_alu instid0(VALU_DEP_1) | instskip(NEXT) | instid1(VALU_DEP_1)
	v_lshl_or_b32 v0, v18, 21, v0
                                        ; implicit-def: $vgpr18
	v_add_nc_u32_e32 v0, 0x38000000, v0
.LBB4_465:                              ;   in Loop: Header=BB4_129 Depth=2
	s_and_not1_saveexec_b32 s26, s26
; %bb.466:                              ;   in Loop: Header=BB4_129 Depth=2
	v_cmp_lt_i16_e32 vcc_lo, -1, v19
	v_cndmask_b32_e32 v0, 0xff800000, v126, vcc_lo
	v_cmp_eq_u32_e32 vcc_lo, 0, v18
	s_delay_alu instid0(VALU_DEP_2)
	v_cndmask_b32_e32 v0, 0x7f800001, v0, vcc_lo
; %bb.467:                              ;   in Loop: Header=BB4_129 Depth=2
	s_or_b32 exec_lo, exec_lo, s26
.LBB4_468:                              ;   in Loop: Header=BB4_129 Depth=2
	s_delay_alu instid0(SALU_CYCLE_1)
	s_or_b32 exec_lo, exec_lo, s25
.LBB4_469:                              ;   in Loop: Header=BB4_129 Depth=2
	s_delay_alu instid0(SALU_CYCLE_1) | instskip(NEXT) | instid1(VALU_DEP_1)
	s_or_b32 exec_lo, exec_lo, s10
	v_dual_mul_f32 v3, v3, v0 :: v_dual_mov_b32 v19, v65
                                        ; implicit-def: $vgpr117
	s_mov_b32 s10, exec_lo
	s_delay_alu instid0(VALU_DEP_1) | instskip(SKIP_2) | instid1(VALU_DEP_3)
	v_and_b32_e32 v18, 0x7f800000, v3
	v_and_b32_e32 v64, 0x7fffff, v3
	v_lshrrev_b32_e32 v0, 24, v3
	v_cmpx_ne_u64_e32 0x7f800000, v[18:19]
	s_xor_b32 s25, exec_lo, s10
	s_cbranch_execz .LBB4_483
; %bb.470:                              ;   in Loop: Header=BB4_129 Depth=2
	v_and_b32_e32 v18, 0x7fffffff, v3
	v_mov_b32_e32 v19, v65
	v_and_b32_e32 v0, 0x80, v0
                                        ; implicit-def: $vgpr117
	s_mov_b32 s10, exec_lo
	s_delay_alu instid0(VALU_DEP_2)
	v_cmpx_gt_u64_e32 0x47600001, v[18:19]
	s_xor_b32 s26, exec_lo, s10
	s_cbranch_execz .LBB4_480
; %bb.471:                              ;   in Loop: Header=BB4_129 Depth=2
	v_mov_b32_e32 v117, 0
	s_mov_b32 s27, exec_lo
	v_cmpx_ne_u32_e32 0, v3
	s_cbranch_execz .LBB4_479
; %bb.472:                              ;   in Loop: Header=BB4_129 Depth=2
	v_bfe_u32 v3, v3, 23, 8
	v_or_b32_e32 v22, 0x800000, v64
	s_delay_alu instid0(VALU_DEP_2) | instskip(SKIP_1) | instid1(VALU_DEP_2)
	v_sub_nc_u32_e32 v18, 0x71, v3
	v_cmp_gt_u32_e32 vcc_lo, 0x72, v3
	v_cndmask_b32_e32 v18, 0, v18, vcc_lo
	v_cmp_eq_u32_e32 vcc_lo, 0, v3
	s_delay_alu instid0(VALU_DEP_2) | instskip(NEXT) | instid1(VALU_DEP_1)
	v_cndmask_b32_e64 v117, v18, 0x70, vcc_lo
	v_dual_cndmask_b32 v64, v22, v64, vcc_lo :: v_dual_add_nc_u32 v18, 21, v117
	v_add_nc_u32_e32 v23, 20, v117
	s_delay_alu instid0(VALU_DEP_2) | instskip(NEXT) | instid1(VALU_DEP_2)
	v_lshlrev_b64_e64 v[18:19], v18, -1
	v_lshlrev_b64_e64 v[22:23], v23, 1
	s_delay_alu instid0(VALU_DEP_2) | instskip(NEXT) | instid1(VALU_DEP_3)
	v_bfi_b32 v119, v19, 0, 0
	v_bfi_b32 v118, v18, 0, v64
	v_lshrrev_b64 v[18:19], v117, v[64:65]
	s_delay_alu instid0(VALU_DEP_2) | instskip(NEXT) | instid1(VALU_DEP_2)
	v_cmp_eq_u64_e64 s10, v[118:119], v[22:23]
	v_mov_b64_e32 v[22:23], v[18:19]
	s_and_saveexec_b32 s28, s10
; %bb.473:                              ;   in Loop: Header=BB4_129 Depth=2
	v_bfe_u32 v64, v18, 21, 1
	s_delay_alu instid0(VALU_DEP_1) | instskip(NEXT) | instid1(VALU_DEP_1)
	v_add_nc_u64_e32 v[22:23], v[18:19], v[64:65]
	v_add_nc_u64_e32 v[22:23], -1, v[22:23]
; %bb.474:                              ;   in Loop: Header=BB4_129 Depth=2
	s_or_b32 exec_lo, exec_lo, s28
	v_add_nc_u32_e32 v3, 0xffffff81, v3
	v_lshrrev_b32_e32 v19, 23, v18
	s_mov_b32 s10, exec_lo
	s_delay_alu instid0(VALU_DEP_2) | instskip(NEXT) | instid1(VALU_DEP_1)
	v_cndmask_b32_e64 v3, v3, 0xffffff82, vcc_lo
	v_add3_u32 v23, v117, v3, v19
	v_and_b32_e32 v3, 0x1fffff, v22
	s_delay_alu instid0(VALU_DEP_1) | instskip(NEXT) | instid1(VALU_DEP_1)
	v_dual_add_nc_u32 v22, 14, v23 :: v_dual_add_nc_u32 v64, v3, v18
                                        ; implicit-def: $vgpr18_vgpr19
                                        ; implicit-def: $vgpr3
	v_cmpx_ne_u32_e32 0, v22
	s_xor_b32 s10, exec_lo, s10
; %bb.475:                              ;   in Loop: Header=BB4_129 Depth=2
	s_delay_alu instid0(VALU_DEP_2) | instskip(SKIP_2) | instid1(VALU_DEP_2)
	v_cmp_lt_u64_e32 vcc_lo, 0xffffff, v[64:65]
	v_add_nc_u32_e32 v3, 15, v23
	v_cndmask_b32_e64 v18, 0, 1, vcc_lo
	v_cndmask_b32_e32 v3, v22, v3, vcc_lo
	s_delay_alu instid0(VALU_DEP_2)
	v_lshrrev_b64 v[18:19], v18, v[64:65]
; %bb.476:                              ;   in Loop: Header=BB4_129 Depth=2
	s_and_not1_saveexec_b32 s10, s10
; %bb.477:                              ;   in Loop: Header=BB4_129 Depth=2
	v_mov_b64_e32 v[18:19], v[64:65]
	v_bfe_u32 v3, v64, 23, 1
; %bb.478:                              ;   in Loop: Header=BB4_129 Depth=2
	s_or_b32 exec_lo, exec_lo, s10
	s_delay_alu instid0(VALU_DEP_2) | instskip(NEXT) | instid1(VALU_DEP_2)
	v_lshrrev_b64 v[18:19], 21, v[18:19]
	v_cmp_gt_i32_e32 vcc_lo, 32, v3
	v_min_i32_e32 v22, 31, v3
	v_cmp_eq_u32_e64 s10, 0, v3
	s_delay_alu instid0(VALU_DEP_4) | instskip(NEXT) | instid1(VALU_DEP_3)
	v_cndmask_b32_e32 v18, 3, v18, vcc_lo
	v_dual_cndmask_b32 v19, 0, v19 :: v_dual_lshlrev_b32 v22, 2, v22
	s_delay_alu instid0(VALU_DEP_1) | instskip(NEXT) | instid1(VALU_DEP_2)
	v_and_b32_e32 v22, 0xfc, v22
	v_cmp_eq_u64_e32 vcc_lo, 0, v[18:19]
	s_delay_alu instid0(VALU_DEP_2)
	v_and_or_b32 v3, v18, 3, v22
	s_and_b32 s10, s10, vcc_lo
	s_delay_alu instid0(VALU_DEP_1) | instid1(SALU_CYCLE_1)
	v_cndmask_b32_e64 v3, v3, 0, s10
	s_delay_alu instid0(VALU_DEP_1)
	v_or_b32_e32 v117, v3, v0
.LBB4_479:                              ;   in Loop: Header=BB4_129 Depth=2
	s_or_b32 exec_lo, exec_lo, s27
                                        ; implicit-def: $vgpr0
.LBB4_480:                              ;   in Loop: Header=BB4_129 Depth=2
	s_and_not1_saveexec_b32 s10, s26
; %bb.481:                              ;   in Loop: Header=BB4_129 Depth=2
	v_or_b32_e32 v117, 0x7b, v0
; %bb.482:                              ;   in Loop: Header=BB4_129 Depth=2
	s_or_b32 exec_lo, exec_lo, s10
                                        ; implicit-def: $vgpr3
                                        ; implicit-def: $vgpr0
.LBB4_483:                              ;   in Loop: Header=BB4_129 Depth=2
	s_and_not1_saveexec_b32 s10, s25
	s_cbranch_execz .LBB4_489
; %bb.484:                              ;   in Loop: Header=BB4_129 Depth=2
	s_mov_b32 s25, exec_lo
                                        ; implicit-def: $vgpr117
	v_cmpx_ne_u64_e32 0, v[64:65]
	s_xor_b32 s25, exec_lo, s25
; %bb.485:                              ;   in Loop: Header=BB4_129 Depth=2
	v_or_b32_e32 v117, 0x7f, v0
                                        ; implicit-def: $vgpr3
; %bb.486:                              ;   in Loop: Header=BB4_129 Depth=2
	s_and_not1_saveexec_b32 s25, s25
; %bb.487:                              ;   in Loop: Header=BB4_129 Depth=2
	v_cmp_lt_i32_e32 vcc_lo, -1, v3
	v_cndmask_b32_e32 v117, 0xfc, v68, vcc_lo
; %bb.488:                              ;   in Loop: Header=BB4_129 Depth=2
	s_or_b32 exec_lo, exec_lo, s25
.LBB4_489:                              ;   in Loop: Header=BB4_129 Depth=2
	s_delay_alu instid0(SALU_CYCLE_1) | instskip(SKIP_3) | instid1(VALU_DEP_2)
	s_or_b32 exec_lo, exec_lo, s10
	v_lshrrev_b16 v64, 8, v24
	v_dual_mov_b32 v0, 0 :: v_dual_mov_b32 v3, 0
	s_mov_b32 s10, exec_lo
	v_cmpx_ne_u16_e32 0, v64
	s_cbranch_execz .LBB4_499
; %bb.490:                              ;   in Loop: Header=BB4_129 Depth=2
	v_bfrev_b32_e32 v3, 1
	s_mov_b32 s25, exec_lo
	v_cmpx_ne_u16_e32 0x80, v64
	s_cbranch_execz .LBB4_498
; %bb.491:                              ;   in Loop: Header=BB4_129 Depth=2
	v_and_b32_e32 v19, 0xffff, v64
	s_delay_alu instid0(VALU_DEP_1) | instskip(SKIP_1) | instid1(VALU_DEP_2)
	v_and_b32_e32 v3, 0x7c, v19
	v_and_b32_e32 v18, 3, v19
	v_cmp_ne_u32_e32 vcc_lo, 0x7c, v3
                                        ; implicit-def: $vgpr3
	s_and_saveexec_b32 s26, vcc_lo
	s_delay_alu instid0(SALU_CYCLE_1)
	s_xor_b32 s26, exec_lo, s26
	s_cbranch_execz .LBB4_495
; %bb.492:                              ;   in Loop: Header=BB4_129 Depth=2
	v_bfe_u32 v3, v19, 2, 5
	s_mov_b32 s27, exec_lo
	s_delay_alu instid0(VALU_DEP_1)
	v_cmpx_eq_u32_e32 0, v3
; %bb.493:                              ;   in Loop: Header=BB4_129 Depth=2
	v_clz_i32_u32_e32 v3, v18
	s_delay_alu instid0(VALU_DEP_1) | instskip(NEXT) | instid1(VALU_DEP_1)
	v_min_u32_e32 v3, 32, v3
	v_subrev_nc_u32_e32 v18, 29, v3
	s_delay_alu instid0(VALU_DEP_1) | instskip(NEXT) | instid1(VALU_DEP_1)
	v_lshlrev_b64_e32 v[18:19], v18, v[64:65]
	v_dual_sub_nc_u32 v3, 30, v3 :: v_dual_bitop2_b32 v18, 3, v18 bitop3:0x40
; %bb.494:                              ;   in Loop: Header=BB4_129 Depth=2
	s_or_b32 exec_lo, exec_lo, s27
	v_lshlrev_b32_e32 v19, 16, v24
	s_delay_alu instid0(VALU_DEP_1) | instskip(NEXT) | instid1(VALU_DEP_1)
	v_and_b32_e32 v19, 0x80000000, v19
	v_lshl_add_u32 v3, v3, 23, v19
	s_delay_alu instid0(VALU_DEP_1) | instskip(NEXT) | instid1(VALU_DEP_1)
	v_lshl_or_b32 v3, v18, 21, v3
                                        ; implicit-def: $vgpr18
	v_add_nc_u32_e32 v3, 0x38000000, v3
.LBB4_495:                              ;   in Loop: Header=BB4_129 Depth=2
	s_and_not1_saveexec_b32 s26, s26
; %bb.496:                              ;   in Loop: Header=BB4_129 Depth=2
	v_cmp_lt_i16_e32 vcc_lo, -1, v24
	v_cndmask_b32_e32 v3, 0xff800000, v126, vcc_lo
	v_cmp_eq_u32_e32 vcc_lo, 0, v18
	s_delay_alu instid0(VALU_DEP_2)
	v_cndmask_b32_e32 v3, 0x7f800001, v3, vcc_lo
; %bb.497:                              ;   in Loop: Header=BB4_129 Depth=2
	s_or_b32 exec_lo, exec_lo, s26
.LBB4_498:                              ;   in Loop: Header=BB4_129 Depth=2
	s_delay_alu instid0(SALU_CYCLE_1)
	s_or_b32 exec_lo, exec_lo, s25
.LBB4_499:                              ;   in Loop: Header=BB4_129 Depth=2
	s_delay_alu instid0(SALU_CYCLE_1) | instskip(SKIP_2) | instid1(VALU_DEP_1)
	s_or_b32 exec_lo, exec_lo, s10
	v_lshrrev_b16 v64, 8, v20
	s_mov_b32 s10, exec_lo
	v_cmpx_ne_u16_e32 0, v64
	s_cbranch_execz .LBB4_509
; %bb.500:                              ;   in Loop: Header=BB4_129 Depth=2
	v_bfrev_b32_e32 v0, 1
	s_mov_b32 s25, exec_lo
	v_cmpx_ne_u16_e32 0x80, v64
	s_cbranch_execz .LBB4_508
; %bb.501:                              ;   in Loop: Header=BB4_129 Depth=2
	v_and_b32_e32 v19, 0xffff, v64
	s_delay_alu instid0(VALU_DEP_1) | instskip(SKIP_1) | instid1(VALU_DEP_2)
	v_and_b32_e32 v0, 0x7c, v19
	v_and_b32_e32 v18, 3, v19
	v_cmp_ne_u32_e32 vcc_lo, 0x7c, v0
                                        ; implicit-def: $vgpr0
	s_and_saveexec_b32 s26, vcc_lo
	s_delay_alu instid0(SALU_CYCLE_1)
	s_xor_b32 s26, exec_lo, s26
	s_cbranch_execz .LBB4_505
; %bb.502:                              ;   in Loop: Header=BB4_129 Depth=2
	v_bfe_u32 v0, v19, 2, 5
	s_mov_b32 s27, exec_lo
	s_delay_alu instid0(VALU_DEP_1)
	v_cmpx_eq_u32_e32 0, v0
; %bb.503:                              ;   in Loop: Header=BB4_129 Depth=2
	v_clz_i32_u32_e32 v0, v18
	s_delay_alu instid0(VALU_DEP_1) | instskip(NEXT) | instid1(VALU_DEP_1)
	v_min_u32_e32 v0, 32, v0
	v_subrev_nc_u32_e32 v18, 29, v0
	s_delay_alu instid0(VALU_DEP_1) | instskip(NEXT) | instid1(VALU_DEP_1)
	v_lshlrev_b64_e32 v[18:19], v18, v[64:65]
	v_dual_sub_nc_u32 v0, 30, v0 :: v_dual_bitop2_b32 v18, 3, v18 bitop3:0x40
; %bb.504:                              ;   in Loop: Header=BB4_129 Depth=2
	s_or_b32 exec_lo, exec_lo, s27
	v_lshlrev_b32_e32 v19, 16, v20
	s_delay_alu instid0(VALU_DEP_1) | instskip(NEXT) | instid1(VALU_DEP_1)
	v_and_b32_e32 v19, 0x80000000, v19
	v_lshl_add_u32 v0, v0, 23, v19
	s_delay_alu instid0(VALU_DEP_1) | instskip(NEXT) | instid1(VALU_DEP_1)
	v_lshl_or_b32 v0, v18, 21, v0
                                        ; implicit-def: $vgpr18
	v_add_nc_u32_e32 v0, 0x38000000, v0
.LBB4_505:                              ;   in Loop: Header=BB4_129 Depth=2
	s_and_not1_saveexec_b32 s26, s26
; %bb.506:                              ;   in Loop: Header=BB4_129 Depth=2
	v_cmp_lt_i16_e32 vcc_lo, -1, v20
	v_cndmask_b32_e32 v0, 0xff800000, v126, vcc_lo
	v_cmp_eq_u32_e32 vcc_lo, 0, v18
	s_delay_alu instid0(VALU_DEP_2)
	v_cndmask_b32_e32 v0, 0x7f800001, v0, vcc_lo
; %bb.507:                              ;   in Loop: Header=BB4_129 Depth=2
	s_or_b32 exec_lo, exec_lo, s26
.LBB4_508:                              ;   in Loop: Header=BB4_129 Depth=2
	s_delay_alu instid0(SALU_CYCLE_1)
	s_or_b32 exec_lo, exec_lo, s25
.LBB4_509:                              ;   in Loop: Header=BB4_129 Depth=2
	s_delay_alu instid0(SALU_CYCLE_1) | instskip(NEXT) | instid1(VALU_DEP_1)
	s_or_b32 exec_lo, exec_lo, s10
	v_dual_mul_f32 v3, v3, v0 :: v_dual_mov_b32 v19, v65
                                        ; implicit-def: $vgpr118
	s_mov_b32 s10, exec_lo
	s_delay_alu instid0(VALU_DEP_1) | instskip(SKIP_2) | instid1(VALU_DEP_3)
	v_and_b32_e32 v18, 0x7f800000, v3
	v_and_b32_e32 v64, 0x7fffff, v3
	v_lshrrev_b32_e32 v0, 24, v3
	v_cmpx_ne_u64_e32 0x7f800000, v[18:19]
	s_xor_b32 s25, exec_lo, s10
	s_cbranch_execz .LBB4_523
; %bb.510:                              ;   in Loop: Header=BB4_129 Depth=2
	v_and_b32_e32 v18, 0x7fffffff, v3
	v_mov_b32_e32 v19, v65
	v_and_b32_e32 v0, 0x80, v0
                                        ; implicit-def: $vgpr118
	s_mov_b32 s10, exec_lo
	s_delay_alu instid0(VALU_DEP_2)
	v_cmpx_gt_u64_e32 0x47600001, v[18:19]
	s_xor_b32 s26, exec_lo, s10
	s_cbranch_execz .LBB4_520
; %bb.511:                              ;   in Loop: Header=BB4_129 Depth=2
	v_mov_b32_e32 v118, 0
	s_mov_b32 s27, exec_lo
	v_cmpx_ne_u32_e32 0, v3
	s_cbranch_execz .LBB4_519
; %bb.512:                              ;   in Loop: Header=BB4_129 Depth=2
	v_bfe_u32 v3, v3, 23, 8
	v_or_b32_e32 v22, 0x800000, v64
	s_delay_alu instid0(VALU_DEP_2) | instskip(SKIP_1) | instid1(VALU_DEP_2)
	v_sub_nc_u32_e32 v18, 0x71, v3
	v_cmp_gt_u32_e32 vcc_lo, 0x72, v3
	v_cndmask_b32_e32 v18, 0, v18, vcc_lo
	v_cmp_eq_u32_e32 vcc_lo, 0, v3
	v_cndmask_b32_e32 v64, v22, v64, vcc_lo
	s_delay_alu instid0(VALU_DEP_3) | instskip(NEXT) | instid1(VALU_DEP_1)
	v_cndmask_b32_e64 v118, v18, 0x70, vcc_lo
	v_dual_add_nc_u32 v18, 21, v118 :: v_dual_add_nc_u32 v23, 20, v118
	s_delay_alu instid0(VALU_DEP_1) | instskip(NEXT) | instid1(VALU_DEP_2)
	v_lshlrev_b64_e64 v[18:19], v18, -1
	v_lshlrev_b64_e64 v[22:23], v23, 1
	s_delay_alu instid0(VALU_DEP_2) | instskip(NEXT) | instid1(VALU_DEP_3)
	v_bfi_b32 v47, v19, 0, 0
	v_bfi_b32 v46, v18, 0, v64
	v_lshrrev_b64 v[18:19], v118, v[64:65]
	s_delay_alu instid0(VALU_DEP_2) | instskip(NEXT) | instid1(VALU_DEP_2)
	v_cmp_eq_u64_e64 s10, v[46:47], v[22:23]
	v_mov_b64_e32 v[22:23], v[18:19]
	s_and_saveexec_b32 s28, s10
; %bb.513:                              ;   in Loop: Header=BB4_129 Depth=2
	v_bfe_u32 v64, v18, 21, 1
	s_delay_alu instid0(VALU_DEP_1) | instskip(NEXT) | instid1(VALU_DEP_1)
	v_add_nc_u64_e32 v[22:23], v[18:19], v[64:65]
	v_add_nc_u64_e32 v[22:23], -1, v[22:23]
; %bb.514:                              ;   in Loop: Header=BB4_129 Depth=2
	s_or_b32 exec_lo, exec_lo, s28
	v_add_nc_u32_e32 v3, 0xffffff81, v3
	v_lshrrev_b32_e32 v19, 23, v18
	s_mov_b32 s10, exec_lo
	s_delay_alu instid0(VALU_DEP_2) | instskip(NEXT) | instid1(VALU_DEP_1)
	v_cndmask_b32_e64 v3, v3, 0xffffff82, vcc_lo
	v_add3_u32 v23, v118, v3, v19
	v_and_b32_e32 v3, 0x1fffff, v22
	s_delay_alu instid0(VALU_DEP_1) | instskip(NEXT) | instid1(VALU_DEP_1)
	v_dual_add_nc_u32 v22, 14, v23 :: v_dual_add_nc_u32 v64, v3, v18
                                        ; implicit-def: $vgpr18_vgpr19
                                        ; implicit-def: $vgpr3
	v_cmpx_ne_u32_e32 0, v22
	s_xor_b32 s10, exec_lo, s10
; %bb.515:                              ;   in Loop: Header=BB4_129 Depth=2
	s_delay_alu instid0(VALU_DEP_2) | instskip(SKIP_2) | instid1(VALU_DEP_2)
	v_cmp_lt_u64_e32 vcc_lo, 0xffffff, v[64:65]
	v_add_nc_u32_e32 v3, 15, v23
	v_cndmask_b32_e64 v18, 0, 1, vcc_lo
	v_cndmask_b32_e32 v3, v22, v3, vcc_lo
	s_delay_alu instid0(VALU_DEP_2)
	v_lshrrev_b64 v[18:19], v18, v[64:65]
; %bb.516:                              ;   in Loop: Header=BB4_129 Depth=2
	s_and_not1_saveexec_b32 s10, s10
; %bb.517:                              ;   in Loop: Header=BB4_129 Depth=2
	v_mov_b64_e32 v[18:19], v[64:65]
	v_bfe_u32 v3, v64, 23, 1
; %bb.518:                              ;   in Loop: Header=BB4_129 Depth=2
	s_or_b32 exec_lo, exec_lo, s10
	s_delay_alu instid0(VALU_DEP_2) | instskip(NEXT) | instid1(VALU_DEP_2)
	v_lshrrev_b64 v[18:19], 21, v[18:19]
	v_cmp_gt_i32_e32 vcc_lo, 32, v3
	v_min_i32_e32 v22, 31, v3
	v_cmp_eq_u32_e64 s10, 0, v3
	s_delay_alu instid0(VALU_DEP_4) | instskip(NEXT) | instid1(VALU_DEP_3)
	v_cndmask_b32_e32 v18, 3, v18, vcc_lo
	v_dual_cndmask_b32 v19, 0, v19 :: v_dual_lshlrev_b32 v22, 2, v22
	s_delay_alu instid0(VALU_DEP_1) | instskip(NEXT) | instid1(VALU_DEP_2)
	v_and_b32_e32 v22, 0xfc, v22
	v_cmp_eq_u64_e32 vcc_lo, 0, v[18:19]
	s_delay_alu instid0(VALU_DEP_2)
	v_and_or_b32 v3, v18, 3, v22
	s_and_b32 s10, s10, vcc_lo
	s_delay_alu instid0(VALU_DEP_1) | instid1(SALU_CYCLE_1)
	v_cndmask_b32_e64 v3, v3, 0, s10
	s_delay_alu instid0(VALU_DEP_1)
	v_or_b32_e32 v118, v3, v0
.LBB4_519:                              ;   in Loop: Header=BB4_129 Depth=2
	s_or_b32 exec_lo, exec_lo, s27
                                        ; implicit-def: $vgpr0
.LBB4_520:                              ;   in Loop: Header=BB4_129 Depth=2
	s_and_not1_saveexec_b32 s10, s26
; %bb.521:                              ;   in Loop: Header=BB4_129 Depth=2
	v_or_b32_e32 v118, 0x7b, v0
; %bb.522:                              ;   in Loop: Header=BB4_129 Depth=2
	s_or_b32 exec_lo, exec_lo, s10
                                        ; implicit-def: $vgpr3
                                        ; implicit-def: $vgpr0
.LBB4_523:                              ;   in Loop: Header=BB4_129 Depth=2
	s_and_not1_saveexec_b32 s10, s25
	s_cbranch_execz .LBB4_529
; %bb.524:                              ;   in Loop: Header=BB4_129 Depth=2
	s_mov_b32 s25, exec_lo
                                        ; implicit-def: $vgpr118
	v_cmpx_ne_u64_e32 0, v[64:65]
	s_xor_b32 s25, exec_lo, s25
; %bb.525:                              ;   in Loop: Header=BB4_129 Depth=2
	v_or_b32_e32 v118, 0x7f, v0
                                        ; implicit-def: $vgpr3
; %bb.526:                              ;   in Loop: Header=BB4_129 Depth=2
	s_and_not1_saveexec_b32 s25, s25
; %bb.527:                              ;   in Loop: Header=BB4_129 Depth=2
	v_cmp_lt_i32_e32 vcc_lo, -1, v3
	v_cndmask_b32_e32 v118, 0xfc, v68, vcc_lo
; %bb.528:                              ;   in Loop: Header=BB4_129 Depth=2
	s_or_b32 exec_lo, exec_lo, s25
.LBB4_529:                              ;   in Loop: Header=BB4_129 Depth=2
	s_delay_alu instid0(SALU_CYCLE_1) | instskip(SKIP_3) | instid1(VALU_DEP_2)
	s_or_b32 exec_lo, exec_lo, s10
	v_dual_lshrrev_b32 v18, 16, v24 :: v_dual_mov_b32 v0, 0
	v_mov_b32_e32 v3, 0
	s_mov_b32 s10, exec_lo
	v_and_b32_e32 v19, 0xff, v18
	s_delay_alu instid0(VALU_DEP_1)
	v_cmpx_ne_u16_e32 0, v19
	s_cbranch_execz .LBB4_539
; %bb.530:                              ;   in Loop: Header=BB4_129 Depth=2
	v_bfrev_b32_e32 v3, 1
	s_mov_b32 s25, exec_lo
	v_cmpx_ne_u16_e32 0x80, v19
	s_cbranch_execz .LBB4_538
; %bb.531:                              ;   in Loop: Header=BB4_129 Depth=2
	v_and_b32_e32 v3, 0x7c0000, v24
	v_bfe_u32 v19, v24, 16, 2
	s_delay_alu instid0(VALU_DEP_2) | instskip(SKIP_1) | instid1(SALU_CYCLE_1)
	v_cmp_ne_u32_e32 vcc_lo, 0x7c0000, v3
                                        ; implicit-def: $vgpr3
	s_and_saveexec_b32 s26, vcc_lo
	s_xor_b32 s26, exec_lo, s26
	s_cbranch_execz .LBB4_535
; %bb.532:                              ;   in Loop: Header=BB4_129 Depth=2
	v_bfe_u32 v3, v24, 18, 5
	s_mov_b32 s27, exec_lo
	s_delay_alu instid0(VALU_DEP_1)
	v_cmpx_eq_u32_e32 0, v3
; %bb.533:                              ;   in Loop: Header=BB4_129 Depth=2
	v_clz_i32_u32_e32 v3, v19
	s_delay_alu instid0(VALU_DEP_1) | instskip(NEXT) | instid1(VALU_DEP_1)
	v_min_u32_e32 v3, 32, v3
	v_subrev_nc_u32_e32 v19, 29, v3
	s_delay_alu instid0(VALU_DEP_1) | instskip(NEXT) | instid1(VALU_DEP_1)
	v_lshlrev_b64_e32 v[22:23], v19, v[18:19]
	v_dual_sub_nc_u32 v3, 30, v3 :: v_dual_bitop2_b32 v19, 3, v22 bitop3:0x40
; %bb.534:                              ;   in Loop: Header=BB4_129 Depth=2
	s_or_b32 exec_lo, exec_lo, s27
	v_lshlrev_b32_e32 v18, 24, v18
	s_delay_alu instid0(VALU_DEP_1) | instskip(NEXT) | instid1(VALU_DEP_1)
	v_and_b32_e32 v18, 0x80000000, v18
	v_lshl_add_u32 v3, v3, 23, v18
                                        ; implicit-def: $vgpr18
	s_delay_alu instid0(VALU_DEP_1) | instskip(NEXT) | instid1(VALU_DEP_1)
	v_lshl_or_b32 v3, v19, 21, v3
                                        ; implicit-def: $vgpr19
	v_add_nc_u32_e32 v3, 0x38000000, v3
.LBB4_535:                              ;   in Loop: Header=BB4_129 Depth=2
	s_and_not1_saveexec_b32 s26, s26
; %bb.536:                              ;   in Loop: Header=BB4_129 Depth=2
	v_bfe_i32 v3, v18, 0, 8
	s_delay_alu instid0(VALU_DEP_1) | instskip(SKIP_2) | instid1(VALU_DEP_2)
	v_cmp_lt_i16_e32 vcc_lo, -1, v3
	v_cndmask_b32_e32 v3, 0xff800000, v126, vcc_lo
	v_cmp_eq_u32_e32 vcc_lo, 0, v19
	v_cndmask_b32_e32 v3, 0x7f800001, v3, vcc_lo
; %bb.537:                              ;   in Loop: Header=BB4_129 Depth=2
	s_or_b32 exec_lo, exec_lo, s26
.LBB4_538:                              ;   in Loop: Header=BB4_129 Depth=2
	s_delay_alu instid0(SALU_CYCLE_1)
	s_or_b32 exec_lo, exec_lo, s25
.LBB4_539:                              ;   in Loop: Header=BB4_129 Depth=2
	s_delay_alu instid0(SALU_CYCLE_1) | instskip(SKIP_2) | instid1(VALU_DEP_1)
	s_or_b32 exec_lo, exec_lo, s10
	v_lshrrev_b32_e32 v18, 16, v20
	s_mov_b32 s10, exec_lo
	v_and_b32_e32 v19, 0xff, v18
	s_delay_alu instid0(VALU_DEP_1)
	v_cmpx_ne_u16_e32 0, v19
	s_cbranch_execz .LBB4_549
; %bb.540:                              ;   in Loop: Header=BB4_129 Depth=2
	v_bfrev_b32_e32 v0, 1
	s_mov_b32 s25, exec_lo
	v_cmpx_ne_u16_e32 0x80, v19
	s_cbranch_execz .LBB4_548
; %bb.541:                              ;   in Loop: Header=BB4_129 Depth=2
	v_and_b32_e32 v0, 0x7c0000, v20
	v_bfe_u32 v19, v20, 16, 2
	s_delay_alu instid0(VALU_DEP_2) | instskip(SKIP_1) | instid1(SALU_CYCLE_1)
	v_cmp_ne_u32_e32 vcc_lo, 0x7c0000, v0
                                        ; implicit-def: $vgpr0
	s_and_saveexec_b32 s26, vcc_lo
	s_xor_b32 s26, exec_lo, s26
	s_cbranch_execz .LBB4_545
; %bb.542:                              ;   in Loop: Header=BB4_129 Depth=2
	v_bfe_u32 v0, v20, 18, 5
	s_mov_b32 s27, exec_lo
	s_delay_alu instid0(VALU_DEP_1)
	v_cmpx_eq_u32_e32 0, v0
; %bb.543:                              ;   in Loop: Header=BB4_129 Depth=2
	v_clz_i32_u32_e32 v0, v19
	s_delay_alu instid0(VALU_DEP_1) | instskip(NEXT) | instid1(VALU_DEP_1)
	v_min_u32_e32 v0, 32, v0
	v_subrev_nc_u32_e32 v19, 29, v0
	s_delay_alu instid0(VALU_DEP_1) | instskip(NEXT) | instid1(VALU_DEP_1)
	v_lshlrev_b64_e32 v[22:23], v19, v[18:19]
	v_dual_sub_nc_u32 v0, 30, v0 :: v_dual_bitop2_b32 v19, 3, v22 bitop3:0x40
; %bb.544:                              ;   in Loop: Header=BB4_129 Depth=2
	s_or_b32 exec_lo, exec_lo, s27
	v_lshlrev_b32_e32 v18, 24, v18
	s_delay_alu instid0(VALU_DEP_1) | instskip(NEXT) | instid1(VALU_DEP_1)
	v_and_b32_e32 v18, 0x80000000, v18
	v_lshl_add_u32 v0, v0, 23, v18
                                        ; implicit-def: $vgpr18
	s_delay_alu instid0(VALU_DEP_1) | instskip(NEXT) | instid1(VALU_DEP_1)
	v_lshl_or_b32 v0, v19, 21, v0
                                        ; implicit-def: $vgpr19
	v_add_nc_u32_e32 v0, 0x38000000, v0
.LBB4_545:                              ;   in Loop: Header=BB4_129 Depth=2
	s_and_not1_saveexec_b32 s26, s26
; %bb.546:                              ;   in Loop: Header=BB4_129 Depth=2
	v_bfe_i32 v0, v18, 0, 8
	s_delay_alu instid0(VALU_DEP_1) | instskip(SKIP_2) | instid1(VALU_DEP_2)
	v_cmp_lt_i16_e32 vcc_lo, -1, v0
	v_cndmask_b32_e32 v0, 0xff800000, v126, vcc_lo
	v_cmp_eq_u32_e32 vcc_lo, 0, v19
	v_cndmask_b32_e32 v0, 0x7f800001, v0, vcc_lo
; %bb.547:                              ;   in Loop: Header=BB4_129 Depth=2
	s_or_b32 exec_lo, exec_lo, s26
.LBB4_548:                              ;   in Loop: Header=BB4_129 Depth=2
	s_delay_alu instid0(SALU_CYCLE_1)
	s_or_b32 exec_lo, exec_lo, s25
.LBB4_549:                              ;   in Loop: Header=BB4_129 Depth=2
	s_delay_alu instid0(SALU_CYCLE_1) | instskip(NEXT) | instid1(VALU_DEP_1)
	s_or_b32 exec_lo, exec_lo, s10
	v_dual_mul_f32 v3, v3, v0 :: v_dual_mov_b32 v19, v65
                                        ; implicit-def: $vgpr119
	s_mov_b32 s10, exec_lo
	s_delay_alu instid0(VALU_DEP_1) | instskip(SKIP_2) | instid1(VALU_DEP_3)
	v_and_b32_e32 v18, 0x7f800000, v3
	v_and_b32_e32 v64, 0x7fffff, v3
	v_lshrrev_b32_e32 v0, 24, v3
	v_cmpx_ne_u64_e32 0x7f800000, v[18:19]
	s_xor_b32 s25, exec_lo, s10
	s_cbranch_execz .LBB4_563
; %bb.550:                              ;   in Loop: Header=BB4_129 Depth=2
	v_and_b32_e32 v18, 0x7fffffff, v3
	v_mov_b32_e32 v19, v65
	v_and_b32_e32 v0, 0x80, v0
                                        ; implicit-def: $vgpr119
	s_mov_b32 s10, exec_lo
	s_delay_alu instid0(VALU_DEP_2)
	v_cmpx_gt_u64_e32 0x47600001, v[18:19]
	s_xor_b32 s26, exec_lo, s10
	s_cbranch_execz .LBB4_560
; %bb.551:                              ;   in Loop: Header=BB4_129 Depth=2
	v_mov_b32_e32 v119, 0
	s_mov_b32 s27, exec_lo
	v_cmpx_ne_u32_e32 0, v3
	s_cbranch_execz .LBB4_559
; %bb.552:                              ;   in Loop: Header=BB4_129 Depth=2
	v_bfe_u32 v3, v3, 23, 8
	v_or_b32_e32 v22, 0x800000, v64
	s_delay_alu instid0(VALU_DEP_2) | instskip(SKIP_1) | instid1(VALU_DEP_2)
	v_sub_nc_u32_e32 v18, 0x71, v3
	v_cmp_gt_u32_e32 vcc_lo, 0x72, v3
	v_cndmask_b32_e32 v18, 0, v18, vcc_lo
	v_cmp_eq_u32_e32 vcc_lo, 0, v3
	s_delay_alu instid0(VALU_DEP_2) | instskip(NEXT) | instid1(VALU_DEP_1)
	v_cndmask_b32_e64 v119, v18, 0x70, vcc_lo
	v_dual_cndmask_b32 v64, v22, v64, vcc_lo :: v_dual_add_nc_u32 v18, 21, v119
	v_add_nc_u32_e32 v23, 20, v119
	s_delay_alu instid0(VALU_DEP_2) | instskip(NEXT) | instid1(VALU_DEP_2)
	v_lshlrev_b64_e64 v[18:19], v18, -1
	v_lshlrev_b64_e64 v[22:23], v23, 1
	s_delay_alu instid0(VALU_DEP_2) | instskip(NEXT) | instid1(VALU_DEP_3)
	v_bfi_b32 v47, v19, 0, 0
	v_bfi_b32 v46, v18, 0, v64
	v_lshrrev_b64 v[18:19], v119, v[64:65]
	s_delay_alu instid0(VALU_DEP_2) | instskip(NEXT) | instid1(VALU_DEP_2)
	v_cmp_eq_u64_e64 s10, v[46:47], v[22:23]
	v_mov_b64_e32 v[22:23], v[18:19]
	s_and_saveexec_b32 s28, s10
; %bb.553:                              ;   in Loop: Header=BB4_129 Depth=2
	v_bfe_u32 v64, v18, 21, 1
	s_delay_alu instid0(VALU_DEP_1) | instskip(NEXT) | instid1(VALU_DEP_1)
	v_add_nc_u64_e32 v[22:23], v[18:19], v[64:65]
	v_add_nc_u64_e32 v[22:23], -1, v[22:23]
; %bb.554:                              ;   in Loop: Header=BB4_129 Depth=2
	s_or_b32 exec_lo, exec_lo, s28
	v_add_nc_u32_e32 v3, 0xffffff81, v3
	v_lshrrev_b32_e32 v19, 23, v18
	s_mov_b32 s10, exec_lo
	s_delay_alu instid0(VALU_DEP_2) | instskip(NEXT) | instid1(VALU_DEP_1)
	v_cndmask_b32_e64 v3, v3, 0xffffff82, vcc_lo
	v_add3_u32 v23, v119, v3, v19
	v_and_b32_e32 v3, 0x1fffff, v22
	s_delay_alu instid0(VALU_DEP_1) | instskip(NEXT) | instid1(VALU_DEP_1)
	v_dual_add_nc_u32 v22, 14, v23 :: v_dual_add_nc_u32 v64, v3, v18
                                        ; implicit-def: $vgpr18_vgpr19
                                        ; implicit-def: $vgpr3
	v_cmpx_ne_u32_e32 0, v22
	s_xor_b32 s10, exec_lo, s10
; %bb.555:                              ;   in Loop: Header=BB4_129 Depth=2
	s_delay_alu instid0(VALU_DEP_2) | instskip(SKIP_2) | instid1(VALU_DEP_2)
	v_cmp_lt_u64_e32 vcc_lo, 0xffffff, v[64:65]
	v_add_nc_u32_e32 v3, 15, v23
	v_cndmask_b32_e64 v18, 0, 1, vcc_lo
	v_cndmask_b32_e32 v3, v22, v3, vcc_lo
	s_delay_alu instid0(VALU_DEP_2)
	v_lshrrev_b64 v[18:19], v18, v[64:65]
; %bb.556:                              ;   in Loop: Header=BB4_129 Depth=2
	s_and_not1_saveexec_b32 s10, s10
; %bb.557:                              ;   in Loop: Header=BB4_129 Depth=2
	v_mov_b64_e32 v[18:19], v[64:65]
	v_bfe_u32 v3, v64, 23, 1
; %bb.558:                              ;   in Loop: Header=BB4_129 Depth=2
	s_or_b32 exec_lo, exec_lo, s10
	s_delay_alu instid0(VALU_DEP_2) | instskip(NEXT) | instid1(VALU_DEP_2)
	v_lshrrev_b64 v[18:19], 21, v[18:19]
	v_cmp_gt_i32_e32 vcc_lo, 32, v3
	v_min_i32_e32 v22, 31, v3
	v_cmp_eq_u32_e64 s10, 0, v3
	s_delay_alu instid0(VALU_DEP_4) | instskip(NEXT) | instid1(VALU_DEP_3)
	v_cndmask_b32_e32 v18, 3, v18, vcc_lo
	v_dual_cndmask_b32 v19, 0, v19 :: v_dual_lshlrev_b32 v22, 2, v22
	s_delay_alu instid0(VALU_DEP_1) | instskip(NEXT) | instid1(VALU_DEP_2)
	v_and_b32_e32 v22, 0xfc, v22
	v_cmp_eq_u64_e32 vcc_lo, 0, v[18:19]
	s_delay_alu instid0(VALU_DEP_2)
	v_and_or_b32 v3, v18, 3, v22
	s_and_b32 s10, s10, vcc_lo
	s_delay_alu instid0(VALU_DEP_1) | instid1(SALU_CYCLE_1)
	v_cndmask_b32_e64 v3, v3, 0, s10
	s_delay_alu instid0(VALU_DEP_1)
	v_or_b32_e32 v119, v3, v0
.LBB4_559:                              ;   in Loop: Header=BB4_129 Depth=2
	s_or_b32 exec_lo, exec_lo, s27
                                        ; implicit-def: $vgpr0
.LBB4_560:                              ;   in Loop: Header=BB4_129 Depth=2
	s_and_not1_saveexec_b32 s10, s26
; %bb.561:                              ;   in Loop: Header=BB4_129 Depth=2
	v_or_b32_e32 v119, 0x7b, v0
; %bb.562:                              ;   in Loop: Header=BB4_129 Depth=2
	s_or_b32 exec_lo, exec_lo, s10
                                        ; implicit-def: $vgpr3
                                        ; implicit-def: $vgpr0
.LBB4_563:                              ;   in Loop: Header=BB4_129 Depth=2
	s_and_not1_saveexec_b32 s10, s25
	s_cbranch_execz .LBB4_569
; %bb.564:                              ;   in Loop: Header=BB4_129 Depth=2
	s_mov_b32 s25, exec_lo
                                        ; implicit-def: $vgpr119
	v_cmpx_ne_u64_e32 0, v[64:65]
	s_xor_b32 s25, exec_lo, s25
; %bb.565:                              ;   in Loop: Header=BB4_129 Depth=2
	v_or_b32_e32 v119, 0x7f, v0
                                        ; implicit-def: $vgpr3
; %bb.566:                              ;   in Loop: Header=BB4_129 Depth=2
	s_and_not1_saveexec_b32 s25, s25
; %bb.567:                              ;   in Loop: Header=BB4_129 Depth=2
	v_cmp_lt_i32_e32 vcc_lo, -1, v3
	v_cndmask_b32_e32 v119, 0xfc, v68, vcc_lo
; %bb.568:                              ;   in Loop: Header=BB4_129 Depth=2
	s_or_b32 exec_lo, exec_lo, s25
.LBB4_569:                              ;   in Loop: Header=BB4_129 Depth=2
	s_delay_alu instid0(SALU_CYCLE_1)
	s_or_b32 exec_lo, exec_lo, s10
	v_dual_mov_b32 v0, 0 :: v_dual_mov_b32 v3, 0
	s_mov_b32 s10, exec_lo
	v_cmpx_lt_u32_e32 0xffffff, v24
	s_cbranch_execz .LBB4_579
; %bb.570:                              ;   in Loop: Header=BB4_129 Depth=2
	v_lshrrev_b32_e32 v18, 24, v24
	v_bfrev_b32_e32 v3, 1
	s_mov_b32 s25, exec_lo
	s_delay_alu instid0(VALU_DEP_2)
	v_cmpx_ne_u32_e32 0x80, v18
	s_cbranch_execz .LBB4_578
; %bb.571:                              ;   in Loop: Header=BB4_129 Depth=2
	v_and_b32_e32 v3, 0x7c000000, v24
	v_bfe_u32 v19, v24, 24, 2
	s_delay_alu instid0(VALU_DEP_2) | instskip(SKIP_1) | instid1(SALU_CYCLE_1)
	v_cmp_ne_u32_e32 vcc_lo, 0x7c000000, v3
                                        ; implicit-def: $vgpr3
	s_and_saveexec_b32 s26, vcc_lo
	s_xor_b32 s26, exec_lo, s26
	s_cbranch_execz .LBB4_575
; %bb.572:                              ;   in Loop: Header=BB4_129 Depth=2
	v_bfe_u32 v3, v24, 26, 5
	s_mov_b32 s27, exec_lo
	s_delay_alu instid0(VALU_DEP_1)
	v_cmpx_eq_u32_e32 0, v3
; %bb.573:                              ;   in Loop: Header=BB4_129 Depth=2
	v_clz_i32_u32_e32 v3, v19
	s_delay_alu instid0(VALU_DEP_1) | instskip(NEXT) | instid1(VALU_DEP_1)
	v_min_u32_e32 v3, 32, v3
	v_subrev_nc_u32_e32 v19, 29, v3
	s_delay_alu instid0(VALU_DEP_1) | instskip(NEXT) | instid1(VALU_DEP_1)
	v_lshlrev_b64_e32 v[18:19], v19, v[18:19]
	v_dual_sub_nc_u32 v3, 30, v3 :: v_dual_bitop2_b32 v19, 3, v18 bitop3:0x40
; %bb.574:                              ;   in Loop: Header=BB4_129 Depth=2
	s_or_b32 exec_lo, exec_lo, s27
	v_and_b32_e32 v18, 0x80000000, v24
	s_delay_alu instid0(VALU_DEP_1) | instskip(NEXT) | instid1(VALU_DEP_1)
	v_lshl_add_u32 v3, v3, 23, v18
	v_lshl_or_b32 v3, v19, 21, v3
                                        ; implicit-def: $vgpr19
	s_delay_alu instid0(VALU_DEP_1)
	v_add_nc_u32_e32 v3, 0x38000000, v3
.LBB4_575:                              ;   in Loop: Header=BB4_129 Depth=2
	s_and_not1_saveexec_b32 s26, s26
; %bb.576:                              ;   in Loop: Header=BB4_129 Depth=2
	v_cmp_lt_i32_e32 vcc_lo, -1, v24
	v_cndmask_b32_e32 v3, 0xff800000, v126, vcc_lo
	v_cmp_eq_u32_e32 vcc_lo, 0, v19
	s_delay_alu instid0(VALU_DEP_2)
	v_cndmask_b32_e32 v3, 0x7f800001, v3, vcc_lo
; %bb.577:                              ;   in Loop: Header=BB4_129 Depth=2
	s_or_b32 exec_lo, exec_lo, s26
.LBB4_578:                              ;   in Loop: Header=BB4_129 Depth=2
	s_delay_alu instid0(SALU_CYCLE_1)
	s_or_b32 exec_lo, exec_lo, s25
.LBB4_579:                              ;   in Loop: Header=BB4_129 Depth=2
	s_delay_alu instid0(SALU_CYCLE_1) | instskip(NEXT) | instid1(SALU_CYCLE_1)
	s_or_b32 exec_lo, exec_lo, s10
	s_mov_b32 s10, exec_lo
	v_cmpx_lt_u32_e32 0xffffff, v20
	s_cbranch_execz .LBB4_589
; %bb.580:                              ;   in Loop: Header=BB4_129 Depth=2
	v_lshrrev_b32_e32 v18, 24, v20
	v_bfrev_b32_e32 v0, 1
	s_mov_b32 s25, exec_lo
	s_delay_alu instid0(VALU_DEP_2)
	v_cmpx_ne_u32_e32 0x80, v18
	s_cbranch_execz .LBB4_588
; %bb.581:                              ;   in Loop: Header=BB4_129 Depth=2
	v_and_b32_e32 v0, 0x7c000000, v20
	v_bfe_u32 v19, v20, 24, 2
	s_delay_alu instid0(VALU_DEP_2) | instskip(SKIP_1) | instid1(SALU_CYCLE_1)
	v_cmp_ne_u32_e32 vcc_lo, 0x7c000000, v0
                                        ; implicit-def: $vgpr0
	s_and_saveexec_b32 s26, vcc_lo
	s_xor_b32 s26, exec_lo, s26
	s_cbranch_execz .LBB4_585
; %bb.582:                              ;   in Loop: Header=BB4_129 Depth=2
	v_bfe_u32 v0, v20, 26, 5
	s_mov_b32 s27, exec_lo
	s_delay_alu instid0(VALU_DEP_1)
	v_cmpx_eq_u32_e32 0, v0
; %bb.583:                              ;   in Loop: Header=BB4_129 Depth=2
	v_clz_i32_u32_e32 v0, v19
	s_delay_alu instid0(VALU_DEP_1) | instskip(NEXT) | instid1(VALU_DEP_1)
	v_min_u32_e32 v0, 32, v0
	v_subrev_nc_u32_e32 v19, 29, v0
	s_delay_alu instid0(VALU_DEP_1) | instskip(NEXT) | instid1(VALU_DEP_1)
	v_lshlrev_b64_e32 v[18:19], v19, v[18:19]
	v_dual_sub_nc_u32 v0, 30, v0 :: v_dual_bitop2_b32 v19, 3, v18 bitop3:0x40
; %bb.584:                              ;   in Loop: Header=BB4_129 Depth=2
	s_or_b32 exec_lo, exec_lo, s27
	v_and_b32_e32 v18, 0x80000000, v20
	s_delay_alu instid0(VALU_DEP_1) | instskip(NEXT) | instid1(VALU_DEP_1)
	v_lshl_add_u32 v0, v0, 23, v18
	v_lshl_or_b32 v0, v19, 21, v0
                                        ; implicit-def: $vgpr19
	s_delay_alu instid0(VALU_DEP_1)
	v_add_nc_u32_e32 v0, 0x38000000, v0
.LBB4_585:                              ;   in Loop: Header=BB4_129 Depth=2
	s_and_not1_saveexec_b32 s26, s26
; %bb.586:                              ;   in Loop: Header=BB4_129 Depth=2
	v_cmp_lt_i32_e32 vcc_lo, -1, v20
	v_cndmask_b32_e32 v0, 0xff800000, v126, vcc_lo
	v_cmp_eq_u32_e32 vcc_lo, 0, v19
	s_delay_alu instid0(VALU_DEP_2)
	v_cndmask_b32_e32 v0, 0x7f800001, v0, vcc_lo
; %bb.587:                              ;   in Loop: Header=BB4_129 Depth=2
	s_or_b32 exec_lo, exec_lo, s26
.LBB4_588:                              ;   in Loop: Header=BB4_129 Depth=2
	s_delay_alu instid0(SALU_CYCLE_1)
	s_or_b32 exec_lo, exec_lo, s25
.LBB4_589:                              ;   in Loop: Header=BB4_129 Depth=2
	s_delay_alu instid0(SALU_CYCLE_1) | instskip(NEXT) | instid1(VALU_DEP_1)
	s_or_b32 exec_lo, exec_lo, s10
	v_dual_mul_f32 v3, v3, v0 :: v_dual_mov_b32 v19, v65
                                        ; implicit-def: $vgpr45
	s_mov_b32 s10, exec_lo
	s_delay_alu instid0(VALU_DEP_1) | instskip(SKIP_2) | instid1(VALU_DEP_3)
	v_and_b32_e32 v18, 0x7f800000, v3
	v_and_b32_e32 v64, 0x7fffff, v3
	v_lshrrev_b32_e32 v0, 24, v3
	v_cmpx_ne_u64_e32 0x7f800000, v[18:19]
	s_xor_b32 s25, exec_lo, s10
	s_cbranch_execz .LBB4_603
; %bb.590:                              ;   in Loop: Header=BB4_129 Depth=2
	v_and_b32_e32 v18, 0x7fffffff, v3
	v_mov_b32_e32 v19, v65
	v_and_b32_e32 v0, 0x80, v0
                                        ; implicit-def: $vgpr45
	s_mov_b32 s10, exec_lo
	s_delay_alu instid0(VALU_DEP_2)
	v_cmpx_gt_u64_e32 0x47600001, v[18:19]
	s_xor_b32 s26, exec_lo, s10
	s_cbranch_execz .LBB4_600
; %bb.591:                              ;   in Loop: Header=BB4_129 Depth=2
	v_mov_b32_e32 v45, 0
	s_mov_b32 s27, exec_lo
	v_cmpx_ne_u32_e32 0, v3
	s_cbranch_execz .LBB4_599
; %bb.592:                              ;   in Loop: Header=BB4_129 Depth=2
	v_bfe_u32 v3, v3, 23, 8
	v_or_b32_e32 v22, 0x800000, v64
	s_delay_alu instid0(VALU_DEP_2) | instskip(SKIP_1) | instid1(VALU_DEP_2)
	v_sub_nc_u32_e32 v18, 0x71, v3
	v_cmp_gt_u32_e32 vcc_lo, 0x72, v3
	v_cndmask_b32_e32 v18, 0, v18, vcc_lo
	v_cmp_eq_u32_e32 vcc_lo, 0, v3
	s_delay_alu instid0(VALU_DEP_2) | instskip(NEXT) | instid1(VALU_DEP_1)
	v_cndmask_b32_e64 v45, v18, 0x70, vcc_lo
	v_dual_cndmask_b32 v64, v22, v64, vcc_lo :: v_dual_add_nc_u32 v18, 21, v45
	v_add_nc_u32_e32 v23, 20, v45
	s_delay_alu instid0(VALU_DEP_2) | instskip(NEXT) | instid1(VALU_DEP_2)
	v_lshlrev_b64_e64 v[18:19], v18, -1
	v_lshlrev_b64_e64 v[22:23], v23, 1
	s_delay_alu instid0(VALU_DEP_2) | instskip(NEXT) | instid1(VALU_DEP_3)
	v_bfi_b32 v47, v19, 0, 0
	v_bfi_b32 v46, v18, 0, v64
	v_lshrrev_b64 v[18:19], v45, v[64:65]
	s_delay_alu instid0(VALU_DEP_2) | instskip(NEXT) | instid1(VALU_DEP_2)
	v_cmp_eq_u64_e64 s10, v[46:47], v[22:23]
	v_mov_b64_e32 v[22:23], v[18:19]
	s_and_saveexec_b32 s28, s10
; %bb.593:                              ;   in Loop: Header=BB4_129 Depth=2
	v_bfe_u32 v64, v18, 21, 1
	s_delay_alu instid0(VALU_DEP_1) | instskip(NEXT) | instid1(VALU_DEP_1)
	v_add_nc_u64_e32 v[22:23], v[18:19], v[64:65]
	v_add_nc_u64_e32 v[22:23], -1, v[22:23]
; %bb.594:                              ;   in Loop: Header=BB4_129 Depth=2
	s_or_b32 exec_lo, exec_lo, s28
	v_add_nc_u32_e32 v3, 0xffffff81, v3
	v_lshrrev_b32_e32 v19, 23, v18
	s_mov_b32 s10, exec_lo
	s_delay_alu instid0(VALU_DEP_2) | instskip(NEXT) | instid1(VALU_DEP_1)
	v_cndmask_b32_e64 v3, v3, 0xffffff82, vcc_lo
	v_add3_u32 v23, v45, v3, v19
	v_and_b32_e32 v3, 0x1fffff, v22
	s_delay_alu instid0(VALU_DEP_1) | instskip(NEXT) | instid1(VALU_DEP_1)
	v_dual_add_nc_u32 v22, 14, v23 :: v_dual_add_nc_u32 v64, v3, v18
                                        ; implicit-def: $vgpr18_vgpr19
                                        ; implicit-def: $vgpr3
	v_cmpx_ne_u32_e32 0, v22
	s_xor_b32 s10, exec_lo, s10
; %bb.595:                              ;   in Loop: Header=BB4_129 Depth=2
	s_delay_alu instid0(VALU_DEP_2) | instskip(SKIP_2) | instid1(VALU_DEP_2)
	v_cmp_lt_u64_e32 vcc_lo, 0xffffff, v[64:65]
	v_add_nc_u32_e32 v3, 15, v23
	v_cndmask_b32_e64 v18, 0, 1, vcc_lo
	v_cndmask_b32_e32 v3, v22, v3, vcc_lo
	s_delay_alu instid0(VALU_DEP_2)
	v_lshrrev_b64 v[18:19], v18, v[64:65]
; %bb.596:                              ;   in Loop: Header=BB4_129 Depth=2
	s_and_not1_saveexec_b32 s10, s10
; %bb.597:                              ;   in Loop: Header=BB4_129 Depth=2
	v_mov_b64_e32 v[18:19], v[64:65]
	v_bfe_u32 v3, v64, 23, 1
; %bb.598:                              ;   in Loop: Header=BB4_129 Depth=2
	s_or_b32 exec_lo, exec_lo, s10
	s_delay_alu instid0(VALU_DEP_2) | instskip(NEXT) | instid1(VALU_DEP_2)
	v_lshrrev_b64 v[18:19], 21, v[18:19]
	v_cmp_gt_i32_e32 vcc_lo, 32, v3
	v_min_i32_e32 v22, 31, v3
	v_cmp_eq_u32_e64 s10, 0, v3
	s_delay_alu instid0(VALU_DEP_4) | instskip(NEXT) | instid1(VALU_DEP_3)
	v_cndmask_b32_e32 v18, 3, v18, vcc_lo
	v_dual_cndmask_b32 v19, 0, v19 :: v_dual_lshlrev_b32 v22, 2, v22
	s_delay_alu instid0(VALU_DEP_1) | instskip(NEXT) | instid1(VALU_DEP_2)
	v_and_b32_e32 v22, 0xfc, v22
	v_cmp_eq_u64_e32 vcc_lo, 0, v[18:19]
	s_delay_alu instid0(VALU_DEP_2)
	v_and_or_b32 v3, v18, 3, v22
	s_and_b32 s10, s10, vcc_lo
	s_delay_alu instid0(VALU_DEP_1) | instid1(SALU_CYCLE_1)
	v_cndmask_b32_e64 v3, v3, 0, s10
	s_delay_alu instid0(VALU_DEP_1)
	v_or_b32_e32 v45, v3, v0
.LBB4_599:                              ;   in Loop: Header=BB4_129 Depth=2
	s_or_b32 exec_lo, exec_lo, s27
                                        ; implicit-def: $vgpr0
.LBB4_600:                              ;   in Loop: Header=BB4_129 Depth=2
	s_and_not1_saveexec_b32 s10, s26
; %bb.601:                              ;   in Loop: Header=BB4_129 Depth=2
	v_or_b32_e32 v45, 0x7b, v0
; %bb.602:                              ;   in Loop: Header=BB4_129 Depth=2
	s_or_b32 exec_lo, exec_lo, s10
                                        ; implicit-def: $vgpr3
                                        ; implicit-def: $vgpr0
.LBB4_603:                              ;   in Loop: Header=BB4_129 Depth=2
	s_and_not1_saveexec_b32 s10, s25
	s_cbranch_execz .LBB4_609
; %bb.604:                              ;   in Loop: Header=BB4_129 Depth=2
	s_mov_b32 s25, exec_lo
                                        ; implicit-def: $vgpr45
	v_cmpx_ne_u64_e32 0, v[64:65]
	s_xor_b32 s25, exec_lo, s25
; %bb.605:                              ;   in Loop: Header=BB4_129 Depth=2
	v_or_b32_e32 v45, 0x7f, v0
                                        ; implicit-def: $vgpr3
; %bb.606:                              ;   in Loop: Header=BB4_129 Depth=2
	s_and_not1_saveexec_b32 s25, s25
; %bb.607:                              ;   in Loop: Header=BB4_129 Depth=2
	v_cmp_lt_i32_e32 vcc_lo, -1, v3
	v_cndmask_b32_e32 v45, 0xfc, v68, vcc_lo
; %bb.608:                              ;   in Loop: Header=BB4_129 Depth=2
	s_or_b32 exec_lo, exec_lo, s25
.LBB4_609:                              ;   in Loop: Header=BB4_129 Depth=2
	s_delay_alu instid0(SALU_CYCLE_1) | instskip(SKIP_4) | instid1(VALU_DEP_3)
	s_or_b32 exec_lo, exec_lo, s10
	v_and_b32_e32 v18, 0xff, v25
	v_dual_mov_b32 v64, v25 :: v_dual_mov_b32 v3, 0
	v_mov_b32_e32 v0, 0
	s_mov_b32 s10, exec_lo
	v_cmpx_ne_u16_e32 0, v18
	s_cbranch_execz .LBB4_619
; %bb.610:                              ;   in Loop: Header=BB4_129 Depth=2
	v_bfrev_b32_e32 v0, 1
	s_mov_b32 s25, exec_lo
	v_cmpx_ne_u16_e32 0x80, v18
	s_cbranch_execz .LBB4_618
; %bb.611:                              ;   in Loop: Header=BB4_129 Depth=2
	v_and_b32_e32 v0, 0x7c, v25
	v_and_b32_e32 v18, 3, v25
	s_delay_alu instid0(VALU_DEP_2) | instskip(SKIP_1) | instid1(SALU_CYCLE_1)
	v_cmp_ne_u32_e32 vcc_lo, 0x7c, v0
                                        ; implicit-def: $vgpr0
	s_and_saveexec_b32 s26, vcc_lo
	s_xor_b32 s26, exec_lo, s26
	s_cbranch_execz .LBB4_615
; %bb.612:                              ;   in Loop: Header=BB4_129 Depth=2
	v_bfe_u32 v0, v25, 2, 5
	s_mov_b32 s27, exec_lo
	s_delay_alu instid0(VALU_DEP_1)
	v_cmpx_eq_u32_e32 0, v0
; %bb.613:                              ;   in Loop: Header=BB4_129 Depth=2
	v_clz_i32_u32_e32 v0, v18
	s_delay_alu instid0(VALU_DEP_1) | instskip(NEXT) | instid1(VALU_DEP_1)
	v_min_u32_e32 v0, 32, v0
	v_subrev_nc_u32_e32 v18, 29, v0
	s_delay_alu instid0(VALU_DEP_1) | instskip(NEXT) | instid1(VALU_DEP_1)
	v_lshlrev_b64_e32 v[18:19], v18, v[64:65]
	v_dual_sub_nc_u32 v0, 30, v0 :: v_dual_bitop2_b32 v18, 3, v18 bitop3:0x40
; %bb.614:                              ;   in Loop: Header=BB4_129 Depth=2
	s_or_b32 exec_lo, exec_lo, s27
	v_lshlrev_b32_e32 v19, 24, v25
	s_delay_alu instid0(VALU_DEP_1) | instskip(NEXT) | instid1(VALU_DEP_1)
	v_and_b32_e32 v19, 0x80000000, v19
	v_lshl_add_u32 v0, v0, 23, v19
	s_delay_alu instid0(VALU_DEP_1) | instskip(NEXT) | instid1(VALU_DEP_1)
	v_lshl_or_b32 v0, v18, 21, v0
                                        ; implicit-def: $vgpr18
	v_add_nc_u32_e32 v0, 0x38000000, v0
.LBB4_615:                              ;   in Loop: Header=BB4_129 Depth=2
	s_and_not1_saveexec_b32 s26, s26
; %bb.616:                              ;   in Loop: Header=BB4_129 Depth=2
	v_bfe_i32 v0, v25, 0, 8
	s_delay_alu instid0(VALU_DEP_1) | instskip(SKIP_2) | instid1(VALU_DEP_2)
	v_cmp_lt_i16_e32 vcc_lo, -1, v0
	v_cndmask_b32_e32 v0, 0xff800000, v126, vcc_lo
	v_cmp_eq_u32_e32 vcc_lo, 0, v18
	v_cndmask_b32_e32 v0, 0x7f800001, v0, vcc_lo
; %bb.617:                              ;   in Loop: Header=BB4_129 Depth=2
	s_or_b32 exec_lo, exec_lo, s26
.LBB4_618:                              ;   in Loop: Header=BB4_129 Depth=2
	s_delay_alu instid0(SALU_CYCLE_1)
	s_or_b32 exec_lo, exec_lo, s25
.LBB4_619:                              ;   in Loop: Header=BB4_129 Depth=2
	s_delay_alu instid0(SALU_CYCLE_1) | instskip(SKIP_2) | instid1(VALU_DEP_1)
	s_or_b32 exec_lo, exec_lo, s10
	v_and_b32_e32 v18, 0xff, v21
	s_mov_b32 s10, exec_lo
	v_cmpx_ne_u16_e32 0, v18
	s_cbranch_execz .LBB4_629
; %bb.620:                              ;   in Loop: Header=BB4_129 Depth=2
	v_bfrev_b32_e32 v3, 1
	s_mov_b32 s25, exec_lo
	v_cmpx_ne_u16_e32 0x80, v18
	s_cbranch_execz .LBB4_628
; %bb.621:                              ;   in Loop: Header=BB4_129 Depth=2
	v_and_b32_e32 v3, 0x7c, v21
	v_and_b32_e32 v18, 3, v21
	s_delay_alu instid0(VALU_DEP_2) | instskip(SKIP_1) | instid1(SALU_CYCLE_1)
	v_cmp_ne_u32_e32 vcc_lo, 0x7c, v3
                                        ; implicit-def: $vgpr3
	s_and_saveexec_b32 s26, vcc_lo
	s_xor_b32 s26, exec_lo, s26
	s_cbranch_execz .LBB4_625
; %bb.622:                              ;   in Loop: Header=BB4_129 Depth=2
	v_bfe_u32 v3, v21, 2, 5
	s_mov_b32 s27, exec_lo
	s_delay_alu instid0(VALU_DEP_1)
	v_cmpx_eq_u32_e32 0, v3
; %bb.623:                              ;   in Loop: Header=BB4_129 Depth=2
	v_clz_i32_u32_e32 v3, v18
	v_dual_mov_b32 v18, v21 :: v_dual_mov_b32 v19, v65
	s_delay_alu instid0(VALU_DEP_2) | instskip(NEXT) | instid1(VALU_DEP_1)
	v_min_u32_e32 v3, 32, v3
	v_subrev_nc_u32_e32 v22, 29, v3
	s_delay_alu instid0(VALU_DEP_1) | instskip(NEXT) | instid1(VALU_DEP_1)
	v_lshlrev_b64_e32 v[18:19], v22, v[18:19]
	v_dual_sub_nc_u32 v3, 30, v3 :: v_dual_bitop2_b32 v18, 3, v18 bitop3:0x40
; %bb.624:                              ;   in Loop: Header=BB4_129 Depth=2
	s_or_b32 exec_lo, exec_lo, s27
	v_lshlrev_b32_e32 v19, 24, v21
	s_delay_alu instid0(VALU_DEP_1) | instskip(NEXT) | instid1(VALU_DEP_1)
	v_and_b32_e32 v19, 0x80000000, v19
	v_lshl_add_u32 v3, v3, 23, v19
	s_delay_alu instid0(VALU_DEP_1) | instskip(NEXT) | instid1(VALU_DEP_1)
	v_lshl_or_b32 v3, v18, 21, v3
                                        ; implicit-def: $vgpr18
	v_add_nc_u32_e32 v3, 0x38000000, v3
.LBB4_625:                              ;   in Loop: Header=BB4_129 Depth=2
	s_and_not1_saveexec_b32 s26, s26
; %bb.626:                              ;   in Loop: Header=BB4_129 Depth=2
	v_bfe_i32 v3, v21, 0, 8
	s_delay_alu instid0(VALU_DEP_1) | instskip(SKIP_2) | instid1(VALU_DEP_2)
	v_cmp_lt_i16_e32 vcc_lo, -1, v3
	v_cndmask_b32_e32 v3, 0xff800000, v126, vcc_lo
	v_cmp_eq_u32_e32 vcc_lo, 0, v18
	v_cndmask_b32_e32 v3, 0x7f800001, v3, vcc_lo
; %bb.627:                              ;   in Loop: Header=BB4_129 Depth=2
	s_or_b32 exec_lo, exec_lo, s26
.LBB4_628:                              ;   in Loop: Header=BB4_129 Depth=2
	s_delay_alu instid0(SALU_CYCLE_1)
	s_or_b32 exec_lo, exec_lo, s25
.LBB4_629:                              ;   in Loop: Header=BB4_129 Depth=2
	s_delay_alu instid0(SALU_CYCLE_1) | instskip(NEXT) | instid1(VALU_DEP_1)
	s_or_b32 exec_lo, exec_lo, s10
	v_dual_mul_f32 v3, v0, v3 :: v_dual_mov_b32 v23, v65
	v_mov_b32_e32 v19, v65
                                        ; implicit-def: $vgpr46
	s_mov_b32 s10, exec_lo
	s_delay_alu instid0(VALU_DEP_2) | instskip(SKIP_2) | instid1(VALU_DEP_3)
	v_and_b32_e32 v22, 0x7f800000, v3
	v_and_b32_e32 v18, 0x7fffff, v3
	v_lshrrev_b32_e32 v0, 24, v3
	v_cmpx_ne_u64_e32 0x7f800000, v[22:23]
	s_xor_b32 s25, exec_lo, s10
	s_cbranch_execz .LBB4_643
; %bb.630:                              ;   in Loop: Header=BB4_129 Depth=2
	v_and_b32_e32 v22, 0x7fffffff, v3
	v_mov_b32_e32 v23, v65
	v_and_b32_e32 v0, 0x80, v0
                                        ; implicit-def: $vgpr46
	s_mov_b32 s10, exec_lo
	s_delay_alu instid0(VALU_DEP_2)
	v_cmpx_gt_u64_e32 0x47600001, v[22:23]
	s_xor_b32 s26, exec_lo, s10
	s_cbranch_execz .LBB4_640
; %bb.631:                              ;   in Loop: Header=BB4_129 Depth=2
	v_mov_b32_e32 v46, 0
	s_mov_b32 s27, exec_lo
	v_cmpx_ne_u32_e32 0, v3
	s_cbranch_execz .LBB4_639
; %bb.632:                              ;   in Loop: Header=BB4_129 Depth=2
	v_bfe_u32 v3, v3, 23, 8
	v_or_b32_e32 v82, 0x800000, v18
	s_delay_alu instid0(VALU_DEP_2) | instskip(SKIP_1) | instid1(VALU_DEP_2)
	v_sub_nc_u32_e32 v22, 0x71, v3
	v_cmp_gt_u32_e32 vcc_lo, 0x72, v3
	v_cndmask_b32_e32 v22, 0, v22, vcc_lo
	v_cmp_eq_u32_e32 vcc_lo, 0, v3
	s_delay_alu instid0(VALU_DEP_2) | instskip(SKIP_1) | instid1(VALU_DEP_2)
	v_cndmask_b32_e64 v46, v22, 0x70, vcc_lo
	v_cndmask_b32_e32 v18, v82, v18, vcc_lo
	v_dual_add_nc_u32 v22, 21, v46 :: v_dual_add_nc_u32 v83, 20, v46
	s_delay_alu instid0(VALU_DEP_1) | instskip(NEXT) | instid1(VALU_DEP_2)
	v_lshlrev_b64_e64 v[22:23], v22, -1
	v_lshlrev_b64_e64 v[56:57], v83, 1
	s_delay_alu instid0(VALU_DEP_2) | instskip(SKIP_1) | instid1(VALU_DEP_4)
	v_bfi_b32 v22, v22, 0, v18
	v_lshrrev_b64 v[18:19], v46, v[18:19]
	v_bfi_b32 v23, v23, 0, 0
	s_delay_alu instid0(VALU_DEP_1) | instskip(NEXT) | instid1(VALU_DEP_3)
	v_cmp_eq_u64_e64 s10, v[22:23], v[56:57]
	v_mov_b64_e32 v[22:23], v[18:19]
	s_and_saveexec_b32 s28, s10
; %bb.633:                              ;   in Loop: Header=BB4_129 Depth=2
	v_bfe_u32 v22, v18, 21, 1
	v_mov_b32_e32 v23, v65
	s_delay_alu instid0(VALU_DEP_1) | instskip(NEXT) | instid1(VALU_DEP_1)
	v_add_nc_u64_e32 v[22:23], v[18:19], v[22:23]
	v_add_nc_u64_e32 v[22:23], -1, v[22:23]
; %bb.634:                              ;   in Loop: Header=BB4_129 Depth=2
	s_or_b32 exec_lo, exec_lo, s28
	v_add_nc_u32_e32 v3, 0xffffff81, v3
	v_lshrrev_b32_e32 v19, 23, v18
	s_mov_b32 s10, exec_lo
	s_delay_alu instid0(VALU_DEP_2) | instskip(NEXT) | instid1(VALU_DEP_1)
	v_cndmask_b32_e64 v3, v3, 0xffffff82, vcc_lo
	v_add3_u32 v23, v46, v3, v19
	v_and_b32_e32 v3, 0x1fffff, v22
	s_delay_alu instid0(VALU_DEP_2) | instskip(NEXT) | instid1(VALU_DEP_2)
	v_dual_mov_b32 v19, v65 :: v_dual_add_nc_u32 v22, 14, v23
	v_add_nc_u32_e32 v18, v3, v18
                                        ; implicit-def: $vgpr3
	s_delay_alu instid0(VALU_DEP_2)
	v_cmpx_ne_u32_e32 0, v22
	s_xor_b32 s10, exec_lo, s10
; %bb.635:                              ;   in Loop: Header=BB4_129 Depth=2
	s_delay_alu instid0(VALU_DEP_2) | instskip(SKIP_1) | instid1(VALU_DEP_1)
	v_cmp_lt_u64_e32 vcc_lo, 0xffffff, v[18:19]
	v_add_nc_u32_e32 v3, 15, v23
	v_cndmask_b32_e32 v3, v22, v3, vcc_lo
	v_cndmask_b32_e64 v22, 0, 1, vcc_lo
	s_delay_alu instid0(VALU_DEP_1)
	v_lshrrev_b64 v[18:19], v22, v[18:19]
; %bb.636:                              ;   in Loop: Header=BB4_129 Depth=2
	s_and_not1_saveexec_b32 s10, s10
; %bb.637:                              ;   in Loop: Header=BB4_129 Depth=2
	s_delay_alu instid0(VALU_DEP_1)
	v_bfe_u32 v3, v18, 23, 1
; %bb.638:                              ;   in Loop: Header=BB4_129 Depth=2
	s_or_b32 exec_lo, exec_lo, s10
	s_delay_alu instid0(VALU_DEP_2) | instskip(NEXT) | instid1(VALU_DEP_2)
	v_lshrrev_b64 v[18:19], 21, v[18:19]
	v_cmp_gt_i32_e32 vcc_lo, 32, v3
	v_min_i32_e32 v22, 31, v3
	v_cmp_eq_u32_e64 s10, 0, v3
	s_delay_alu instid0(VALU_DEP_4) | instskip(NEXT) | instid1(VALU_DEP_3)
	v_cndmask_b32_e32 v18, 3, v18, vcc_lo
	v_dual_cndmask_b32 v19, 0, v19 :: v_dual_lshlrev_b32 v22, 2, v22
	s_delay_alu instid0(VALU_DEP_1) | instskip(NEXT) | instid1(VALU_DEP_2)
	v_and_b32_e32 v22, 0xfc, v22
	v_cmp_eq_u64_e32 vcc_lo, 0, v[18:19]
	s_delay_alu instid0(VALU_DEP_2)
	v_and_or_b32 v3, v18, 3, v22
	s_and_b32 s10, s10, vcc_lo
	s_delay_alu instid0(VALU_DEP_1) | instid1(SALU_CYCLE_1)
	v_cndmask_b32_e64 v3, v3, 0, s10
	s_delay_alu instid0(VALU_DEP_1)
	v_or_b32_e32 v46, v3, v0
.LBB4_639:                              ;   in Loop: Header=BB4_129 Depth=2
	s_or_b32 exec_lo, exec_lo, s27
                                        ; implicit-def: $vgpr0
.LBB4_640:                              ;   in Loop: Header=BB4_129 Depth=2
	s_and_not1_saveexec_b32 s10, s26
; %bb.641:                              ;   in Loop: Header=BB4_129 Depth=2
	v_or_b32_e32 v46, 0x7b, v0
; %bb.642:                              ;   in Loop: Header=BB4_129 Depth=2
	s_or_b32 exec_lo, exec_lo, s10
                                        ; implicit-def: $vgpr3
                                        ; implicit-def: $vgpr18_vgpr19
                                        ; implicit-def: $vgpr0
.LBB4_643:                              ;   in Loop: Header=BB4_129 Depth=2
	s_and_not1_saveexec_b32 s10, s25
	s_cbranch_execz .LBB4_649
; %bb.644:                              ;   in Loop: Header=BB4_129 Depth=2
	s_mov_b32 s25, exec_lo
                                        ; implicit-def: $vgpr46
	v_cmpx_ne_u64_e32 0, v[18:19]
	s_xor_b32 s25, exec_lo, s25
; %bb.645:                              ;   in Loop: Header=BB4_129 Depth=2
	v_or_b32_e32 v46, 0x7f, v0
                                        ; implicit-def: $vgpr3
; %bb.646:                              ;   in Loop: Header=BB4_129 Depth=2
	s_and_not1_saveexec_b32 s25, s25
; %bb.647:                              ;   in Loop: Header=BB4_129 Depth=2
	v_cmp_lt_i32_e32 vcc_lo, -1, v3
	v_cndmask_b32_e32 v46, 0xfc, v68, vcc_lo
; %bb.648:                              ;   in Loop: Header=BB4_129 Depth=2
	s_or_b32 exec_lo, exec_lo, s25
.LBB4_649:                              ;   in Loop: Header=BB4_129 Depth=2
	s_delay_alu instid0(SALU_CYCLE_1) | instskip(SKIP_3) | instid1(VALU_DEP_2)
	s_or_b32 exec_lo, exec_lo, s10
	v_lshrrev_b16 v18, 8, v64
	v_dual_mov_b32 v0, 0 :: v_dual_mov_b32 v3, 0
	s_mov_b32 s10, exec_lo
	v_cmpx_ne_u16_e32 0, v18
	s_cbranch_execz .LBB4_659
; %bb.650:                              ;   in Loop: Header=BB4_129 Depth=2
	v_bfrev_b32_e32 v3, 1
	s_mov_b32 s25, exec_lo
	v_cmpx_ne_u16_e32 0x80, v18
	s_cbranch_execz .LBB4_658
; %bb.651:                              ;   in Loop: Header=BB4_129 Depth=2
	v_and_b32_e32 v22, 0xffff, v18
	s_delay_alu instid0(VALU_DEP_1) | instskip(SKIP_1) | instid1(VALU_DEP_2)
	v_and_b32_e32 v3, 0x7c, v22
	v_and_b32_e32 v19, 3, v22
	v_cmp_ne_u32_e32 vcc_lo, 0x7c, v3
                                        ; implicit-def: $vgpr3
	s_and_saveexec_b32 s26, vcc_lo
	s_delay_alu instid0(SALU_CYCLE_1)
	s_xor_b32 s26, exec_lo, s26
	s_cbranch_execz .LBB4_655
; %bb.652:                              ;   in Loop: Header=BB4_129 Depth=2
	v_bfe_u32 v3, v22, 2, 5
	s_mov_b32 s27, exec_lo
	s_delay_alu instid0(VALU_DEP_1)
	v_cmpx_eq_u32_e32 0, v3
	s_cbranch_execz .LBB4_654
; %bb.653:                              ;   in Loop: Header=BB4_129 Depth=2
	v_clz_i32_u32_e32 v3, v19
	s_delay_alu instid0(VALU_DEP_1) | instskip(SKIP_1) | instid1(VALU_DEP_2)
	v_min_u32_e32 v3, 32, v3
	v_mov_b32_e32 v19, v65
	v_subrev_nc_u32_e32 v22, 29, v3
	v_sub_nc_u32_e32 v3, 30, v3
	s_delay_alu instid0(VALU_DEP_2) | instskip(NEXT) | instid1(VALU_DEP_1)
	v_lshlrev_b64_e32 v[18:19], v22, v[18:19]
	v_and_b32_e32 v19, 3, v18
.LBB4_654:                              ;   in Loop: Header=BB4_129 Depth=2
	s_or_b32 exec_lo, exec_lo, s27
	v_lshlrev_b32_e32 v18, 16, v64
	s_delay_alu instid0(VALU_DEP_1) | instskip(NEXT) | instid1(VALU_DEP_1)
	v_and_b32_e32 v18, 0x80000000, v18
	v_lshl_add_u32 v3, v3, 23, v18
	s_delay_alu instid0(VALU_DEP_1) | instskip(NEXT) | instid1(VALU_DEP_1)
	v_lshl_or_b32 v3, v19, 21, v3
                                        ; implicit-def: $vgpr19
	v_add_nc_u32_e32 v3, 0x38000000, v3
.LBB4_655:                              ;   in Loop: Header=BB4_129 Depth=2
	s_and_not1_saveexec_b32 s26, s26
; %bb.656:                              ;   in Loop: Header=BB4_129 Depth=2
	v_cmp_lt_i16_e32 vcc_lo, -1, v64
	v_cndmask_b32_e32 v3, 0xff800000, v126, vcc_lo
	v_cmp_eq_u32_e32 vcc_lo, 0, v19
	s_delay_alu instid0(VALU_DEP_2)
	v_cndmask_b32_e32 v3, 0x7f800001, v3, vcc_lo
; %bb.657:                              ;   in Loop: Header=BB4_129 Depth=2
	s_or_b32 exec_lo, exec_lo, s26
.LBB4_658:                              ;   in Loop: Header=BB4_129 Depth=2
	s_delay_alu instid0(SALU_CYCLE_1)
	s_or_b32 exec_lo, exec_lo, s25
.LBB4_659:                              ;   in Loop: Header=BB4_129 Depth=2
	s_delay_alu instid0(SALU_CYCLE_1) | instskip(SKIP_2) | instid1(VALU_DEP_1)
	s_or_b32 exec_lo, exec_lo, s10
	v_lshrrev_b16 v64, 8, v21
	s_mov_b32 s10, exec_lo
	v_cmpx_ne_u16_e32 0, v64
	s_cbranch_execz .LBB4_669
; %bb.660:                              ;   in Loop: Header=BB4_129 Depth=2
	v_bfrev_b32_e32 v0, 1
	s_mov_b32 s25, exec_lo
	v_cmpx_ne_u16_e32 0x80, v64
	s_cbranch_execz .LBB4_668
; %bb.661:                              ;   in Loop: Header=BB4_129 Depth=2
	v_and_b32_e32 v19, 0xffff, v64
	s_delay_alu instid0(VALU_DEP_1) | instskip(SKIP_1) | instid1(VALU_DEP_2)
	v_and_b32_e32 v0, 0x7c, v19
	v_and_b32_e32 v18, 3, v19
	v_cmp_ne_u32_e32 vcc_lo, 0x7c, v0
                                        ; implicit-def: $vgpr0
	s_and_saveexec_b32 s26, vcc_lo
	s_delay_alu instid0(SALU_CYCLE_1)
	s_xor_b32 s26, exec_lo, s26
	s_cbranch_execz .LBB4_665
; %bb.662:                              ;   in Loop: Header=BB4_129 Depth=2
	v_bfe_u32 v0, v19, 2, 5
	s_mov_b32 s27, exec_lo
	s_delay_alu instid0(VALU_DEP_1)
	v_cmpx_eq_u32_e32 0, v0
; %bb.663:                              ;   in Loop: Header=BB4_129 Depth=2
	v_clz_i32_u32_e32 v0, v18
	s_delay_alu instid0(VALU_DEP_1) | instskip(NEXT) | instid1(VALU_DEP_1)
	v_min_u32_e32 v0, 32, v0
	v_subrev_nc_u32_e32 v18, 29, v0
	s_delay_alu instid0(VALU_DEP_1) | instskip(NEXT) | instid1(VALU_DEP_1)
	v_lshlrev_b64_e32 v[18:19], v18, v[64:65]
	v_dual_sub_nc_u32 v0, 30, v0 :: v_dual_bitop2_b32 v18, 3, v18 bitop3:0x40
; %bb.664:                              ;   in Loop: Header=BB4_129 Depth=2
	s_or_b32 exec_lo, exec_lo, s27
	v_lshlrev_b32_e32 v19, 16, v21
	s_delay_alu instid0(VALU_DEP_1) | instskip(NEXT) | instid1(VALU_DEP_1)
	v_and_b32_e32 v19, 0x80000000, v19
	v_lshl_add_u32 v0, v0, 23, v19
	s_delay_alu instid0(VALU_DEP_1) | instskip(NEXT) | instid1(VALU_DEP_1)
	v_lshl_or_b32 v0, v18, 21, v0
                                        ; implicit-def: $vgpr18
	v_add_nc_u32_e32 v0, 0x38000000, v0
.LBB4_665:                              ;   in Loop: Header=BB4_129 Depth=2
	s_and_not1_saveexec_b32 s26, s26
; %bb.666:                              ;   in Loop: Header=BB4_129 Depth=2
	v_cmp_lt_i16_e32 vcc_lo, -1, v21
	v_cndmask_b32_e32 v0, 0xff800000, v126, vcc_lo
	v_cmp_eq_u32_e32 vcc_lo, 0, v18
	s_delay_alu instid0(VALU_DEP_2)
	v_cndmask_b32_e32 v0, 0x7f800001, v0, vcc_lo
; %bb.667:                              ;   in Loop: Header=BB4_129 Depth=2
	s_or_b32 exec_lo, exec_lo, s26
.LBB4_668:                              ;   in Loop: Header=BB4_129 Depth=2
	s_delay_alu instid0(SALU_CYCLE_1)
	s_or_b32 exec_lo, exec_lo, s25
.LBB4_669:                              ;   in Loop: Header=BB4_129 Depth=2
	s_delay_alu instid0(SALU_CYCLE_1) | instskip(NEXT) | instid1(VALU_DEP_1)
	s_or_b32 exec_lo, exec_lo, s10
	v_dual_mul_f32 v3, v3, v0 :: v_dual_mov_b32 v19, v65
                                        ; implicit-def: $vgpr47
	s_mov_b32 s10, exec_lo
	s_delay_alu instid0(VALU_DEP_1) | instskip(SKIP_2) | instid1(VALU_DEP_3)
	v_and_b32_e32 v18, 0x7f800000, v3
	v_and_b32_e32 v64, 0x7fffff, v3
	v_lshrrev_b32_e32 v0, 24, v3
	v_cmpx_ne_u64_e32 0x7f800000, v[18:19]
	s_xor_b32 s25, exec_lo, s10
	s_cbranch_execz .LBB4_683
; %bb.670:                              ;   in Loop: Header=BB4_129 Depth=2
	v_and_b32_e32 v18, 0x7fffffff, v3
	v_mov_b32_e32 v19, v65
	v_and_b32_e32 v0, 0x80, v0
                                        ; implicit-def: $vgpr47
	s_mov_b32 s10, exec_lo
	s_delay_alu instid0(VALU_DEP_2)
	v_cmpx_gt_u64_e32 0x47600001, v[18:19]
	s_xor_b32 s26, exec_lo, s10
	s_cbranch_execz .LBB4_680
; %bb.671:                              ;   in Loop: Header=BB4_129 Depth=2
	v_mov_b32_e32 v47, 0
	s_mov_b32 s27, exec_lo
	v_cmpx_ne_u32_e32 0, v3
	s_cbranch_execz .LBB4_679
; %bb.672:                              ;   in Loop: Header=BB4_129 Depth=2
	v_bfe_u32 v3, v3, 23, 8
	v_or_b32_e32 v22, 0x800000, v64
	s_delay_alu instid0(VALU_DEP_2) | instskip(SKIP_1) | instid1(VALU_DEP_2)
	v_sub_nc_u32_e32 v18, 0x71, v3
	v_cmp_gt_u32_e32 vcc_lo, 0x72, v3
	v_cndmask_b32_e32 v18, 0, v18, vcc_lo
	v_cmp_eq_u32_e32 vcc_lo, 0, v3
	s_delay_alu instid0(VALU_DEP_2) | instskip(NEXT) | instid1(VALU_DEP_1)
	v_cndmask_b32_e64 v47, v18, 0x70, vcc_lo
	v_dual_cndmask_b32 v64, v22, v64, vcc_lo :: v_dual_add_nc_u32 v18, 21, v47
	v_add_nc_u32_e32 v23, 20, v47
	s_delay_alu instid0(VALU_DEP_2) | instskip(NEXT) | instid1(VALU_DEP_2)
	v_lshlrev_b64_e64 v[18:19], v18, -1
	v_lshlrev_b64_e64 v[22:23], v23, 1
	s_delay_alu instid0(VALU_DEP_2) | instskip(NEXT) | instid1(VALU_DEP_3)
	v_bfi_b32 v57, v19, 0, 0
	v_bfi_b32 v56, v18, 0, v64
	v_lshrrev_b64 v[18:19], v47, v[64:65]
	s_delay_alu instid0(VALU_DEP_2) | instskip(NEXT) | instid1(VALU_DEP_2)
	v_cmp_eq_u64_e64 s10, v[56:57], v[22:23]
	v_mov_b64_e32 v[22:23], v[18:19]
	s_and_saveexec_b32 s28, s10
; %bb.673:                              ;   in Loop: Header=BB4_129 Depth=2
	v_bfe_u32 v64, v18, 21, 1
	s_delay_alu instid0(VALU_DEP_1) | instskip(NEXT) | instid1(VALU_DEP_1)
	v_add_nc_u64_e32 v[22:23], v[18:19], v[64:65]
	v_add_nc_u64_e32 v[22:23], -1, v[22:23]
; %bb.674:                              ;   in Loop: Header=BB4_129 Depth=2
	s_or_b32 exec_lo, exec_lo, s28
	v_add_nc_u32_e32 v3, 0xffffff81, v3
	v_lshrrev_b32_e32 v19, 23, v18
	s_mov_b32 s10, exec_lo
	s_delay_alu instid0(VALU_DEP_2) | instskip(NEXT) | instid1(VALU_DEP_1)
	v_cndmask_b32_e64 v3, v3, 0xffffff82, vcc_lo
	v_add3_u32 v23, v47, v3, v19
	v_and_b32_e32 v3, 0x1fffff, v22
	s_delay_alu instid0(VALU_DEP_1) | instskip(NEXT) | instid1(VALU_DEP_1)
	v_dual_add_nc_u32 v22, 14, v23 :: v_dual_add_nc_u32 v64, v3, v18
                                        ; implicit-def: $vgpr18_vgpr19
                                        ; implicit-def: $vgpr3
	v_cmpx_ne_u32_e32 0, v22
	s_xor_b32 s10, exec_lo, s10
; %bb.675:                              ;   in Loop: Header=BB4_129 Depth=2
	s_delay_alu instid0(VALU_DEP_2) | instskip(SKIP_2) | instid1(VALU_DEP_2)
	v_cmp_lt_u64_e32 vcc_lo, 0xffffff, v[64:65]
	v_add_nc_u32_e32 v3, 15, v23
	v_cndmask_b32_e64 v18, 0, 1, vcc_lo
	v_cndmask_b32_e32 v3, v22, v3, vcc_lo
	s_delay_alu instid0(VALU_DEP_2)
	v_lshrrev_b64 v[18:19], v18, v[64:65]
; %bb.676:                              ;   in Loop: Header=BB4_129 Depth=2
	s_and_not1_saveexec_b32 s10, s10
; %bb.677:                              ;   in Loop: Header=BB4_129 Depth=2
	v_mov_b64_e32 v[18:19], v[64:65]
	v_bfe_u32 v3, v64, 23, 1
; %bb.678:                              ;   in Loop: Header=BB4_129 Depth=2
	s_or_b32 exec_lo, exec_lo, s10
	s_delay_alu instid0(VALU_DEP_2) | instskip(NEXT) | instid1(VALU_DEP_2)
	v_lshrrev_b64 v[18:19], 21, v[18:19]
	v_cmp_gt_i32_e32 vcc_lo, 32, v3
	v_min_i32_e32 v22, 31, v3
	v_cmp_eq_u32_e64 s10, 0, v3
	s_delay_alu instid0(VALU_DEP_4) | instskip(NEXT) | instid1(VALU_DEP_3)
	v_cndmask_b32_e32 v18, 3, v18, vcc_lo
	v_dual_cndmask_b32 v19, 0, v19 :: v_dual_lshlrev_b32 v22, 2, v22
	s_delay_alu instid0(VALU_DEP_1) | instskip(NEXT) | instid1(VALU_DEP_2)
	v_and_b32_e32 v22, 0xfc, v22
	v_cmp_eq_u64_e32 vcc_lo, 0, v[18:19]
	s_delay_alu instid0(VALU_DEP_2)
	v_and_or_b32 v3, v18, 3, v22
	s_and_b32 s10, s10, vcc_lo
	s_delay_alu instid0(VALU_DEP_1) | instid1(SALU_CYCLE_1)
	v_cndmask_b32_e64 v3, v3, 0, s10
	s_delay_alu instid0(VALU_DEP_1)
	v_or_b32_e32 v47, v3, v0
.LBB4_679:                              ;   in Loop: Header=BB4_129 Depth=2
	s_or_b32 exec_lo, exec_lo, s27
                                        ; implicit-def: $vgpr0
.LBB4_680:                              ;   in Loop: Header=BB4_129 Depth=2
	s_and_not1_saveexec_b32 s10, s26
; %bb.681:                              ;   in Loop: Header=BB4_129 Depth=2
	v_or_b32_e32 v47, 0x7b, v0
; %bb.682:                              ;   in Loop: Header=BB4_129 Depth=2
	s_or_b32 exec_lo, exec_lo, s10
                                        ; implicit-def: $vgpr3
                                        ; implicit-def: $vgpr0
.LBB4_683:                              ;   in Loop: Header=BB4_129 Depth=2
	s_and_not1_saveexec_b32 s10, s25
	s_cbranch_execz .LBB4_689
; %bb.684:                              ;   in Loop: Header=BB4_129 Depth=2
	s_mov_b32 s25, exec_lo
                                        ; implicit-def: $vgpr47
	v_cmpx_ne_u64_e32 0, v[64:65]
	s_xor_b32 s25, exec_lo, s25
; %bb.685:                              ;   in Loop: Header=BB4_129 Depth=2
	v_or_b32_e32 v47, 0x7f, v0
                                        ; implicit-def: $vgpr3
; %bb.686:                              ;   in Loop: Header=BB4_129 Depth=2
	s_and_not1_saveexec_b32 s25, s25
; %bb.687:                              ;   in Loop: Header=BB4_129 Depth=2
	v_cmp_lt_i32_e32 vcc_lo, -1, v3
	v_cndmask_b32_e32 v47, 0xfc, v68, vcc_lo
; %bb.688:                              ;   in Loop: Header=BB4_129 Depth=2
	s_or_b32 exec_lo, exec_lo, s25
.LBB4_689:                              ;   in Loop: Header=BB4_129 Depth=2
	s_delay_alu instid0(SALU_CYCLE_1) | instskip(SKIP_3) | instid1(VALU_DEP_2)
	s_or_b32 exec_lo, exec_lo, s10
	v_dual_lshrrev_b32 v18, 16, v25 :: v_dual_mov_b32 v0, 0
	v_mov_b32_e32 v3, 0
	s_mov_b32 s10, exec_lo
	v_and_b32_e32 v19, 0xff, v18
	s_delay_alu instid0(VALU_DEP_1)
	v_cmpx_ne_u16_e32 0, v19
	s_cbranch_execz .LBB4_699
; %bb.690:                              ;   in Loop: Header=BB4_129 Depth=2
	v_bfrev_b32_e32 v3, 1
	s_mov_b32 s25, exec_lo
	v_cmpx_ne_u16_e32 0x80, v19
	s_cbranch_execz .LBB4_698
; %bb.691:                              ;   in Loop: Header=BB4_129 Depth=2
	v_and_b32_e32 v3, 0x7c0000, v25
	v_bfe_u32 v19, v25, 16, 2
	s_delay_alu instid0(VALU_DEP_2) | instskip(SKIP_1) | instid1(SALU_CYCLE_1)
	v_cmp_ne_u32_e32 vcc_lo, 0x7c0000, v3
                                        ; implicit-def: $vgpr3
	s_and_saveexec_b32 s26, vcc_lo
	s_xor_b32 s26, exec_lo, s26
	s_cbranch_execz .LBB4_695
; %bb.692:                              ;   in Loop: Header=BB4_129 Depth=2
	v_bfe_u32 v3, v25, 18, 5
	s_mov_b32 s27, exec_lo
	s_delay_alu instid0(VALU_DEP_1)
	v_cmpx_eq_u32_e32 0, v3
; %bb.693:                              ;   in Loop: Header=BB4_129 Depth=2
	v_clz_i32_u32_e32 v3, v19
	s_delay_alu instid0(VALU_DEP_1) | instskip(NEXT) | instid1(VALU_DEP_1)
	v_min_u32_e32 v3, 32, v3
	v_subrev_nc_u32_e32 v19, 29, v3
	s_delay_alu instid0(VALU_DEP_1) | instskip(NEXT) | instid1(VALU_DEP_1)
	v_lshlrev_b64_e32 v[22:23], v19, v[18:19]
	v_dual_sub_nc_u32 v3, 30, v3 :: v_dual_bitop2_b32 v19, 3, v22 bitop3:0x40
; %bb.694:                              ;   in Loop: Header=BB4_129 Depth=2
	s_or_b32 exec_lo, exec_lo, s27
	v_lshlrev_b32_e32 v18, 24, v18
	s_delay_alu instid0(VALU_DEP_1) | instskip(NEXT) | instid1(VALU_DEP_1)
	v_and_b32_e32 v18, 0x80000000, v18
	v_lshl_add_u32 v3, v3, 23, v18
                                        ; implicit-def: $vgpr18
	s_delay_alu instid0(VALU_DEP_1) | instskip(NEXT) | instid1(VALU_DEP_1)
	v_lshl_or_b32 v3, v19, 21, v3
                                        ; implicit-def: $vgpr19
	v_add_nc_u32_e32 v3, 0x38000000, v3
.LBB4_695:                              ;   in Loop: Header=BB4_129 Depth=2
	s_and_not1_saveexec_b32 s26, s26
; %bb.696:                              ;   in Loop: Header=BB4_129 Depth=2
	v_bfe_i32 v3, v18, 0, 8
	s_delay_alu instid0(VALU_DEP_1) | instskip(SKIP_2) | instid1(VALU_DEP_2)
	v_cmp_lt_i16_e32 vcc_lo, -1, v3
	v_cndmask_b32_e32 v3, 0xff800000, v126, vcc_lo
	v_cmp_eq_u32_e32 vcc_lo, 0, v19
	v_cndmask_b32_e32 v3, 0x7f800001, v3, vcc_lo
; %bb.697:                              ;   in Loop: Header=BB4_129 Depth=2
	s_or_b32 exec_lo, exec_lo, s26
.LBB4_698:                              ;   in Loop: Header=BB4_129 Depth=2
	s_delay_alu instid0(SALU_CYCLE_1)
	s_or_b32 exec_lo, exec_lo, s25
.LBB4_699:                              ;   in Loop: Header=BB4_129 Depth=2
	s_delay_alu instid0(SALU_CYCLE_1) | instskip(SKIP_2) | instid1(VALU_DEP_1)
	s_or_b32 exec_lo, exec_lo, s10
	v_lshrrev_b32_e32 v18, 16, v21
	s_mov_b32 s10, exec_lo
	v_and_b32_e32 v19, 0xff, v18
	s_delay_alu instid0(VALU_DEP_1)
	v_cmpx_ne_u16_e32 0, v19
	s_cbranch_execz .LBB4_709
; %bb.700:                              ;   in Loop: Header=BB4_129 Depth=2
	v_bfrev_b32_e32 v0, 1
	s_mov_b32 s25, exec_lo
	v_cmpx_ne_u16_e32 0x80, v19
	s_cbranch_execz .LBB4_708
; %bb.701:                              ;   in Loop: Header=BB4_129 Depth=2
	v_and_b32_e32 v0, 0x7c0000, v21
	v_bfe_u32 v19, v21, 16, 2
	s_delay_alu instid0(VALU_DEP_2) | instskip(SKIP_1) | instid1(SALU_CYCLE_1)
	v_cmp_ne_u32_e32 vcc_lo, 0x7c0000, v0
                                        ; implicit-def: $vgpr0
	s_and_saveexec_b32 s26, vcc_lo
	s_xor_b32 s26, exec_lo, s26
	s_cbranch_execz .LBB4_705
; %bb.702:                              ;   in Loop: Header=BB4_129 Depth=2
	v_bfe_u32 v0, v21, 18, 5
	s_mov_b32 s27, exec_lo
	s_delay_alu instid0(VALU_DEP_1)
	v_cmpx_eq_u32_e32 0, v0
; %bb.703:                              ;   in Loop: Header=BB4_129 Depth=2
	v_clz_i32_u32_e32 v0, v19
	s_delay_alu instid0(VALU_DEP_1) | instskip(NEXT) | instid1(VALU_DEP_1)
	v_min_u32_e32 v0, 32, v0
	v_subrev_nc_u32_e32 v19, 29, v0
	s_delay_alu instid0(VALU_DEP_1) | instskip(NEXT) | instid1(VALU_DEP_1)
	v_lshlrev_b64_e32 v[22:23], v19, v[18:19]
	v_dual_sub_nc_u32 v0, 30, v0 :: v_dual_bitop2_b32 v19, 3, v22 bitop3:0x40
; %bb.704:                              ;   in Loop: Header=BB4_129 Depth=2
	s_or_b32 exec_lo, exec_lo, s27
	v_lshlrev_b32_e32 v18, 24, v18
	s_delay_alu instid0(VALU_DEP_1) | instskip(NEXT) | instid1(VALU_DEP_1)
	v_and_b32_e32 v18, 0x80000000, v18
	v_lshl_add_u32 v0, v0, 23, v18
                                        ; implicit-def: $vgpr18
	s_delay_alu instid0(VALU_DEP_1) | instskip(NEXT) | instid1(VALU_DEP_1)
	v_lshl_or_b32 v0, v19, 21, v0
                                        ; implicit-def: $vgpr19
	v_add_nc_u32_e32 v0, 0x38000000, v0
.LBB4_705:                              ;   in Loop: Header=BB4_129 Depth=2
	s_and_not1_saveexec_b32 s26, s26
; %bb.706:                              ;   in Loop: Header=BB4_129 Depth=2
	v_bfe_i32 v0, v18, 0, 8
	s_delay_alu instid0(VALU_DEP_1) | instskip(SKIP_2) | instid1(VALU_DEP_2)
	v_cmp_lt_i16_e32 vcc_lo, -1, v0
	v_cndmask_b32_e32 v0, 0xff800000, v126, vcc_lo
	v_cmp_eq_u32_e32 vcc_lo, 0, v19
	v_cndmask_b32_e32 v0, 0x7f800001, v0, vcc_lo
; %bb.707:                              ;   in Loop: Header=BB4_129 Depth=2
	s_or_b32 exec_lo, exec_lo, s26
.LBB4_708:                              ;   in Loop: Header=BB4_129 Depth=2
	s_delay_alu instid0(SALU_CYCLE_1)
	s_or_b32 exec_lo, exec_lo, s25
.LBB4_709:                              ;   in Loop: Header=BB4_129 Depth=2
	s_delay_alu instid0(SALU_CYCLE_1) | instskip(NEXT) | instid1(VALU_DEP_1)
	s_or_b32 exec_lo, exec_lo, s10
	v_dual_mul_f32 v18, v3, v0 :: v_dual_mov_b32 v23, v65
                                        ; implicit-def: $vgpr0
	s_mov_b32 s10, exec_lo
	s_delay_alu instid0(VALU_DEP_1) | instskip(SKIP_2) | instid1(VALU_DEP_3)
	v_and_b32_e32 v22, 0x7f800000, v18
	v_and_b32_e32 v64, 0x7fffff, v18
	v_lshrrev_b32_e32 v3, 24, v18
	v_cmpx_ne_u64_e32 0x7f800000, v[22:23]
	s_xor_b32 s25, exec_lo, s10
	s_cbranch_execz .LBB4_723
; %bb.710:                              ;   in Loop: Header=BB4_129 Depth=2
	v_and_b32_e32 v22, 0x7fffffff, v18
	v_mov_b32_e32 v23, v65
	v_and_b32_e32 v3, 0x80, v3
                                        ; implicit-def: $vgpr0
	s_mov_b32 s10, exec_lo
	s_delay_alu instid0(VALU_DEP_2)
	v_cmpx_gt_u64_e32 0x47600001, v[22:23]
	s_xor_b32 s26, exec_lo, s10
	s_cbranch_execz .LBB4_720
; %bb.711:                              ;   in Loop: Header=BB4_129 Depth=2
	v_mov_b32_e32 v0, 0
	s_mov_b32 s27, exec_lo
	v_cmpx_ne_u32_e32 0, v18
	s_cbranch_execz .LBB4_719
; %bb.712:                              ;   in Loop: Header=BB4_129 Depth=2
	v_bfe_u32 v0, v18, 23, 8
	v_or_b32_e32 v22, 0x800000, v64
	s_delay_alu instid0(VALU_DEP_2) | instskip(SKIP_1) | instid1(VALU_DEP_2)
	v_sub_nc_u32_e32 v18, 0x71, v0
	v_cmp_gt_u32_e32 vcc_lo, 0x72, v0
	v_cndmask_b32_e32 v18, 0, v18, vcc_lo
	v_cmp_eq_u32_e32 vcc_lo, 0, v0
	s_delay_alu instid0(VALU_DEP_2) | instskip(SKIP_1) | instid1(VALU_DEP_2)
	v_cndmask_b32_e64 v56, v18, 0x70, vcc_lo
	v_cndmask_b32_e32 v64, v22, v64, vcc_lo
	v_dual_add_nc_u32 v18, 21, v56 :: v_dual_add_nc_u32 v23, 20, v56
	s_delay_alu instid0(VALU_DEP_1) | instskip(NEXT) | instid1(VALU_DEP_2)
	v_lshlrev_b64_e64 v[18:19], v18, -1
	v_lshlrev_b64_e64 v[22:23], v23, 1
	s_delay_alu instid0(VALU_DEP_2) | instskip(NEXT) | instid1(VALU_DEP_3)
	v_bfi_b32 v59, v19, 0, 0
	v_bfi_b32 v58, v18, 0, v64
	v_lshrrev_b64 v[18:19], v56, v[64:65]
	s_delay_alu instid0(VALU_DEP_2) | instskip(NEXT) | instid1(VALU_DEP_2)
	v_cmp_eq_u64_e64 s10, v[58:59], v[22:23]
	v_mov_b64_e32 v[22:23], v[18:19]
	s_and_saveexec_b32 s28, s10
; %bb.713:                              ;   in Loop: Header=BB4_129 Depth=2
	v_bfe_u32 v64, v18, 21, 1
	s_delay_alu instid0(VALU_DEP_1) | instskip(NEXT) | instid1(VALU_DEP_1)
	v_add_nc_u64_e32 v[22:23], v[18:19], v[64:65]
	v_add_nc_u64_e32 v[22:23], -1, v[22:23]
; %bb.714:                              ;   in Loop: Header=BB4_129 Depth=2
	s_or_b32 exec_lo, exec_lo, s28
	v_add_nc_u32_e32 v0, 0xffffff81, v0
	v_lshrrev_b32_e32 v19, 23, v18
	s_mov_b32 s10, exec_lo
	s_delay_alu instid0(VALU_DEP_2) | instskip(NEXT) | instid1(VALU_DEP_1)
	v_cndmask_b32_e64 v0, v0, 0xffffff82, vcc_lo
	v_add3_u32 v23, v56, v0, v19
	v_and_b32_e32 v0, 0x1fffff, v22
	s_delay_alu instid0(VALU_DEP_1) | instskip(NEXT) | instid1(VALU_DEP_1)
	v_dual_add_nc_u32 v22, 14, v23 :: v_dual_add_nc_u32 v64, v0, v18
                                        ; implicit-def: $vgpr18_vgpr19
                                        ; implicit-def: $vgpr0
	v_cmpx_ne_u32_e32 0, v22
	s_xor_b32 s10, exec_lo, s10
; %bb.715:                              ;   in Loop: Header=BB4_129 Depth=2
	s_delay_alu instid0(VALU_DEP_2) | instskip(SKIP_2) | instid1(VALU_DEP_2)
	v_cmp_lt_u64_e32 vcc_lo, 0xffffff, v[64:65]
	v_add_nc_u32_e32 v0, 15, v23
	v_cndmask_b32_e64 v18, 0, 1, vcc_lo
	v_cndmask_b32_e32 v0, v22, v0, vcc_lo
	s_delay_alu instid0(VALU_DEP_2)
	v_lshrrev_b64 v[18:19], v18, v[64:65]
; %bb.716:                              ;   in Loop: Header=BB4_129 Depth=2
	s_and_not1_saveexec_b32 s10, s10
; %bb.717:                              ;   in Loop: Header=BB4_129 Depth=2
	v_mov_b64_e32 v[18:19], v[64:65]
	v_bfe_u32 v0, v64, 23, 1
; %bb.718:                              ;   in Loop: Header=BB4_129 Depth=2
	s_or_b32 exec_lo, exec_lo, s10
	s_delay_alu instid0(VALU_DEP_2) | instskip(NEXT) | instid1(VALU_DEP_2)
	v_lshrrev_b64 v[18:19], 21, v[18:19]
	v_cmp_gt_i32_e32 vcc_lo, 32, v0
	v_min_i32_e32 v22, 31, v0
	v_cmp_eq_u32_e64 s10, 0, v0
	s_delay_alu instid0(VALU_DEP_2) | instskip(SKIP_1) | instid1(VALU_DEP_2)
	v_dual_cndmask_b32 v19, 0, v19 :: v_dual_lshlrev_b32 v22, 2, v22
	v_cndmask_b32_e32 v18, 3, v18, vcc_lo
	v_and_b32_e32 v22, 0xfc, v22
	s_delay_alu instid0(VALU_DEP_2) | instskip(NEXT) | instid1(VALU_DEP_2)
	v_cmp_eq_u64_e32 vcc_lo, 0, v[18:19]
	v_and_or_b32 v0, v18, 3, v22
	s_and_b32 s10, s10, vcc_lo
	s_delay_alu instid0(VALU_DEP_1) | instid1(SALU_CYCLE_1)
	v_cndmask_b32_e64 v0, v0, 0, s10
	s_delay_alu instid0(VALU_DEP_1)
	v_or_b32_e32 v0, v0, v3
.LBB4_719:                              ;   in Loop: Header=BB4_129 Depth=2
	s_or_b32 exec_lo, exec_lo, s27
                                        ; implicit-def: $vgpr3
.LBB4_720:                              ;   in Loop: Header=BB4_129 Depth=2
	s_and_not1_saveexec_b32 s10, s26
; %bb.721:                              ;   in Loop: Header=BB4_129 Depth=2
	v_or_b32_e32 v0, 0x7b, v3
; %bb.722:                              ;   in Loop: Header=BB4_129 Depth=2
	s_or_b32 exec_lo, exec_lo, s10
                                        ; implicit-def: $vgpr18
                                        ; implicit-def: $vgpr3
.LBB4_723:                              ;   in Loop: Header=BB4_129 Depth=2
	s_and_not1_saveexec_b32 s10, s25
	s_cbranch_execz .LBB4_729
; %bb.724:                              ;   in Loop: Header=BB4_129 Depth=2
	s_mov_b32 s25, exec_lo
                                        ; implicit-def: $vgpr0
	v_cmpx_ne_u64_e32 0, v[64:65]
	s_xor_b32 s25, exec_lo, s25
; %bb.725:                              ;   in Loop: Header=BB4_129 Depth=2
	v_or_b32_e32 v0, 0x7f, v3
                                        ; implicit-def: $vgpr18
; %bb.726:                              ;   in Loop: Header=BB4_129 Depth=2
	s_and_not1_saveexec_b32 s25, s25
; %bb.727:                              ;   in Loop: Header=BB4_129 Depth=2
	v_cmp_lt_i32_e32 vcc_lo, -1, v18
	v_cndmask_b32_e32 v0, 0xfc, v68, vcc_lo
; %bb.728:                              ;   in Loop: Header=BB4_129 Depth=2
	s_or_b32 exec_lo, exec_lo, s25
.LBB4_729:                              ;   in Loop: Header=BB4_129 Depth=2
	s_delay_alu instid0(SALU_CYCLE_1)
	s_or_b32 exec_lo, exec_lo, s10
	v_dual_mov_b32 v3, 0 :: v_dual_mov_b32 v19, 0
	s_mov_b32 s10, exec_lo
	v_cmpx_lt_u64_e64 s[12:13], v[24:25]
	s_cbranch_execz .LBB4_739
; %bb.730:                              ;   in Loop: Header=BB4_129 Depth=2
	v_lshrrev_b32_e32 v18, 24, v25
	v_bfrev_b32_e32 v19, 1
	s_mov_b32 s25, exec_lo
	s_delay_alu instid0(VALU_DEP_2)
	v_cmpx_ne_u32_e32 0x80, v18
	s_cbranch_execz .LBB4_738
; %bb.731:                              ;   in Loop: Header=BB4_129 Depth=2
	v_and_b32_e32 v19, 0x7c000000, v25
	v_bfe_u32 v22, v25, 24, 2
	s_delay_alu instid0(VALU_DEP_2) | instskip(SKIP_1) | instid1(SALU_CYCLE_1)
	v_cmp_ne_u32_e32 vcc_lo, 0x7c000000, v19
                                        ; implicit-def: $vgpr19
	s_and_saveexec_b32 s26, vcc_lo
	s_xor_b32 s26, exec_lo, s26
	s_cbranch_execz .LBB4_735
; %bb.732:                              ;   in Loop: Header=BB4_129 Depth=2
	v_bfe_u32 v19, v25, 26, 5
	s_mov_b32 s27, exec_lo
	s_delay_alu instid0(VALU_DEP_1)
	v_cmpx_eq_u32_e32 0, v19
; %bb.733:                              ;   in Loop: Header=BB4_129 Depth=2
	v_clz_i32_u32_e32 v19, v22
	s_delay_alu instid0(VALU_DEP_1) | instskip(NEXT) | instid1(VALU_DEP_1)
	v_min_u32_e32 v22, 32, v19
	v_subrev_nc_u32_e32 v19, 29, v22
	s_delay_alu instid0(VALU_DEP_1) | instskip(SKIP_1) | instid1(VALU_DEP_2)
	v_lshlrev_b64_e32 v[18:19], v19, v[18:19]
	v_sub_nc_u32_e32 v19, 30, v22
	v_and_b32_e32 v22, 3, v18
; %bb.734:                              ;   in Loop: Header=BB4_129 Depth=2
	s_or_b32 exec_lo, exec_lo, s27
	v_and_b32_e32 v18, 0x80000000, v25
                                        ; implicit-def: $vgpr24_vgpr25
	s_delay_alu instid0(VALU_DEP_1) | instskip(NEXT) | instid1(VALU_DEP_1)
	v_lshl_add_u32 v18, v19, 23, v18
	v_lshl_or_b32 v18, v22, 21, v18
                                        ; implicit-def: $vgpr22
	s_delay_alu instid0(VALU_DEP_1)
	v_add_nc_u32_e32 v19, 0x38000000, v18
.LBB4_735:                              ;   in Loop: Header=BB4_129 Depth=2
	s_and_not1_saveexec_b32 s26, s26
; %bb.736:                              ;   in Loop: Header=BB4_129 Depth=2
	v_cmp_lt_i64_e32 vcc_lo, -1, v[24:25]
	v_cndmask_b32_e32 v18, 0xff800000, v126, vcc_lo
	v_cmp_eq_u32_e32 vcc_lo, 0, v22
	s_delay_alu instid0(VALU_DEP_2)
	v_cndmask_b32_e32 v19, 0x7f800001, v18, vcc_lo
; %bb.737:                              ;   in Loop: Header=BB4_129 Depth=2
	s_or_b32 exec_lo, exec_lo, s26
.LBB4_738:                              ;   in Loop: Header=BB4_129 Depth=2
	s_delay_alu instid0(SALU_CYCLE_1)
	s_or_b32 exec_lo, exec_lo, s25
.LBB4_739:                              ;   in Loop: Header=BB4_129 Depth=2
	s_delay_alu instid0(SALU_CYCLE_1) | instskip(NEXT) | instid1(SALU_CYCLE_1)
	s_or_b32 exec_lo, exec_lo, s10
	s_mov_b32 s10, exec_lo
	v_cmpx_lt_u64_e64 s[12:13], v[20:21]
	s_cbranch_execz .LBB4_749
; %bb.740:                              ;   in Loop: Header=BB4_129 Depth=2
	v_lshrrev_b32_e32 v18, 24, v21
	v_bfrev_b32_e32 v3, 1
	s_mov_b32 s25, exec_lo
	s_delay_alu instid0(VALU_DEP_2)
	v_cmpx_ne_u32_e32 0x80, v18
	s_cbranch_execz .LBB4_748
; %bb.741:                              ;   in Loop: Header=BB4_129 Depth=2
	v_and_b32_e32 v3, 0x7c000000, v21
	v_bfe_u32 v22, v21, 24, 2
	s_delay_alu instid0(VALU_DEP_2) | instskip(SKIP_1) | instid1(SALU_CYCLE_1)
	v_cmp_ne_u32_e32 vcc_lo, 0x7c000000, v3
                                        ; implicit-def: $vgpr3
	s_and_saveexec_b32 s26, vcc_lo
	s_xor_b32 s26, exec_lo, s26
	s_cbranch_execz .LBB4_745
; %bb.742:                              ;   in Loop: Header=BB4_129 Depth=2
	v_bfe_u32 v3, v21, 26, 5
	s_mov_b32 s27, exec_lo
	s_delay_alu instid0(VALU_DEP_1)
	v_cmpx_eq_u32_e32 0, v3
; %bb.743:                              ;   in Loop: Header=BB4_129 Depth=2
	v_clz_i32_u32_e32 v3, v22
	s_delay_alu instid0(VALU_DEP_1) | instskip(NEXT) | instid1(VALU_DEP_1)
	v_min_u32_e32 v3, 32, v3
	v_subrev_nc_u32_e32 v20, 29, v3
	s_delay_alu instid0(VALU_DEP_1) | instskip(NEXT) | instid1(VALU_DEP_1)
	v_lshlrev_b64_e32 v[22:23], v20, v[18:19]
	v_dual_sub_nc_u32 v3, 30, v3 :: v_dual_bitop2_b32 v22, 3, v22 bitop3:0x40
; %bb.744:                              ;   in Loop: Header=BB4_129 Depth=2
	s_or_b32 exec_lo, exec_lo, s27
	v_and_b32_e32 v18, 0x80000000, v21
                                        ; implicit-def: $vgpr20_vgpr21
	s_delay_alu instid0(VALU_DEP_1) | instskip(NEXT) | instid1(VALU_DEP_1)
	v_lshl_add_u32 v3, v3, 23, v18
	v_lshl_or_b32 v3, v22, 21, v3
                                        ; implicit-def: $vgpr22
	s_delay_alu instid0(VALU_DEP_1)
	v_add_nc_u32_e32 v3, 0x38000000, v3
.LBB4_745:                              ;   in Loop: Header=BB4_129 Depth=2
	s_and_not1_saveexec_b32 s26, s26
; %bb.746:                              ;   in Loop: Header=BB4_129 Depth=2
	v_cmp_lt_i64_e32 vcc_lo, -1, v[20:21]
	v_cndmask_b32_e32 v3, 0xff800000, v126, vcc_lo
	v_cmp_eq_u32_e32 vcc_lo, 0, v22
	s_delay_alu instid0(VALU_DEP_2)
	v_cndmask_b32_e32 v3, 0x7f800001, v3, vcc_lo
; %bb.747:                              ;   in Loop: Header=BB4_129 Depth=2
	s_or_b32 exec_lo, exec_lo, s26
.LBB4_748:                              ;   in Loop: Header=BB4_129 Depth=2
	s_delay_alu instid0(SALU_CYCLE_1)
	s_or_b32 exec_lo, exec_lo, s25
.LBB4_749:                              ;   in Loop: Header=BB4_129 Depth=2
	s_delay_alu instid0(SALU_CYCLE_1) | instskip(NEXT) | instid1(VALU_DEP_1)
	s_or_b32 exec_lo, exec_lo, s10
	v_dual_mul_f32 v18, v19, v3 :: v_dual_mov_b32 v21, v65
                                        ; implicit-def: $vgpr3
	s_mov_b32 s10, exec_lo
	s_delay_alu instid0(VALU_DEP_1) | instskip(SKIP_2) | instid1(VALU_DEP_3)
	v_and_b32_e32 v20, 0x7f800000, v18
	v_and_b32_e32 v64, 0x7fffff, v18
	v_lshrrev_b32_e32 v19, 24, v18
	v_cmpx_ne_u64_e32 0x7f800000, v[20:21]
	s_xor_b32 s25, exec_lo, s10
	s_cbranch_execz .LBB4_763
; %bb.750:                              ;   in Loop: Header=BB4_129 Depth=2
	v_and_b32_e32 v20, 0x7fffffff, v18
	v_mov_b32_e32 v21, v65
	v_and_b32_e32 v22, 0x80, v19
                                        ; implicit-def: $vgpr3
	s_mov_b32 s10, exec_lo
	s_delay_alu instid0(VALU_DEP_2)
	v_cmpx_gt_u64_e32 0x47600001, v[20:21]
	s_xor_b32 s26, exec_lo, s10
	s_cbranch_execz .LBB4_760
; %bb.751:                              ;   in Loop: Header=BB4_129 Depth=2
	v_mov_b32_e32 v3, 0
	s_mov_b32 s27, exec_lo
	v_cmpx_ne_u32_e32 0, v18
	s_cbranch_execz .LBB4_759
; %bb.752:                              ;   in Loop: Header=BB4_129 Depth=2
	v_bfe_u32 v3, v18, 23, 8
	v_or_b32_e32 v20, 0x800000, v64
	s_delay_alu instid0(VALU_DEP_2) | instskip(SKIP_1) | instid1(VALU_DEP_2)
	v_sub_nc_u32_e32 v18, 0x71, v3
	v_cmp_gt_u32_e32 vcc_lo, 0x72, v3
	v_cndmask_b32_e32 v18, 0, v18, vcc_lo
	v_cmp_eq_u32_e32 vcc_lo, 0, v3
	s_delay_alu instid0(VALU_DEP_2) | instskip(NEXT) | instid1(VALU_DEP_1)
	v_cndmask_b32_e64 v23, v18, 0x70, vcc_lo
	v_dual_cndmask_b32 v64, v20, v64, vcc_lo :: v_dual_add_nc_u32 v18, 21, v23
	v_add_nc_u32_e32 v21, 20, v23
	s_delay_alu instid0(VALU_DEP_2) | instskip(NEXT) | instid1(VALU_DEP_2)
	v_lshlrev_b64_e64 v[18:19], v18, -1
	v_lshlrev_b64_e64 v[20:21], v21, 1
	s_delay_alu instid0(VALU_DEP_2) | instskip(NEXT) | instid1(VALU_DEP_3)
	v_bfi_b32 v25, v19, 0, 0
	v_bfi_b32 v24, v18, 0, v64
	v_lshrrev_b64 v[18:19], v23, v[64:65]
	s_delay_alu instid0(VALU_DEP_2) | instskip(NEXT) | instid1(VALU_DEP_2)
	v_cmp_eq_u64_e64 s10, v[24:25], v[20:21]
	v_mov_b64_e32 v[20:21], v[18:19]
	s_and_saveexec_b32 s28, s10
; %bb.753:                              ;   in Loop: Header=BB4_129 Depth=2
	v_bfe_u32 v64, v18, 21, 1
	s_delay_alu instid0(VALU_DEP_1) | instskip(NEXT) | instid1(VALU_DEP_1)
	v_add_nc_u64_e32 v[20:21], v[18:19], v[64:65]
	v_add_nc_u64_e32 v[20:21], -1, v[20:21]
; %bb.754:                              ;   in Loop: Header=BB4_129 Depth=2
	s_or_b32 exec_lo, exec_lo, s28
	v_add_nc_u32_e32 v3, 0xffffff81, v3
	v_lshrrev_b32_e32 v19, 23, v18
	s_mov_b32 s10, exec_lo
	s_delay_alu instid0(VALU_DEP_2) | instskip(NEXT) | instid1(VALU_DEP_1)
	v_cndmask_b32_e64 v3, v3, 0xffffff82, vcc_lo
	v_add3_u32 v21, v23, v3, v19
	v_and_b32_e32 v3, 0x1fffff, v20
	s_delay_alu instid0(VALU_DEP_1) | instskip(NEXT) | instid1(VALU_DEP_1)
	v_dual_add_nc_u32 v20, 14, v21 :: v_dual_add_nc_u32 v64, v3, v18
                                        ; implicit-def: $vgpr18_vgpr19
                                        ; implicit-def: $vgpr3
	v_cmpx_ne_u32_e32 0, v20
	s_xor_b32 s10, exec_lo, s10
; %bb.755:                              ;   in Loop: Header=BB4_129 Depth=2
	s_delay_alu instid0(VALU_DEP_2) | instskip(SKIP_2) | instid1(VALU_DEP_2)
	v_cmp_lt_u64_e32 vcc_lo, 0xffffff, v[64:65]
	v_add_nc_u32_e32 v3, 15, v21
	v_cndmask_b32_e64 v18, 0, 1, vcc_lo
	v_cndmask_b32_e32 v3, v20, v3, vcc_lo
	s_delay_alu instid0(VALU_DEP_2)
	v_lshrrev_b64 v[18:19], v18, v[64:65]
; %bb.756:                              ;   in Loop: Header=BB4_129 Depth=2
	s_and_not1_saveexec_b32 s10, s10
; %bb.757:                              ;   in Loop: Header=BB4_129 Depth=2
	v_mov_b64_e32 v[18:19], v[64:65]
	v_bfe_u32 v3, v64, 23, 1
; %bb.758:                              ;   in Loop: Header=BB4_129 Depth=2
	s_or_b32 exec_lo, exec_lo, s10
	s_delay_alu instid0(VALU_DEP_2) | instskip(NEXT) | instid1(VALU_DEP_2)
	v_lshrrev_b64 v[18:19], 21, v[18:19]
	v_cmp_gt_i32_e32 vcc_lo, 32, v3
	v_min_i32_e32 v20, 31, v3
	v_cmp_eq_u32_e64 s10, 0, v3
	s_delay_alu instid0(VALU_DEP_2) | instskip(SKIP_1) | instid1(VALU_DEP_2)
	v_dual_cndmask_b32 v18, 3, v18, vcc_lo :: v_dual_lshlrev_b32 v20, 2, v20
	v_cndmask_b32_e32 v19, 0, v19, vcc_lo
	v_and_b32_e32 v20, 0xfc, v20
	s_delay_alu instid0(VALU_DEP_2) | instskip(NEXT) | instid1(VALU_DEP_2)
	v_cmp_eq_u64_e32 vcc_lo, 0, v[18:19]
	v_and_or_b32 v3, v18, 3, v20
	s_and_b32 s10, s10, vcc_lo
	s_delay_alu instid0(VALU_DEP_1) | instid1(SALU_CYCLE_1)
	v_cndmask_b32_e64 v3, v3, 0, s10
	s_delay_alu instid0(VALU_DEP_1)
	v_or_b32_e32 v3, v3, v22
.LBB4_759:                              ;   in Loop: Header=BB4_129 Depth=2
	s_or_b32 exec_lo, exec_lo, s27
                                        ; implicit-def: $vgpr22
.LBB4_760:                              ;   in Loop: Header=BB4_129 Depth=2
	s_and_not1_saveexec_b32 s10, s26
; %bb.761:                              ;   in Loop: Header=BB4_129 Depth=2
	v_or_b32_e32 v3, 0x7b, v22
; %bb.762:                              ;   in Loop: Header=BB4_129 Depth=2
	s_or_b32 exec_lo, exec_lo, s10
                                        ; implicit-def: $vgpr18
                                        ; implicit-def: $vgpr19
.LBB4_763:                              ;   in Loop: Header=BB4_129 Depth=2
	s_and_not1_saveexec_b32 s10, s25
	s_cbranch_execz .LBB4_769
; %bb.764:                              ;   in Loop: Header=BB4_129 Depth=2
	s_mov_b32 s25, exec_lo
                                        ; implicit-def: $vgpr3
	v_cmpx_ne_u64_e32 0, v[64:65]
	s_xor_b32 s25, exec_lo, s25
; %bb.765:                              ;   in Loop: Header=BB4_129 Depth=2
	v_or_b32_e32 v3, 0x7f, v19
                                        ; implicit-def: $vgpr18
; %bb.766:                              ;   in Loop: Header=BB4_129 Depth=2
	s_and_not1_saveexec_b32 s25, s25
; %bb.767:                              ;   in Loop: Header=BB4_129 Depth=2
	v_cmp_lt_i32_e32 vcc_lo, -1, v18
	v_cndmask_b32_e32 v3, 0xfc, v68, vcc_lo
; %bb.768:                              ;   in Loop: Header=BB4_129 Depth=2
	s_or_b32 exec_lo, exec_lo, s25
.LBB4_769:                              ;   in Loop: Header=BB4_129 Depth=2
	s_delay_alu instid0(SALU_CYCLE_1) | instskip(SKIP_2) | instid1(VALU_DEP_2)
	s_or_b32 exec_lo, exec_lo, s10
	v_and_b32_e32 v19, 0xff, v14
	v_mov_b32_e32 v18, 0
	v_cmp_ne_u16_e32 vcc_lo, 0, v19
	v_mov_b32_e32 v19, 0
	s_and_saveexec_b32 s10, vcc_lo
	s_cbranch_execz .LBB4_779
; %bb.770:                              ;   in Loop: Header=BB4_129 Depth=2
	v_bfe_i32 v21, v14, 0, 8
	v_bfrev_b32_e32 v19, 1
	s_mov_b32 s25, exec_lo
	s_delay_alu instid0(VALU_DEP_2)
	v_cmpx_ne_u16_e32 0xff80, v21
	s_cbranch_execz .LBB4_778
; %bb.771:                              ;   in Loop: Header=BB4_129 Depth=2
	v_and_b32_e32 v19, 0x7c, v14
	v_and_b32_e32 v20, 3, v14
	s_delay_alu instid0(VALU_DEP_2) | instskip(SKIP_1) | instid1(SALU_CYCLE_1)
	v_cmp_ne_u32_e32 vcc_lo, 0x7c, v19
                                        ; implicit-def: $vgpr19
	s_and_saveexec_b32 s26, vcc_lo
	s_xor_b32 s26, exec_lo, s26
	s_cbranch_execz .LBB4_775
; %bb.772:                              ;   in Loop: Header=BB4_129 Depth=2
	v_bfe_u32 v19, v14, 2, 5
	s_mov_b32 s27, exec_lo
	s_delay_alu instid0(VALU_DEP_1)
	v_cmpx_eq_u32_e32 0, v19
; %bb.773:                              ;   in Loop: Header=BB4_129 Depth=2
	v_clz_i32_u32_e32 v19, v20
	s_delay_alu instid0(VALU_DEP_1) | instskip(NEXT) | instid1(VALU_DEP_1)
	v_min_u32_e32 v19, 32, v19
	v_subrev_nc_u32_e32 v20, 29, v19
	s_delay_alu instid0(VALU_DEP_1) | instskip(NEXT) | instid1(VALU_DEP_1)
	v_lshlrev_b64_e32 v[20:21], v20, v[14:15]
	v_dual_sub_nc_u32 v19, 30, v19 :: v_dual_bitop2_b32 v20, 3, v20 bitop3:0x40
; %bb.774:                              ;   in Loop: Header=BB4_129 Depth=2
	s_or_b32 exec_lo, exec_lo, s27
	v_lshlrev_b32_e32 v21, 24, v14
	s_delay_alu instid0(VALU_DEP_1) | instskip(NEXT) | instid1(VALU_DEP_1)
	v_and_b32_e32 v21, 0x80000000, v21
	v_lshl_add_u32 v19, v19, 23, v21
                                        ; implicit-def: $vgpr21
	s_delay_alu instid0(VALU_DEP_1) | instskip(NEXT) | instid1(VALU_DEP_1)
	v_lshl_or_b32 v19, v20, 21, v19
                                        ; implicit-def: $vgpr20
	v_add_nc_u32_e32 v19, 0x38000000, v19
.LBB4_775:                              ;   in Loop: Header=BB4_129 Depth=2
	s_and_not1_saveexec_b32 s26, s26
; %bb.776:                              ;   in Loop: Header=BB4_129 Depth=2
	v_cmp_lt_i16_e32 vcc_lo, -1, v21
	v_cndmask_b32_e32 v19, 0xff800000, v126, vcc_lo
	v_cmp_eq_u32_e32 vcc_lo, 0, v20
	s_delay_alu instid0(VALU_DEP_2)
	v_cndmask_b32_e32 v19, 0x7f800001, v19, vcc_lo
; %bb.777:                              ;   in Loop: Header=BB4_129 Depth=2
	s_or_b32 exec_lo, exec_lo, s26
.LBB4_778:                              ;   in Loop: Header=BB4_129 Depth=2
	s_delay_alu instid0(SALU_CYCLE_1)
	s_or_b32 exec_lo, exec_lo, s25
.LBB4_779:                              ;   in Loop: Header=BB4_129 Depth=2
	s_delay_alu instid0(SALU_CYCLE_1) | instskip(SKIP_3) | instid1(VALU_DEP_1)
	s_or_b32 exec_lo, exec_lo, s10
	s_wait_loadcnt 0x0
	v_and_b32_e32 v20, 0xff, v10
	s_mov_b32 s10, exec_lo
	v_cmpx_ne_u16_e32 0, v20
	s_cbranch_execz .LBB4_789
; %bb.780:                              ;   in Loop: Header=BB4_129 Depth=2
	v_bfe_i32 v21, v10, 0, 8
	v_bfrev_b32_e32 v18, 1
	s_mov_b32 s25, exec_lo
	s_delay_alu instid0(VALU_DEP_2)
	v_cmpx_ne_u16_e32 0xff80, v21
	s_cbranch_execz .LBB4_788
; %bb.781:                              ;   in Loop: Header=BB4_129 Depth=2
	v_and_b32_e32 v18, 0x7c, v10
	v_and_b32_e32 v20, 3, v10
	s_delay_alu instid0(VALU_DEP_2) | instskip(SKIP_1) | instid1(SALU_CYCLE_1)
	v_cmp_ne_u32_e32 vcc_lo, 0x7c, v18
                                        ; implicit-def: $vgpr18
	s_and_saveexec_b32 s26, vcc_lo
	s_xor_b32 s26, exec_lo, s26
	s_cbranch_execz .LBB4_785
; %bb.782:                              ;   in Loop: Header=BB4_129 Depth=2
	v_bfe_u32 v18, v10, 2, 5
	s_mov_b32 s27, exec_lo
	s_delay_alu instid0(VALU_DEP_1)
	v_cmpx_eq_u32_e32 0, v18
; %bb.783:                              ;   in Loop: Header=BB4_129 Depth=2
	v_clz_i32_u32_e32 v18, v20
	s_delay_alu instid0(VALU_DEP_1) | instskip(NEXT) | instid1(VALU_DEP_1)
	v_min_u32_e32 v18, 32, v18
	v_subrev_nc_u32_e32 v20, 29, v18
	s_delay_alu instid0(VALU_DEP_1) | instskip(NEXT) | instid1(VALU_DEP_1)
	v_lshlrev_b64_e32 v[20:21], v20, v[10:11]
	v_dual_sub_nc_u32 v18, 30, v18 :: v_dual_bitop2_b32 v20, 3, v20 bitop3:0x40
; %bb.784:                              ;   in Loop: Header=BB4_129 Depth=2
	s_or_b32 exec_lo, exec_lo, s27
	v_lshlrev_b32_e32 v21, 24, v10
	s_delay_alu instid0(VALU_DEP_1) | instskip(NEXT) | instid1(VALU_DEP_1)
	v_and_b32_e32 v21, 0x80000000, v21
	v_lshl_add_u32 v18, v18, 23, v21
                                        ; implicit-def: $vgpr21
	s_delay_alu instid0(VALU_DEP_1) | instskip(NEXT) | instid1(VALU_DEP_1)
	v_lshl_or_b32 v18, v20, 21, v18
                                        ; implicit-def: $vgpr20
	v_add_nc_u32_e32 v18, 0x38000000, v18
.LBB4_785:                              ;   in Loop: Header=BB4_129 Depth=2
	s_and_not1_saveexec_b32 s26, s26
; %bb.786:                              ;   in Loop: Header=BB4_129 Depth=2
	v_cmp_lt_i16_e32 vcc_lo, -1, v21
	v_cndmask_b32_e32 v18, 0xff800000, v126, vcc_lo
	v_cmp_eq_u32_e32 vcc_lo, 0, v20
	s_delay_alu instid0(VALU_DEP_2)
	v_cndmask_b32_e32 v18, 0x7f800001, v18, vcc_lo
; %bb.787:                              ;   in Loop: Header=BB4_129 Depth=2
	s_or_b32 exec_lo, exec_lo, s26
.LBB4_788:                              ;   in Loop: Header=BB4_129 Depth=2
	s_delay_alu instid0(SALU_CYCLE_1)
	s_or_b32 exec_lo, exec_lo, s25
.LBB4_789:                              ;   in Loop: Header=BB4_129 Depth=2
	s_delay_alu instid0(SALU_CYCLE_1) | instskip(NEXT) | instid1(VALU_DEP_1)
	s_or_b32 exec_lo, exec_lo, s10
	v_dual_mul_f32 v18, v19, v18 :: v_dual_mov_b32 v21, v65
                                        ; implicit-def: $vgpr22
	s_mov_b32 s10, exec_lo
	s_delay_alu instid0(VALU_DEP_1) | instskip(SKIP_2) | instid1(VALU_DEP_3)
	v_and_b32_e32 v20, 0x7f800000, v18
	v_and_b32_e32 v64, 0x7fffff, v18
	v_lshrrev_b32_e32 v19, 24, v18
	v_cmpx_ne_u64_e32 0x7f800000, v[20:21]
	s_xor_b32 s25, exec_lo, s10
	s_cbranch_execz .LBB4_803
; %bb.790:                              ;   in Loop: Header=BB4_129 Depth=2
	v_and_b32_e32 v20, 0x7fffffff, v18
	v_mov_b32_e32 v21, v65
	v_and_b32_e32 v23, 0x80, v19
                                        ; implicit-def: $vgpr22
	s_mov_b32 s10, exec_lo
	s_delay_alu instid0(VALU_DEP_2)
	v_cmpx_gt_u64_e32 0x47600001, v[20:21]
	s_xor_b32 s26, exec_lo, s10
	s_cbranch_execz .LBB4_800
; %bb.791:                              ;   in Loop: Header=BB4_129 Depth=2
	v_mov_b32_e32 v22, 0
	s_mov_b32 s27, exec_lo
	v_cmpx_ne_u32_e32 0, v18
	s_cbranch_execz .LBB4_799
; %bb.792:                              ;   in Loop: Header=BB4_129 Depth=2
	v_bfe_u32 v22, v18, 23, 8
	v_or_b32_e32 v20, 0x800000, v64
	s_delay_alu instid0(VALU_DEP_2) | instskip(SKIP_1) | instid1(VALU_DEP_2)
	v_sub_nc_u32_e32 v18, 0x71, v22
	v_cmp_gt_u32_e32 vcc_lo, 0x72, v22
	v_cndmask_b32_e32 v18, 0, v18, vcc_lo
	v_cmp_eq_u32_e32 vcc_lo, 0, v22
	s_delay_alu instid0(VALU_DEP_2) | instskip(SKIP_1) | instid1(VALU_DEP_2)
	v_cndmask_b32_e64 v24, v18, 0x70, vcc_lo
	v_cndmask_b32_e32 v64, v20, v64, vcc_lo
	v_dual_add_nc_u32 v18, 21, v24 :: v_dual_add_nc_u32 v21, 20, v24
	s_delay_alu instid0(VALU_DEP_1) | instskip(NEXT) | instid1(VALU_DEP_2)
	v_lshlrev_b64_e64 v[18:19], v18, -1
	v_lshlrev_b64_e64 v[20:21], v21, 1
	s_delay_alu instid0(VALU_DEP_2) | instskip(NEXT) | instid1(VALU_DEP_3)
	v_bfi_b32 v57, v19, 0, 0
	v_bfi_b32 v56, v18, 0, v64
	v_lshrrev_b64 v[18:19], v24, v[64:65]
	s_delay_alu instid0(VALU_DEP_2) | instskip(NEXT) | instid1(VALU_DEP_2)
	v_cmp_eq_u64_e64 s10, v[56:57], v[20:21]
	v_mov_b64_e32 v[20:21], v[18:19]
	s_and_saveexec_b32 s28, s10
; %bb.793:                              ;   in Loop: Header=BB4_129 Depth=2
	v_bfe_u32 v64, v18, 21, 1
	s_delay_alu instid0(VALU_DEP_1) | instskip(NEXT) | instid1(VALU_DEP_1)
	v_add_nc_u64_e32 v[20:21], v[18:19], v[64:65]
	v_add_nc_u64_e32 v[20:21], -1, v[20:21]
; %bb.794:                              ;   in Loop: Header=BB4_129 Depth=2
	s_or_b32 exec_lo, exec_lo, s28
	v_add_nc_u32_e32 v19, 0xffffff81, v22
	v_lshrrev_b32_e32 v21, 23, v18
	s_mov_b32 s10, exec_lo
	s_delay_alu instid0(VALU_DEP_2) | instskip(NEXT) | instid1(VALU_DEP_1)
	v_cndmask_b32_e64 v19, v19, 0xffffff82, vcc_lo
	v_add3_u32 v21, v24, v19, v21
	v_and_b32_e32 v19, 0x1fffff, v20
                                        ; implicit-def: $vgpr20
	s_delay_alu instid0(VALU_DEP_1) | instskip(NEXT) | instid1(VALU_DEP_1)
	v_dual_add_nc_u32 v22, 14, v21 :: v_dual_add_nc_u32 v64, v19, v18
                                        ; implicit-def: $vgpr18_vgpr19
	v_cmpx_ne_u32_e32 0, v22
	s_xor_b32 s10, exec_lo, s10
; %bb.795:                              ;   in Loop: Header=BB4_129 Depth=2
	s_delay_alu instid0(VALU_DEP_2) | instskip(SKIP_1) | instid1(VALU_DEP_1)
	v_cmp_lt_u64_e32 vcc_lo, 0xffffff, v[64:65]
	v_add_nc_u32_e32 v18, 15, v21
	v_cndmask_b32_e32 v20, v22, v18, vcc_lo
	v_cndmask_b32_e64 v18, 0, 1, vcc_lo
	s_delay_alu instid0(VALU_DEP_1)
	v_lshrrev_b64 v[18:19], v18, v[64:65]
; %bb.796:                              ;   in Loop: Header=BB4_129 Depth=2
	s_and_not1_saveexec_b32 s10, s10
; %bb.797:                              ;   in Loop: Header=BB4_129 Depth=2
	v_mov_b64_e32 v[18:19], v[64:65]
	v_bfe_u32 v20, v64, 23, 1
; %bb.798:                              ;   in Loop: Header=BB4_129 Depth=2
	s_or_b32 exec_lo, exec_lo, s10
	s_delay_alu instid0(VALU_DEP_2) | instskip(NEXT) | instid1(VALU_DEP_2)
	v_lshrrev_b64 v[18:19], 21, v[18:19]
	v_cmp_gt_i32_e32 vcc_lo, 32, v20
	v_min_i32_e32 v21, 31, v20
	v_cmp_eq_u32_e64 s10, 0, v20
	s_delay_alu instid0(VALU_DEP_2) | instskip(SKIP_1) | instid1(VALU_DEP_2)
	v_dual_cndmask_b32 v19, 0, v19, vcc_lo :: v_dual_lshlrev_b32 v21, 2, v21
	v_cndmask_b32_e32 v18, 3, v18, vcc_lo
	v_and_b32_e32 v21, 0xfc, v21
	s_delay_alu instid0(VALU_DEP_2) | instskip(NEXT) | instid1(VALU_DEP_2)
	v_cmp_eq_u64_e32 vcc_lo, 0, v[18:19]
	v_and_or_b32 v18, v18, 3, v21
	s_and_b32 s10, s10, vcc_lo
	s_delay_alu instid0(VALU_DEP_1) | instid1(SALU_CYCLE_1)
	v_cndmask_b32_e64 v18, v18, 0, s10
	s_delay_alu instid0(VALU_DEP_1)
	v_or_b32_e32 v22, v18, v23
.LBB4_799:                              ;   in Loop: Header=BB4_129 Depth=2
	s_or_b32 exec_lo, exec_lo, s27
                                        ; implicit-def: $vgpr23
.LBB4_800:                              ;   in Loop: Header=BB4_129 Depth=2
	s_and_not1_saveexec_b32 s10, s26
; %bb.801:                              ;   in Loop: Header=BB4_129 Depth=2
	v_or_b32_e32 v22, 0x7b, v23
; %bb.802:                              ;   in Loop: Header=BB4_129 Depth=2
	s_or_b32 exec_lo, exec_lo, s10
                                        ; implicit-def: $vgpr18
                                        ; implicit-def: $vgpr19
.LBB4_803:                              ;   in Loop: Header=BB4_129 Depth=2
	s_and_not1_saveexec_b32 s10, s25
	s_cbranch_execz .LBB4_809
; %bb.804:                              ;   in Loop: Header=BB4_129 Depth=2
	s_mov_b32 s25, exec_lo
                                        ; implicit-def: $vgpr22
	v_cmpx_ne_u64_e32 0, v[64:65]
	s_xor_b32 s25, exec_lo, s25
; %bb.805:                              ;   in Loop: Header=BB4_129 Depth=2
	v_or_b32_e32 v22, 0x7f, v19
                                        ; implicit-def: $vgpr18
; %bb.806:                              ;   in Loop: Header=BB4_129 Depth=2
	s_and_not1_saveexec_b32 s25, s25
; %bb.807:                              ;   in Loop: Header=BB4_129 Depth=2
	v_cmp_lt_i32_e32 vcc_lo, -1, v18
	v_cndmask_b32_e32 v22, 0xfc, v68, vcc_lo
; %bb.808:                              ;   in Loop: Header=BB4_129 Depth=2
	s_or_b32 exec_lo, exec_lo, s25
.LBB4_809:                              ;   in Loop: Header=BB4_129 Depth=2
	s_delay_alu instid0(SALU_CYCLE_1) | instskip(SKIP_3) | instid1(VALU_DEP_2)
	s_or_b32 exec_lo, exec_lo, s10
	v_lshrrev_b16 v64, 8, v14
	v_dual_mov_b32 v18, 0 :: v_dual_mov_b32 v19, 0
	s_mov_b32 s10, exec_lo
	v_cmpx_ne_u16_e32 0, v64
	s_cbranch_execz .LBB4_819
; %bb.810:                              ;   in Loop: Header=BB4_129 Depth=2
	v_bfrev_b32_e32 v19, 1
	s_mov_b32 s25, exec_lo
	v_cmpx_ne_u16_e32 0x80, v64
	s_cbranch_execz .LBB4_818
; %bb.811:                              ;   in Loop: Header=BB4_129 Depth=2
	v_and_b32_e32 v21, 0xffff, v64
	s_delay_alu instid0(VALU_DEP_1) | instskip(SKIP_1) | instid1(VALU_DEP_2)
	v_and_b32_e32 v19, 0x7c, v21
	v_and_b32_e32 v20, 3, v21
	v_cmp_ne_u32_e32 vcc_lo, 0x7c, v19
                                        ; implicit-def: $vgpr19
	s_and_saveexec_b32 s26, vcc_lo
	s_delay_alu instid0(SALU_CYCLE_1)
	s_xor_b32 s26, exec_lo, s26
	s_cbranch_execz .LBB4_815
; %bb.812:                              ;   in Loop: Header=BB4_129 Depth=2
	v_bfe_u32 v19, v21, 2, 5
	s_mov_b32 s27, exec_lo
	s_delay_alu instid0(VALU_DEP_1)
	v_cmpx_eq_u32_e32 0, v19
; %bb.813:                              ;   in Loop: Header=BB4_129 Depth=2
	v_clz_i32_u32_e32 v19, v20
	s_delay_alu instid0(VALU_DEP_1) | instskip(NEXT) | instid1(VALU_DEP_1)
	v_min_u32_e32 v19, 32, v19
	v_subrev_nc_u32_e32 v20, 29, v19
	s_delay_alu instid0(VALU_DEP_1) | instskip(NEXT) | instid1(VALU_DEP_1)
	v_lshlrev_b64_e32 v[20:21], v20, v[64:65]
	v_dual_sub_nc_u32 v19, 30, v19 :: v_dual_bitop2_b32 v20, 3, v20 bitop3:0x40
; %bb.814:                              ;   in Loop: Header=BB4_129 Depth=2
	s_or_b32 exec_lo, exec_lo, s27
	v_lshlrev_b32_e32 v21, 16, v14
	s_delay_alu instid0(VALU_DEP_1) | instskip(NEXT) | instid1(VALU_DEP_1)
	v_and_b32_e32 v21, 0x80000000, v21
	v_lshl_add_u32 v19, v19, 23, v21
	s_delay_alu instid0(VALU_DEP_1) | instskip(NEXT) | instid1(VALU_DEP_1)
	v_lshl_or_b32 v19, v20, 21, v19
                                        ; implicit-def: $vgpr20
	v_add_nc_u32_e32 v19, 0x38000000, v19
.LBB4_815:                              ;   in Loop: Header=BB4_129 Depth=2
	s_and_not1_saveexec_b32 s26, s26
; %bb.816:                              ;   in Loop: Header=BB4_129 Depth=2
	v_cmp_lt_i16_e32 vcc_lo, -1, v14
	v_cndmask_b32_e32 v19, 0xff800000, v126, vcc_lo
	v_cmp_eq_u32_e32 vcc_lo, 0, v20
	s_delay_alu instid0(VALU_DEP_2)
	v_cndmask_b32_e32 v19, 0x7f800001, v19, vcc_lo
; %bb.817:                              ;   in Loop: Header=BB4_129 Depth=2
	s_or_b32 exec_lo, exec_lo, s26
.LBB4_818:                              ;   in Loop: Header=BB4_129 Depth=2
	s_delay_alu instid0(SALU_CYCLE_1)
	s_or_b32 exec_lo, exec_lo, s25
.LBB4_819:                              ;   in Loop: Header=BB4_129 Depth=2
	s_delay_alu instid0(SALU_CYCLE_1) | instskip(SKIP_2) | instid1(VALU_DEP_1)
	s_or_b32 exec_lo, exec_lo, s10
	v_lshrrev_b16 v64, 8, v10
	s_mov_b32 s10, exec_lo
	v_cmpx_ne_u16_e32 0, v64
	s_cbranch_execz .LBB4_829
; %bb.820:                              ;   in Loop: Header=BB4_129 Depth=2
	v_bfrev_b32_e32 v18, 1
	s_mov_b32 s25, exec_lo
	v_cmpx_ne_u16_e32 0x80, v64
	s_cbranch_execz .LBB4_828
; %bb.821:                              ;   in Loop: Header=BB4_129 Depth=2
	v_and_b32_e32 v21, 0xffff, v64
	s_delay_alu instid0(VALU_DEP_1) | instskip(SKIP_1) | instid1(VALU_DEP_2)
	v_and_b32_e32 v18, 0x7c, v21
	v_and_b32_e32 v20, 3, v21
	v_cmp_ne_u32_e32 vcc_lo, 0x7c, v18
                                        ; implicit-def: $vgpr18
	s_and_saveexec_b32 s26, vcc_lo
	s_delay_alu instid0(SALU_CYCLE_1)
	s_xor_b32 s26, exec_lo, s26
	s_cbranch_execz .LBB4_825
; %bb.822:                              ;   in Loop: Header=BB4_129 Depth=2
	v_bfe_u32 v18, v21, 2, 5
	s_mov_b32 s27, exec_lo
	s_delay_alu instid0(VALU_DEP_1)
	v_cmpx_eq_u32_e32 0, v18
; %bb.823:                              ;   in Loop: Header=BB4_129 Depth=2
	v_clz_i32_u32_e32 v18, v20
	s_delay_alu instid0(VALU_DEP_1) | instskip(NEXT) | instid1(VALU_DEP_1)
	v_min_u32_e32 v18, 32, v18
	v_subrev_nc_u32_e32 v20, 29, v18
	s_delay_alu instid0(VALU_DEP_1) | instskip(NEXT) | instid1(VALU_DEP_1)
	v_lshlrev_b64_e32 v[20:21], v20, v[64:65]
	v_dual_sub_nc_u32 v18, 30, v18 :: v_dual_bitop2_b32 v20, 3, v20 bitop3:0x40
; %bb.824:                              ;   in Loop: Header=BB4_129 Depth=2
	s_or_b32 exec_lo, exec_lo, s27
	v_lshlrev_b32_e32 v21, 16, v10
	s_delay_alu instid0(VALU_DEP_1) | instskip(NEXT) | instid1(VALU_DEP_1)
	v_and_b32_e32 v21, 0x80000000, v21
	v_lshl_add_u32 v18, v18, 23, v21
	s_delay_alu instid0(VALU_DEP_1) | instskip(NEXT) | instid1(VALU_DEP_1)
	v_lshl_or_b32 v18, v20, 21, v18
                                        ; implicit-def: $vgpr20
	v_add_nc_u32_e32 v18, 0x38000000, v18
.LBB4_825:                              ;   in Loop: Header=BB4_129 Depth=2
	s_and_not1_saveexec_b32 s26, s26
; %bb.826:                              ;   in Loop: Header=BB4_129 Depth=2
	v_cmp_lt_i16_e32 vcc_lo, -1, v10
	v_cndmask_b32_e32 v18, 0xff800000, v126, vcc_lo
	v_cmp_eq_u32_e32 vcc_lo, 0, v20
	s_delay_alu instid0(VALU_DEP_2)
	v_cndmask_b32_e32 v18, 0x7f800001, v18, vcc_lo
; %bb.827:                              ;   in Loop: Header=BB4_129 Depth=2
	s_or_b32 exec_lo, exec_lo, s26
.LBB4_828:                              ;   in Loop: Header=BB4_129 Depth=2
	s_delay_alu instid0(SALU_CYCLE_1)
	s_or_b32 exec_lo, exec_lo, s25
.LBB4_829:                              ;   in Loop: Header=BB4_129 Depth=2
	s_delay_alu instid0(SALU_CYCLE_1) | instskip(NEXT) | instid1(VALU_DEP_1)
	s_or_b32 exec_lo, exec_lo, s10
	v_dual_mul_f32 v18, v19, v18 :: v_dual_mov_b32 v21, v65
                                        ; implicit-def: $vgpr23
	s_mov_b32 s10, exec_lo
	s_delay_alu instid0(VALU_DEP_1) | instskip(SKIP_2) | instid1(VALU_DEP_3)
	v_and_b32_e32 v20, 0x7f800000, v18
	v_and_b32_e32 v64, 0x7fffff, v18
	v_lshrrev_b32_e32 v19, 24, v18
	v_cmpx_ne_u64_e32 0x7f800000, v[20:21]
	s_xor_b32 s25, exec_lo, s10
	s_cbranch_execz .LBB4_843
; %bb.830:                              ;   in Loop: Header=BB4_129 Depth=2
	v_and_b32_e32 v20, 0x7fffffff, v18
	v_mov_b32_e32 v21, v65
	v_and_b32_e32 v24, 0x80, v19
                                        ; implicit-def: $vgpr23
	s_mov_b32 s10, exec_lo
	s_delay_alu instid0(VALU_DEP_2)
	v_cmpx_gt_u64_e32 0x47600001, v[20:21]
	s_xor_b32 s26, exec_lo, s10
	s_cbranch_execz .LBB4_840
; %bb.831:                              ;   in Loop: Header=BB4_129 Depth=2
	v_mov_b32_e32 v23, 0
	s_mov_b32 s27, exec_lo
	v_cmpx_ne_u32_e32 0, v18
	s_cbranch_execz .LBB4_839
; %bb.832:                              ;   in Loop: Header=BB4_129 Depth=2
	v_bfe_u32 v23, v18, 23, 8
	v_or_b32_e32 v20, 0x800000, v64
	s_delay_alu instid0(VALU_DEP_2) | instskip(SKIP_1) | instid1(VALU_DEP_2)
	v_sub_nc_u32_e32 v18, 0x71, v23
	v_cmp_gt_u32_e32 vcc_lo, 0x72, v23
	v_cndmask_b32_e32 v18, 0, v18, vcc_lo
	v_cmp_eq_u32_e32 vcc_lo, 0, v23
	s_delay_alu instid0(VALU_DEP_2) | instskip(NEXT) | instid1(VALU_DEP_1)
	v_cndmask_b32_e64 v25, v18, 0x70, vcc_lo
	v_dual_cndmask_b32 v64, v20, v64, vcc_lo :: v_dual_add_nc_u32 v18, 21, v25
	v_add_nc_u32_e32 v21, 20, v25
	s_delay_alu instid0(VALU_DEP_2) | instskip(NEXT) | instid1(VALU_DEP_2)
	v_lshlrev_b64_e64 v[18:19], v18, -1
	v_lshlrev_b64_e64 v[20:21], v21, 1
	s_delay_alu instid0(VALU_DEP_2) | instskip(NEXT) | instid1(VALU_DEP_3)
	v_bfi_b32 v57, v19, 0, 0
	v_bfi_b32 v56, v18, 0, v64
	v_lshrrev_b64 v[18:19], v25, v[64:65]
	s_delay_alu instid0(VALU_DEP_2) | instskip(NEXT) | instid1(VALU_DEP_2)
	v_cmp_eq_u64_e64 s10, v[56:57], v[20:21]
	v_mov_b64_e32 v[20:21], v[18:19]
	s_and_saveexec_b32 s28, s10
; %bb.833:                              ;   in Loop: Header=BB4_129 Depth=2
	v_bfe_u32 v64, v18, 21, 1
	s_delay_alu instid0(VALU_DEP_1) | instskip(NEXT) | instid1(VALU_DEP_1)
	v_add_nc_u64_e32 v[20:21], v[18:19], v[64:65]
	v_add_nc_u64_e32 v[20:21], -1, v[20:21]
; %bb.834:                              ;   in Loop: Header=BB4_129 Depth=2
	s_or_b32 exec_lo, exec_lo, s28
	v_add_nc_u32_e32 v19, 0xffffff81, v23
	v_lshrrev_b32_e32 v21, 23, v18
	s_mov_b32 s10, exec_lo
	s_delay_alu instid0(VALU_DEP_2) | instskip(NEXT) | instid1(VALU_DEP_1)
	v_cndmask_b32_e64 v19, v19, 0xffffff82, vcc_lo
	v_add3_u32 v21, v25, v19, v21
	v_and_b32_e32 v19, 0x1fffff, v20
                                        ; implicit-def: $vgpr20
	s_delay_alu instid0(VALU_DEP_1) | instskip(NEXT) | instid1(VALU_DEP_1)
	v_dual_add_nc_u32 v23, 14, v21 :: v_dual_add_nc_u32 v64, v19, v18
                                        ; implicit-def: $vgpr18_vgpr19
	v_cmpx_ne_u32_e32 0, v23
	s_xor_b32 s10, exec_lo, s10
; %bb.835:                              ;   in Loop: Header=BB4_129 Depth=2
	s_delay_alu instid0(VALU_DEP_2) | instskip(SKIP_1) | instid1(VALU_DEP_1)
	v_cmp_lt_u64_e32 vcc_lo, 0xffffff, v[64:65]
	v_add_nc_u32_e32 v18, 15, v21
	v_cndmask_b32_e32 v20, v23, v18, vcc_lo
	v_cndmask_b32_e64 v18, 0, 1, vcc_lo
	s_delay_alu instid0(VALU_DEP_1)
	v_lshrrev_b64 v[18:19], v18, v[64:65]
; %bb.836:                              ;   in Loop: Header=BB4_129 Depth=2
	s_and_not1_saveexec_b32 s10, s10
; %bb.837:                              ;   in Loop: Header=BB4_129 Depth=2
	v_mov_b64_e32 v[18:19], v[64:65]
	v_bfe_u32 v20, v64, 23, 1
; %bb.838:                              ;   in Loop: Header=BB4_129 Depth=2
	s_or_b32 exec_lo, exec_lo, s10
	s_delay_alu instid0(VALU_DEP_2) | instskip(NEXT) | instid1(VALU_DEP_2)
	v_lshrrev_b64 v[18:19], 21, v[18:19]
	v_cmp_gt_i32_e32 vcc_lo, 32, v20
	v_min_i32_e32 v21, 31, v20
	v_cmp_eq_u32_e64 s10, 0, v20
	s_delay_alu instid0(VALU_DEP_2) | instskip(SKIP_1) | instid1(VALU_DEP_2)
	v_dual_cndmask_b32 v19, 0, v19, vcc_lo :: v_dual_lshlrev_b32 v21, 2, v21
	v_cndmask_b32_e32 v18, 3, v18, vcc_lo
	v_and_b32_e32 v21, 0xfc, v21
	s_delay_alu instid0(VALU_DEP_2) | instskip(NEXT) | instid1(VALU_DEP_2)
	v_cmp_eq_u64_e32 vcc_lo, 0, v[18:19]
	v_and_or_b32 v18, v18, 3, v21
	s_and_b32 s10, s10, vcc_lo
	s_delay_alu instid0(VALU_DEP_1) | instid1(SALU_CYCLE_1)
	v_cndmask_b32_e64 v18, v18, 0, s10
	s_delay_alu instid0(VALU_DEP_1)
	v_or_b32_e32 v23, v18, v24
.LBB4_839:                              ;   in Loop: Header=BB4_129 Depth=2
	s_or_b32 exec_lo, exec_lo, s27
                                        ; implicit-def: $vgpr24
.LBB4_840:                              ;   in Loop: Header=BB4_129 Depth=2
	s_and_not1_saveexec_b32 s10, s26
; %bb.841:                              ;   in Loop: Header=BB4_129 Depth=2
	v_or_b32_e32 v23, 0x7b, v24
; %bb.842:                              ;   in Loop: Header=BB4_129 Depth=2
	s_or_b32 exec_lo, exec_lo, s10
                                        ; implicit-def: $vgpr18
                                        ; implicit-def: $vgpr19
.LBB4_843:                              ;   in Loop: Header=BB4_129 Depth=2
	s_and_not1_saveexec_b32 s10, s25
	s_cbranch_execz .LBB4_849
; %bb.844:                              ;   in Loop: Header=BB4_129 Depth=2
	s_mov_b32 s25, exec_lo
                                        ; implicit-def: $vgpr23
	v_cmpx_ne_u64_e32 0, v[64:65]
	s_xor_b32 s25, exec_lo, s25
; %bb.845:                              ;   in Loop: Header=BB4_129 Depth=2
	v_or_b32_e32 v23, 0x7f, v19
                                        ; implicit-def: $vgpr18
; %bb.846:                              ;   in Loop: Header=BB4_129 Depth=2
	s_and_not1_saveexec_b32 s25, s25
; %bb.847:                              ;   in Loop: Header=BB4_129 Depth=2
	v_cmp_lt_i32_e32 vcc_lo, -1, v18
	v_cndmask_b32_e32 v23, 0xfc, v68, vcc_lo
; %bb.848:                              ;   in Loop: Header=BB4_129 Depth=2
	s_or_b32 exec_lo, exec_lo, s25
.LBB4_849:                              ;   in Loop: Header=BB4_129 Depth=2
	s_delay_alu instid0(SALU_CYCLE_1) | instskip(SKIP_3) | instid1(VALU_DEP_2)
	s_or_b32 exec_lo, exec_lo, s10
	v_dual_mov_b32 v19, 0 :: v_dual_lshrrev_b32 v18, 16, v14
	v_mov_b32_e32 v20, 0
	s_mov_b32 s10, exec_lo
	v_and_b32_e32 v21, 0xff, v18
	s_delay_alu instid0(VALU_DEP_1)
	v_cmpx_ne_u16_e32 0, v21
	s_cbranch_execz .LBB4_859
; %bb.850:                              ;   in Loop: Header=BB4_129 Depth=2
	v_bfrev_b32_e32 v20, 1
	s_mov_b32 s25, exec_lo
	v_cmpx_ne_u16_e32 0x80, v21
	s_cbranch_execz .LBB4_858
; %bb.851:                              ;   in Loop: Header=BB4_129 Depth=2
	v_and_b32_e32 v20, 0x7c0000, v14
	v_bfe_u32 v21, v14, 16, 2
	s_delay_alu instid0(VALU_DEP_2) | instskip(SKIP_1) | instid1(SALU_CYCLE_1)
	v_cmp_ne_u32_e32 vcc_lo, 0x7c0000, v20
                                        ; implicit-def: $vgpr20
	s_and_saveexec_b32 s26, vcc_lo
	s_xor_b32 s26, exec_lo, s26
	s_cbranch_execz .LBB4_855
; %bb.852:                              ;   in Loop: Header=BB4_129 Depth=2
	v_bfe_u32 v20, v14, 18, 5
	s_mov_b32 s27, exec_lo
	s_delay_alu instid0(VALU_DEP_1)
	v_cmpx_eq_u32_e32 0, v20
; %bb.853:                              ;   in Loop: Header=BB4_129 Depth=2
	v_clz_i32_u32_e32 v20, v21
	s_delay_alu instid0(VALU_DEP_1) | instskip(NEXT) | instid1(VALU_DEP_1)
	v_min_u32_e32 v20, 32, v20
	v_subrev_nc_u32_e32 v21, 29, v20
	v_sub_nc_u32_e32 v20, 30, v20
	s_delay_alu instid0(VALU_DEP_2) | instskip(NEXT) | instid1(VALU_DEP_1)
	v_lshlrev_b64_e32 v[24:25], v21, v[18:19]
	v_and_b32_e32 v21, 3, v24
; %bb.854:                              ;   in Loop: Header=BB4_129 Depth=2
	s_or_b32 exec_lo, exec_lo, s27
	v_lshlrev_b32_e32 v18, 24, v18
	s_delay_alu instid0(VALU_DEP_1) | instskip(NEXT) | instid1(VALU_DEP_1)
	v_and_b32_e32 v18, 0x80000000, v18
	v_lshl_add_u32 v18, v20, 23, v18
	s_delay_alu instid0(VALU_DEP_1) | instskip(NEXT) | instid1(VALU_DEP_1)
	v_lshl_or_b32 v18, v21, 21, v18
                                        ; implicit-def: $vgpr21
	v_add_nc_u32_e32 v20, 0x38000000, v18
                                        ; implicit-def: $vgpr18
.LBB4_855:                              ;   in Loop: Header=BB4_129 Depth=2
	s_and_not1_saveexec_b32 s26, s26
; %bb.856:                              ;   in Loop: Header=BB4_129 Depth=2
	v_bfe_i32 v18, v18, 0, 8
	s_delay_alu instid0(VALU_DEP_1) | instskip(SKIP_2) | instid1(VALU_DEP_2)
	v_cmp_lt_i16_e32 vcc_lo, -1, v18
	v_cndmask_b32_e32 v18, 0xff800000, v126, vcc_lo
	v_cmp_eq_u32_e32 vcc_lo, 0, v21
	v_cndmask_b32_e32 v20, 0x7f800001, v18, vcc_lo
; %bb.857:                              ;   in Loop: Header=BB4_129 Depth=2
	s_or_b32 exec_lo, exec_lo, s26
.LBB4_858:                              ;   in Loop: Header=BB4_129 Depth=2
	s_delay_alu instid0(SALU_CYCLE_1)
	s_or_b32 exec_lo, exec_lo, s25
.LBB4_859:                              ;   in Loop: Header=BB4_129 Depth=2
	s_delay_alu instid0(SALU_CYCLE_1) | instskip(SKIP_2) | instid1(VALU_DEP_1)
	s_or_b32 exec_lo, exec_lo, s10
	v_lshrrev_b32_e32 v18, 16, v10
	s_mov_b32 s10, exec_lo
	v_and_b32_e32 v21, 0xff, v18
	s_delay_alu instid0(VALU_DEP_1)
	v_cmpx_ne_u16_e32 0, v21
	s_cbranch_execz .LBB4_869
; %bb.860:                              ;   in Loop: Header=BB4_129 Depth=2
	v_bfrev_b32_e32 v19, 1
	s_mov_b32 s25, exec_lo
	v_cmpx_ne_u16_e32 0x80, v21
	s_cbranch_execz .LBB4_868
; %bb.861:                              ;   in Loop: Header=BB4_129 Depth=2
	v_and_b32_e32 v19, 0x7c0000, v10
	v_bfe_u32 v21, v10, 16, 2
	s_delay_alu instid0(VALU_DEP_2) | instskip(SKIP_1) | instid1(SALU_CYCLE_1)
	v_cmp_ne_u32_e32 vcc_lo, 0x7c0000, v19
                                        ; implicit-def: $vgpr19
	s_and_saveexec_b32 s26, vcc_lo
	s_xor_b32 s26, exec_lo, s26
	s_cbranch_execz .LBB4_865
; %bb.862:                              ;   in Loop: Header=BB4_129 Depth=2
	v_bfe_u32 v19, v10, 18, 5
	s_mov_b32 s27, exec_lo
	s_delay_alu instid0(VALU_DEP_1)
	v_cmpx_eq_u32_e32 0, v19
; %bb.863:                              ;   in Loop: Header=BB4_129 Depth=2
	v_clz_i32_u32_e32 v19, v21
	s_delay_alu instid0(VALU_DEP_1) | instskip(NEXT) | instid1(VALU_DEP_1)
	v_min_u32_e32 v19, 32, v19
	v_subrev_nc_u32_e32 v21, 29, v19
	s_delay_alu instid0(VALU_DEP_1) | instskip(NEXT) | instid1(VALU_DEP_1)
	v_lshlrev_b64_e32 v[24:25], v21, v[18:19]
	v_dual_sub_nc_u32 v19, 30, v19 :: v_dual_bitop2_b32 v21, 3, v24 bitop3:0x40
; %bb.864:                              ;   in Loop: Header=BB4_129 Depth=2
	s_or_b32 exec_lo, exec_lo, s27
	v_lshlrev_b32_e32 v18, 24, v18
	s_delay_alu instid0(VALU_DEP_1) | instskip(NEXT) | instid1(VALU_DEP_1)
	v_and_b32_e32 v18, 0x80000000, v18
	v_lshl_add_u32 v18, v19, 23, v18
	s_delay_alu instid0(VALU_DEP_1) | instskip(NEXT) | instid1(VALU_DEP_1)
	v_lshl_or_b32 v18, v21, 21, v18
                                        ; implicit-def: $vgpr21
	v_add_nc_u32_e32 v19, 0x38000000, v18
                                        ; implicit-def: $vgpr18
.LBB4_865:                              ;   in Loop: Header=BB4_129 Depth=2
	s_and_not1_saveexec_b32 s26, s26
; %bb.866:                              ;   in Loop: Header=BB4_129 Depth=2
	v_bfe_i32 v18, v18, 0, 8
	s_delay_alu instid0(VALU_DEP_1) | instskip(SKIP_2) | instid1(VALU_DEP_2)
	v_cmp_lt_i16_e32 vcc_lo, -1, v18
	v_cndmask_b32_e32 v18, 0xff800000, v126, vcc_lo
	v_cmp_eq_u32_e32 vcc_lo, 0, v21
	v_cndmask_b32_e32 v19, 0x7f800001, v18, vcc_lo
; %bb.867:                              ;   in Loop: Header=BB4_129 Depth=2
	s_or_b32 exec_lo, exec_lo, s26
.LBB4_868:                              ;   in Loop: Header=BB4_129 Depth=2
	s_delay_alu instid0(SALU_CYCLE_1)
	s_or_b32 exec_lo, exec_lo, s25
.LBB4_869:                              ;   in Loop: Header=BB4_129 Depth=2
	s_delay_alu instid0(SALU_CYCLE_1) | instskip(NEXT) | instid1(VALU_DEP_1)
	s_or_b32 exec_lo, exec_lo, s10
	v_dual_mul_f32 v18, v20, v19 :: v_dual_mov_b32 v21, v65
                                        ; implicit-def: $vgpr24
	s_mov_b32 s10, exec_lo
	s_delay_alu instid0(VALU_DEP_1) | instskip(SKIP_2) | instid1(VALU_DEP_3)
	v_and_b32_e32 v20, 0x7f800000, v18
	v_and_b32_e32 v64, 0x7fffff, v18
	v_lshrrev_b32_e32 v19, 24, v18
	v_cmpx_ne_u64_e32 0x7f800000, v[20:21]
	s_xor_b32 s25, exec_lo, s10
	s_cbranch_execz .LBB4_883
; %bb.870:                              ;   in Loop: Header=BB4_129 Depth=2
	v_and_b32_e32 v20, 0x7fffffff, v18
	v_mov_b32_e32 v21, v65
	v_and_b32_e32 v25, 0x80, v19
                                        ; implicit-def: $vgpr24
	s_mov_b32 s10, exec_lo
	s_delay_alu instid0(VALU_DEP_2)
	v_cmpx_gt_u64_e32 0x47600001, v[20:21]
	s_xor_b32 s26, exec_lo, s10
	s_cbranch_execz .LBB4_880
; %bb.871:                              ;   in Loop: Header=BB4_129 Depth=2
	v_mov_b32_e32 v24, 0
	s_mov_b32 s27, exec_lo
	v_cmpx_ne_u32_e32 0, v18
	s_cbranch_execz .LBB4_879
; %bb.872:                              ;   in Loop: Header=BB4_129 Depth=2
	v_bfe_u32 v24, v18, 23, 8
	v_or_b32_e32 v20, 0x800000, v64
	s_delay_alu instid0(VALU_DEP_2) | instskip(SKIP_1) | instid1(VALU_DEP_2)
	v_sub_nc_u32_e32 v18, 0x71, v24
	v_cmp_gt_u32_e32 vcc_lo, 0x72, v24
	v_cndmask_b32_e32 v18, 0, v18, vcc_lo
	v_cmp_eq_u32_e32 vcc_lo, 0, v24
	s_delay_alu instid0(VALU_DEP_2) | instskip(SKIP_1) | instid1(VALU_DEP_2)
	v_cndmask_b32_e64 v56, v18, 0x70, vcc_lo
	v_cndmask_b32_e32 v64, v20, v64, vcc_lo
	v_dual_add_nc_u32 v18, 21, v56 :: v_dual_add_nc_u32 v21, 20, v56
	s_delay_alu instid0(VALU_DEP_1) | instskip(NEXT) | instid1(VALU_DEP_2)
	v_lshlrev_b64_e64 v[18:19], v18, -1
	v_lshlrev_b64_e64 v[20:21], v21, 1
	s_delay_alu instid0(VALU_DEP_2) | instskip(NEXT) | instid1(VALU_DEP_3)
	v_bfi_b32 v59, v19, 0, 0
	v_bfi_b32 v58, v18, 0, v64
	v_lshrrev_b64 v[18:19], v56, v[64:65]
	s_delay_alu instid0(VALU_DEP_2) | instskip(NEXT) | instid1(VALU_DEP_2)
	v_cmp_eq_u64_e64 s10, v[58:59], v[20:21]
	v_mov_b64_e32 v[20:21], v[18:19]
	s_and_saveexec_b32 s28, s10
; %bb.873:                              ;   in Loop: Header=BB4_129 Depth=2
	v_bfe_u32 v64, v18, 21, 1
	s_delay_alu instid0(VALU_DEP_1) | instskip(NEXT) | instid1(VALU_DEP_1)
	v_add_nc_u64_e32 v[20:21], v[18:19], v[64:65]
	v_add_nc_u64_e32 v[20:21], -1, v[20:21]
; %bb.874:                              ;   in Loop: Header=BB4_129 Depth=2
	s_or_b32 exec_lo, exec_lo, s28
	v_add_nc_u32_e32 v19, 0xffffff81, v24
	v_lshrrev_b32_e32 v21, 23, v18
	s_mov_b32 s10, exec_lo
	s_delay_alu instid0(VALU_DEP_2) | instskip(NEXT) | instid1(VALU_DEP_1)
	v_cndmask_b32_e64 v19, v19, 0xffffff82, vcc_lo
	v_add3_u32 v21, v56, v19, v21
	v_and_b32_e32 v19, 0x1fffff, v20
                                        ; implicit-def: $vgpr20
	s_delay_alu instid0(VALU_DEP_1) | instskip(NEXT) | instid1(VALU_DEP_1)
	v_dual_add_nc_u32 v24, 14, v21 :: v_dual_add_nc_u32 v64, v19, v18
                                        ; implicit-def: $vgpr18_vgpr19
	v_cmpx_ne_u32_e32 0, v24
	s_xor_b32 s10, exec_lo, s10
; %bb.875:                              ;   in Loop: Header=BB4_129 Depth=2
	s_delay_alu instid0(VALU_DEP_2) | instskip(SKIP_1) | instid1(VALU_DEP_1)
	v_cmp_lt_u64_e32 vcc_lo, 0xffffff, v[64:65]
	v_add_nc_u32_e32 v18, 15, v21
	v_cndmask_b32_e32 v20, v24, v18, vcc_lo
	v_cndmask_b32_e64 v18, 0, 1, vcc_lo
	s_delay_alu instid0(VALU_DEP_1)
	v_lshrrev_b64 v[18:19], v18, v[64:65]
; %bb.876:                              ;   in Loop: Header=BB4_129 Depth=2
	s_and_not1_saveexec_b32 s10, s10
; %bb.877:                              ;   in Loop: Header=BB4_129 Depth=2
	v_mov_b64_e32 v[18:19], v[64:65]
	v_bfe_u32 v20, v64, 23, 1
; %bb.878:                              ;   in Loop: Header=BB4_129 Depth=2
	s_or_b32 exec_lo, exec_lo, s10
	s_delay_alu instid0(VALU_DEP_2) | instskip(NEXT) | instid1(VALU_DEP_2)
	v_lshrrev_b64 v[18:19], 21, v[18:19]
	v_cmp_gt_i32_e32 vcc_lo, 32, v20
	v_min_i32_e32 v21, 31, v20
	v_cmp_eq_u32_e64 s10, 0, v20
	s_delay_alu instid0(VALU_DEP_2) | instskip(SKIP_1) | instid1(VALU_DEP_2)
	v_dual_cndmask_b32 v19, 0, v19, vcc_lo :: v_dual_lshlrev_b32 v21, 2, v21
	v_cndmask_b32_e32 v18, 3, v18, vcc_lo
	v_and_b32_e32 v21, 0xfc, v21
	s_delay_alu instid0(VALU_DEP_2) | instskip(NEXT) | instid1(VALU_DEP_2)
	v_cmp_eq_u64_e32 vcc_lo, 0, v[18:19]
	v_and_or_b32 v18, v18, 3, v21
	s_and_b32 s10, s10, vcc_lo
	s_delay_alu instid0(VALU_DEP_1) | instid1(SALU_CYCLE_1)
	v_cndmask_b32_e64 v18, v18, 0, s10
	s_delay_alu instid0(VALU_DEP_1)
	v_or_b32_e32 v24, v18, v25
.LBB4_879:                              ;   in Loop: Header=BB4_129 Depth=2
	s_or_b32 exec_lo, exec_lo, s27
                                        ; implicit-def: $vgpr25
.LBB4_880:                              ;   in Loop: Header=BB4_129 Depth=2
	s_and_not1_saveexec_b32 s10, s26
; %bb.881:                              ;   in Loop: Header=BB4_129 Depth=2
	v_or_b32_e32 v24, 0x7b, v25
; %bb.882:                              ;   in Loop: Header=BB4_129 Depth=2
	s_or_b32 exec_lo, exec_lo, s10
                                        ; implicit-def: $vgpr18
                                        ; implicit-def: $vgpr19
.LBB4_883:                              ;   in Loop: Header=BB4_129 Depth=2
	s_and_not1_saveexec_b32 s10, s25
	s_cbranch_execz .LBB4_889
; %bb.884:                              ;   in Loop: Header=BB4_129 Depth=2
	s_mov_b32 s25, exec_lo
                                        ; implicit-def: $vgpr24
	v_cmpx_ne_u64_e32 0, v[64:65]
	s_xor_b32 s25, exec_lo, s25
; %bb.885:                              ;   in Loop: Header=BB4_129 Depth=2
	v_or_b32_e32 v24, 0x7f, v19
                                        ; implicit-def: $vgpr18
; %bb.886:                              ;   in Loop: Header=BB4_129 Depth=2
	s_and_not1_saveexec_b32 s25, s25
; %bb.887:                              ;   in Loop: Header=BB4_129 Depth=2
	v_cmp_lt_i32_e32 vcc_lo, -1, v18
	v_cndmask_b32_e32 v24, 0xfc, v68, vcc_lo
; %bb.888:                              ;   in Loop: Header=BB4_129 Depth=2
	s_or_b32 exec_lo, exec_lo, s25
.LBB4_889:                              ;   in Loop: Header=BB4_129 Depth=2
	s_delay_alu instid0(SALU_CYCLE_1)
	s_or_b32 exec_lo, exec_lo, s10
	v_dual_mov_b32 v19, 0 :: v_dual_mov_b32 v20, 0
	s_mov_b32 s10, exec_lo
	v_cmpx_lt_u32_e32 0xffffff, v14
	s_cbranch_execz .LBB4_899
; %bb.890:                              ;   in Loop: Header=BB4_129 Depth=2
	v_lshrrev_b32_e32 v18, 24, v14
	v_bfrev_b32_e32 v20, 1
	s_mov_b32 s25, exec_lo
	s_delay_alu instid0(VALU_DEP_2)
	v_cmpx_ne_u32_e32 0x80, v18
	s_cbranch_execz .LBB4_898
; %bb.891:                              ;   in Loop: Header=BB4_129 Depth=2
	v_and_b32_e32 v20, 0x7c000000, v14
	v_bfe_u32 v21, v14, 24, 2
	s_delay_alu instid0(VALU_DEP_2) | instskip(SKIP_1) | instid1(SALU_CYCLE_1)
	v_cmp_ne_u32_e32 vcc_lo, 0x7c000000, v20
                                        ; implicit-def: $vgpr20
	s_and_saveexec_b32 s26, vcc_lo
	s_xor_b32 s26, exec_lo, s26
	s_cbranch_execz .LBB4_895
; %bb.892:                              ;   in Loop: Header=BB4_129 Depth=2
	v_bfe_u32 v20, v14, 26, 5
	s_mov_b32 s27, exec_lo
	s_delay_alu instid0(VALU_DEP_1)
	v_cmpx_eq_u32_e32 0, v20
; %bb.893:                              ;   in Loop: Header=BB4_129 Depth=2
	v_clz_i32_u32_e32 v20, v21
	s_delay_alu instid0(VALU_DEP_1) | instskip(NEXT) | instid1(VALU_DEP_1)
	v_min_u32_e32 v20, 32, v20
	v_subrev_nc_u32_e32 v21, 29, v20
	v_sub_nc_u32_e32 v20, 30, v20
	s_delay_alu instid0(VALU_DEP_2) | instskip(NEXT) | instid1(VALU_DEP_1)
	v_lshlrev_b64_e32 v[56:57], v21, v[18:19]
	v_and_b32_e32 v21, 3, v56
; %bb.894:                              ;   in Loop: Header=BB4_129 Depth=2
	s_or_b32 exec_lo, exec_lo, s27
	v_and_b32_e32 v18, 0x80000000, v14
	s_delay_alu instid0(VALU_DEP_1) | instskip(NEXT) | instid1(VALU_DEP_1)
	v_lshl_add_u32 v18, v20, 23, v18
	v_lshl_or_b32 v18, v21, 21, v18
                                        ; implicit-def: $vgpr21
	s_delay_alu instid0(VALU_DEP_1)
	v_add_nc_u32_e32 v20, 0x38000000, v18
.LBB4_895:                              ;   in Loop: Header=BB4_129 Depth=2
	s_and_not1_saveexec_b32 s26, s26
; %bb.896:                              ;   in Loop: Header=BB4_129 Depth=2
	v_cmp_lt_i32_e32 vcc_lo, -1, v14
	v_cndmask_b32_e32 v18, 0xff800000, v126, vcc_lo
	v_cmp_eq_u32_e32 vcc_lo, 0, v21
	s_delay_alu instid0(VALU_DEP_2)
	v_cndmask_b32_e32 v20, 0x7f800001, v18, vcc_lo
; %bb.897:                              ;   in Loop: Header=BB4_129 Depth=2
	s_or_b32 exec_lo, exec_lo, s26
.LBB4_898:                              ;   in Loop: Header=BB4_129 Depth=2
	s_delay_alu instid0(SALU_CYCLE_1)
	s_or_b32 exec_lo, exec_lo, s25
.LBB4_899:                              ;   in Loop: Header=BB4_129 Depth=2
	s_delay_alu instid0(SALU_CYCLE_1) | instskip(NEXT) | instid1(SALU_CYCLE_1)
	s_or_b32 exec_lo, exec_lo, s10
	s_mov_b32 s10, exec_lo
	v_cmpx_lt_u32_e32 0xffffff, v10
	s_cbranch_execz .LBB4_909
; %bb.900:                              ;   in Loop: Header=BB4_129 Depth=2
	v_lshrrev_b32_e32 v18, 24, v10
	v_bfrev_b32_e32 v19, 1
	s_mov_b32 s25, exec_lo
	s_delay_alu instid0(VALU_DEP_2)
	v_cmpx_ne_u32_e32 0x80, v18
	s_cbranch_execz .LBB4_908
; %bb.901:                              ;   in Loop: Header=BB4_129 Depth=2
	v_and_b32_e32 v19, 0x7c000000, v10
	v_bfe_u32 v21, v10, 24, 2
	s_delay_alu instid0(VALU_DEP_2) | instskip(SKIP_1) | instid1(SALU_CYCLE_1)
	v_cmp_ne_u32_e32 vcc_lo, 0x7c000000, v19
                                        ; implicit-def: $vgpr19
	s_and_saveexec_b32 s26, vcc_lo
	s_xor_b32 s26, exec_lo, s26
	s_cbranch_execz .LBB4_905
; %bb.902:                              ;   in Loop: Header=BB4_129 Depth=2
	v_bfe_u32 v19, v10, 26, 5
	s_mov_b32 s27, exec_lo
	s_delay_alu instid0(VALU_DEP_1)
	v_cmpx_eq_u32_e32 0, v19
; %bb.903:                              ;   in Loop: Header=BB4_129 Depth=2
	v_clz_i32_u32_e32 v19, v21
	s_delay_alu instid0(VALU_DEP_1) | instskip(NEXT) | instid1(VALU_DEP_1)
	v_min_u32_e32 v21, 32, v19
	v_subrev_nc_u32_e32 v19, 29, v21
	s_delay_alu instid0(VALU_DEP_1) | instskip(NEXT) | instid1(VALU_DEP_1)
	v_lshlrev_b64_e32 v[18:19], v19, v[18:19]
	v_dual_sub_nc_u32 v19, 30, v21 :: v_dual_bitop2_b32 v21, 3, v18 bitop3:0x40
; %bb.904:                              ;   in Loop: Header=BB4_129 Depth=2
	s_or_b32 exec_lo, exec_lo, s27
	v_and_b32_e32 v18, 0x80000000, v10
	s_delay_alu instid0(VALU_DEP_1) | instskip(NEXT) | instid1(VALU_DEP_1)
	v_lshl_add_u32 v18, v19, 23, v18
	v_lshl_or_b32 v18, v21, 21, v18
                                        ; implicit-def: $vgpr21
	s_delay_alu instid0(VALU_DEP_1)
	v_add_nc_u32_e32 v19, 0x38000000, v18
.LBB4_905:                              ;   in Loop: Header=BB4_129 Depth=2
	s_and_not1_saveexec_b32 s26, s26
; %bb.906:                              ;   in Loop: Header=BB4_129 Depth=2
	v_cmp_lt_i32_e32 vcc_lo, -1, v10
	v_cndmask_b32_e32 v18, 0xff800000, v126, vcc_lo
	v_cmp_eq_u32_e32 vcc_lo, 0, v21
	s_delay_alu instid0(VALU_DEP_2)
	v_cndmask_b32_e32 v19, 0x7f800001, v18, vcc_lo
; %bb.907:                              ;   in Loop: Header=BB4_129 Depth=2
	s_or_b32 exec_lo, exec_lo, s26
.LBB4_908:                              ;   in Loop: Header=BB4_129 Depth=2
	s_delay_alu instid0(SALU_CYCLE_1)
	s_or_b32 exec_lo, exec_lo, s25
.LBB4_909:                              ;   in Loop: Header=BB4_129 Depth=2
	s_delay_alu instid0(SALU_CYCLE_1) | instskip(NEXT) | instid1(VALU_DEP_1)
	s_or_b32 exec_lo, exec_lo, s10
	v_dual_mul_f32 v18, v20, v19 :: v_dual_mov_b32 v21, v65
                                        ; implicit-def: $vgpr25
	s_mov_b32 s10, exec_lo
	s_delay_alu instid0(VALU_DEP_1) | instskip(SKIP_2) | instid1(VALU_DEP_3)
	v_and_b32_e32 v20, 0x7f800000, v18
	v_and_b32_e32 v64, 0x7fffff, v18
	v_lshrrev_b32_e32 v19, 24, v18
	v_cmpx_ne_u64_e32 0x7f800000, v[20:21]
	s_xor_b32 s25, exec_lo, s10
	s_cbranch_execz .LBB4_923
; %bb.910:                              ;   in Loop: Header=BB4_129 Depth=2
	v_and_b32_e32 v20, 0x7fffffff, v18
	v_mov_b32_e32 v21, v65
	v_and_b32_e32 v56, 0x80, v19
                                        ; implicit-def: $vgpr25
	s_mov_b32 s10, exec_lo
	s_delay_alu instid0(VALU_DEP_2)
	v_cmpx_gt_u64_e32 0x47600001, v[20:21]
	s_xor_b32 s26, exec_lo, s10
	s_cbranch_execz .LBB4_920
; %bb.911:                              ;   in Loop: Header=BB4_129 Depth=2
	v_mov_b32_e32 v25, 0
	s_mov_b32 s27, exec_lo
	v_cmpx_ne_u32_e32 0, v18
	s_cbranch_execz .LBB4_919
; %bb.912:                              ;   in Loop: Header=BB4_129 Depth=2
	v_bfe_u32 v25, v18, 23, 8
	v_or_b32_e32 v20, 0x800000, v64
	s_delay_alu instid0(VALU_DEP_2) | instskip(SKIP_1) | instid1(VALU_DEP_2)
	v_sub_nc_u32_e32 v18, 0x71, v25
	v_cmp_gt_u32_e32 vcc_lo, 0x72, v25
	v_cndmask_b32_e32 v18, 0, v18, vcc_lo
	v_cmp_eq_u32_e32 vcc_lo, 0, v25
	s_delay_alu instid0(VALU_DEP_2) | instskip(NEXT) | instid1(VALU_DEP_1)
	v_cndmask_b32_e64 v57, v18, 0x70, vcc_lo
	v_dual_cndmask_b32 v64, v20, v64, vcc_lo :: v_dual_add_nc_u32 v18, 21, v57
	v_add_nc_u32_e32 v21, 20, v57
	s_delay_alu instid0(VALU_DEP_2) | instskip(NEXT) | instid1(VALU_DEP_2)
	v_lshlrev_b64_e64 v[18:19], v18, -1
	v_lshlrev_b64_e64 v[20:21], v21, 1
	s_delay_alu instid0(VALU_DEP_2) | instskip(NEXT) | instid1(VALU_DEP_3)
	v_bfi_b32 v59, v19, 0, 0
	v_bfi_b32 v58, v18, 0, v64
	v_lshrrev_b64 v[18:19], v57, v[64:65]
	s_delay_alu instid0(VALU_DEP_2) | instskip(NEXT) | instid1(VALU_DEP_2)
	v_cmp_eq_u64_e64 s10, v[58:59], v[20:21]
	v_mov_b64_e32 v[20:21], v[18:19]
	s_and_saveexec_b32 s28, s10
; %bb.913:                              ;   in Loop: Header=BB4_129 Depth=2
	v_bfe_u32 v64, v18, 21, 1
	s_delay_alu instid0(VALU_DEP_1) | instskip(NEXT) | instid1(VALU_DEP_1)
	v_add_nc_u64_e32 v[20:21], v[18:19], v[64:65]
	v_add_nc_u64_e32 v[20:21], -1, v[20:21]
; %bb.914:                              ;   in Loop: Header=BB4_129 Depth=2
	s_or_b32 exec_lo, exec_lo, s28
	v_add_nc_u32_e32 v19, 0xffffff81, v25
	v_lshrrev_b32_e32 v21, 23, v18
	s_mov_b32 s10, exec_lo
	s_delay_alu instid0(VALU_DEP_2) | instskip(NEXT) | instid1(VALU_DEP_1)
	v_cndmask_b32_e64 v19, v19, 0xffffff82, vcc_lo
	v_add3_u32 v21, v57, v19, v21
	v_and_b32_e32 v19, 0x1fffff, v20
                                        ; implicit-def: $vgpr20
	s_delay_alu instid0(VALU_DEP_1) | instskip(NEXT) | instid1(VALU_DEP_1)
	v_dual_add_nc_u32 v25, 14, v21 :: v_dual_add_nc_u32 v64, v19, v18
                                        ; implicit-def: $vgpr18_vgpr19
	v_cmpx_ne_u32_e32 0, v25
	s_xor_b32 s10, exec_lo, s10
; %bb.915:                              ;   in Loop: Header=BB4_129 Depth=2
	s_delay_alu instid0(VALU_DEP_2) | instskip(SKIP_1) | instid1(VALU_DEP_1)
	v_cmp_lt_u64_e32 vcc_lo, 0xffffff, v[64:65]
	v_add_nc_u32_e32 v18, 15, v21
	v_cndmask_b32_e32 v20, v25, v18, vcc_lo
	v_cndmask_b32_e64 v18, 0, 1, vcc_lo
	s_delay_alu instid0(VALU_DEP_1)
	v_lshrrev_b64 v[18:19], v18, v[64:65]
; %bb.916:                              ;   in Loop: Header=BB4_129 Depth=2
	s_and_not1_saveexec_b32 s10, s10
; %bb.917:                              ;   in Loop: Header=BB4_129 Depth=2
	v_mov_b64_e32 v[18:19], v[64:65]
	v_bfe_u32 v20, v64, 23, 1
; %bb.918:                              ;   in Loop: Header=BB4_129 Depth=2
	s_or_b32 exec_lo, exec_lo, s10
	s_delay_alu instid0(VALU_DEP_2) | instskip(NEXT) | instid1(VALU_DEP_2)
	v_lshrrev_b64 v[18:19], 21, v[18:19]
	v_cmp_gt_i32_e32 vcc_lo, 32, v20
	v_min_i32_e32 v21, 31, v20
	v_cmp_eq_u32_e64 s10, 0, v20
	s_delay_alu instid0(VALU_DEP_2) | instskip(SKIP_1) | instid1(VALU_DEP_2)
	v_dual_cndmask_b32 v19, 0, v19, vcc_lo :: v_dual_lshlrev_b32 v21, 2, v21
	v_cndmask_b32_e32 v18, 3, v18, vcc_lo
	v_and_b32_e32 v21, 0xfc, v21
	s_delay_alu instid0(VALU_DEP_2) | instskip(NEXT) | instid1(VALU_DEP_2)
	v_cmp_eq_u64_e32 vcc_lo, 0, v[18:19]
	v_and_or_b32 v18, v18, 3, v21
	s_and_b32 s10, s10, vcc_lo
	s_delay_alu instid0(VALU_DEP_1) | instid1(SALU_CYCLE_1)
	v_cndmask_b32_e64 v18, v18, 0, s10
	s_delay_alu instid0(VALU_DEP_1)
	v_or_b32_e32 v25, v18, v56
.LBB4_919:                              ;   in Loop: Header=BB4_129 Depth=2
	s_or_b32 exec_lo, exec_lo, s27
                                        ; implicit-def: $vgpr56
.LBB4_920:                              ;   in Loop: Header=BB4_129 Depth=2
	s_and_not1_saveexec_b32 s10, s26
; %bb.921:                              ;   in Loop: Header=BB4_129 Depth=2
	v_or_b32_e32 v25, 0x7b, v56
; %bb.922:                              ;   in Loop: Header=BB4_129 Depth=2
	s_or_b32 exec_lo, exec_lo, s10
                                        ; implicit-def: $vgpr18
                                        ; implicit-def: $vgpr19
.LBB4_923:                              ;   in Loop: Header=BB4_129 Depth=2
	s_and_not1_saveexec_b32 s10, s25
	s_cbranch_execz .LBB4_929
; %bb.924:                              ;   in Loop: Header=BB4_129 Depth=2
	s_mov_b32 s25, exec_lo
                                        ; implicit-def: $vgpr25
	v_cmpx_ne_u64_e32 0, v[64:65]
	s_xor_b32 s25, exec_lo, s25
; %bb.925:                              ;   in Loop: Header=BB4_129 Depth=2
	v_or_b32_e32 v25, 0x7f, v19
                                        ; implicit-def: $vgpr18
; %bb.926:                              ;   in Loop: Header=BB4_129 Depth=2
	s_and_not1_saveexec_b32 s25, s25
; %bb.927:                              ;   in Loop: Header=BB4_129 Depth=2
	v_cmp_lt_i32_e32 vcc_lo, -1, v18
	v_cndmask_b32_e32 v25, 0xfc, v68, vcc_lo
; %bb.928:                              ;   in Loop: Header=BB4_129 Depth=2
	s_or_b32 exec_lo, exec_lo, s25
.LBB4_929:                              ;   in Loop: Header=BB4_129 Depth=2
	s_delay_alu instid0(SALU_CYCLE_1) | instskip(SKIP_4) | instid1(VALU_DEP_3)
	s_or_b32 exec_lo, exec_lo, s10
	v_and_b32_e32 v20, 0xff, v15
	v_dual_mov_b32 v64, v15 :: v_dual_mov_b32 v19, 0
	v_mov_b32_e32 v18, 0
	s_mov_b32 s10, exec_lo
	v_cmpx_ne_u16_e32 0, v20
	s_cbranch_execz .LBB4_939
; %bb.930:                              ;   in Loop: Header=BB4_129 Depth=2
	v_bfrev_b32_e32 v18, 1
	s_mov_b32 s25, exec_lo
	v_cmpx_ne_u16_e32 0x80, v20
	s_cbranch_execz .LBB4_938
; %bb.931:                              ;   in Loop: Header=BB4_129 Depth=2
	v_and_b32_e32 v18, 0x7c, v15
	v_and_b32_e32 v20, 3, v15
	s_delay_alu instid0(VALU_DEP_2) | instskip(SKIP_1) | instid1(SALU_CYCLE_1)
	v_cmp_ne_u32_e32 vcc_lo, 0x7c, v18
                                        ; implicit-def: $vgpr18
	s_and_saveexec_b32 s26, vcc_lo
	s_xor_b32 s26, exec_lo, s26
	s_cbranch_execz .LBB4_935
; %bb.932:                              ;   in Loop: Header=BB4_129 Depth=2
	v_bfe_u32 v18, v15, 2, 5
	s_mov_b32 s27, exec_lo
	s_delay_alu instid0(VALU_DEP_1)
	v_cmpx_eq_u32_e32 0, v18
; %bb.933:                              ;   in Loop: Header=BB4_129 Depth=2
	v_clz_i32_u32_e32 v18, v20
	s_delay_alu instid0(VALU_DEP_1) | instskip(NEXT) | instid1(VALU_DEP_1)
	v_min_u32_e32 v18, 32, v18
	v_subrev_nc_u32_e32 v20, 29, v18
	s_delay_alu instid0(VALU_DEP_1) | instskip(NEXT) | instid1(VALU_DEP_1)
	v_lshlrev_b64_e32 v[20:21], v20, v[64:65]
	v_dual_sub_nc_u32 v18, 30, v18 :: v_dual_bitop2_b32 v20, 3, v20 bitop3:0x40
; %bb.934:                              ;   in Loop: Header=BB4_129 Depth=2
	s_or_b32 exec_lo, exec_lo, s27
	v_lshlrev_b32_e32 v21, 24, v15
	s_delay_alu instid0(VALU_DEP_1) | instskip(NEXT) | instid1(VALU_DEP_1)
	v_and_b32_e32 v21, 0x80000000, v21
	v_lshl_add_u32 v18, v18, 23, v21
	s_delay_alu instid0(VALU_DEP_1) | instskip(NEXT) | instid1(VALU_DEP_1)
	v_lshl_or_b32 v18, v20, 21, v18
                                        ; implicit-def: $vgpr20
	v_add_nc_u32_e32 v18, 0x38000000, v18
.LBB4_935:                              ;   in Loop: Header=BB4_129 Depth=2
	s_and_not1_saveexec_b32 s26, s26
; %bb.936:                              ;   in Loop: Header=BB4_129 Depth=2
	v_bfe_i32 v18, v15, 0, 8
	s_delay_alu instid0(VALU_DEP_1) | instskip(SKIP_2) | instid1(VALU_DEP_2)
	v_cmp_lt_i16_e32 vcc_lo, -1, v18
	v_cndmask_b32_e32 v18, 0xff800000, v126, vcc_lo
	v_cmp_eq_u32_e32 vcc_lo, 0, v20
	v_cndmask_b32_e32 v18, 0x7f800001, v18, vcc_lo
; %bb.937:                              ;   in Loop: Header=BB4_129 Depth=2
	s_or_b32 exec_lo, exec_lo, s26
.LBB4_938:                              ;   in Loop: Header=BB4_129 Depth=2
	s_delay_alu instid0(SALU_CYCLE_1)
	s_or_b32 exec_lo, exec_lo, s25
.LBB4_939:                              ;   in Loop: Header=BB4_129 Depth=2
	s_delay_alu instid0(SALU_CYCLE_1) | instskip(SKIP_2) | instid1(VALU_DEP_1)
	s_or_b32 exec_lo, exec_lo, s10
	v_and_b32_e32 v20, 0xff, v11
	s_mov_b32 s10, exec_lo
	v_cmpx_ne_u16_e32 0, v20
	s_cbranch_execz .LBB4_949
; %bb.940:                              ;   in Loop: Header=BB4_129 Depth=2
	v_bfrev_b32_e32 v19, 1
	s_mov_b32 s25, exec_lo
	v_cmpx_ne_u16_e32 0x80, v20
	s_cbranch_execz .LBB4_948
; %bb.941:                              ;   in Loop: Header=BB4_129 Depth=2
	v_and_b32_e32 v19, 0x7c, v11
	v_and_b32_e32 v20, 3, v11
	s_delay_alu instid0(VALU_DEP_2) | instskip(SKIP_1) | instid1(SALU_CYCLE_1)
	v_cmp_ne_u32_e32 vcc_lo, 0x7c, v19
                                        ; implicit-def: $vgpr19
	s_and_saveexec_b32 s26, vcc_lo
	s_xor_b32 s26, exec_lo, s26
	s_cbranch_execz .LBB4_945
; %bb.942:                              ;   in Loop: Header=BB4_129 Depth=2
	v_bfe_u32 v19, v11, 2, 5
	s_mov_b32 s27, exec_lo
	s_delay_alu instid0(VALU_DEP_1)
	v_cmpx_eq_u32_e32 0, v19
; %bb.943:                              ;   in Loop: Header=BB4_129 Depth=2
	v_clz_i32_u32_e32 v19, v20
	v_dual_mov_b32 v20, v11 :: v_dual_mov_b32 v21, v65
	s_delay_alu instid0(VALU_DEP_2) | instskip(NEXT) | instid1(VALU_DEP_1)
	v_min_u32_e32 v19, 32, v19
	v_subrev_nc_u32_e32 v82, 29, v19
	s_delay_alu instid0(VALU_DEP_1) | instskip(NEXT) | instid1(VALU_DEP_1)
	v_lshlrev_b64_e32 v[20:21], v82, v[20:21]
	v_dual_sub_nc_u32 v19, 30, v19 :: v_dual_bitop2_b32 v20, 3, v20 bitop3:0x40
; %bb.944:                              ;   in Loop: Header=BB4_129 Depth=2
	s_or_b32 exec_lo, exec_lo, s27
	v_lshlrev_b32_e32 v21, 24, v11
	s_delay_alu instid0(VALU_DEP_1) | instskip(NEXT) | instid1(VALU_DEP_1)
	v_and_b32_e32 v21, 0x80000000, v21
	v_lshl_add_u32 v19, v19, 23, v21
	s_delay_alu instid0(VALU_DEP_1) | instskip(NEXT) | instid1(VALU_DEP_1)
	v_lshl_or_b32 v19, v20, 21, v19
                                        ; implicit-def: $vgpr20
	v_add_nc_u32_e32 v19, 0x38000000, v19
.LBB4_945:                              ;   in Loop: Header=BB4_129 Depth=2
	s_and_not1_saveexec_b32 s26, s26
; %bb.946:                              ;   in Loop: Header=BB4_129 Depth=2
	v_bfe_i32 v19, v11, 0, 8
	s_delay_alu instid0(VALU_DEP_1) | instskip(SKIP_2) | instid1(VALU_DEP_2)
	v_cmp_lt_i16_e32 vcc_lo, -1, v19
	v_cndmask_b32_e32 v19, 0xff800000, v126, vcc_lo
	v_cmp_eq_u32_e32 vcc_lo, 0, v20
	v_cndmask_b32_e32 v19, 0x7f800001, v19, vcc_lo
; %bb.947:                              ;   in Loop: Header=BB4_129 Depth=2
	s_or_b32 exec_lo, exec_lo, s26
.LBB4_948:                              ;   in Loop: Header=BB4_129 Depth=2
	s_delay_alu instid0(SALU_CYCLE_1)
	s_or_b32 exec_lo, exec_lo, s25
.LBB4_949:                              ;   in Loop: Header=BB4_129 Depth=2
	s_delay_alu instid0(SALU_CYCLE_1) | instskip(NEXT) | instid1(VALU_DEP_1)
	s_or_b32 exec_lo, exec_lo, s10
	v_dual_mul_f32 v20, v18, v19 :: v_dual_mov_b32 v57, v65
	s_delay_alu instid0(VALU_DEP_1) | instskip(SKIP_2) | instid1(VALU_DEP_2)
	v_dual_mov_b32 v19, v65 :: v_dual_lshrrev_b32 v21, 24, v20
	v_and_b32_e32 v56, 0x7f800000, v20
	v_and_b32_e32 v18, 0x7fffff, v20
	v_cmp_ne_u64_e32 vcc_lo, 0x7f800000, v[56:57]
                                        ; implicit-def: $vgpr56
	s_and_saveexec_b32 s10, vcc_lo
	s_delay_alu instid0(SALU_CYCLE_1)
	s_xor_b32 s25, exec_lo, s10
	s_cbranch_execz .LBB4_963
; %bb.950:                              ;   in Loop: Header=BB4_129 Depth=2
	v_and_b32_e32 v56, 0x7fffffff, v20
	v_mov_b32_e32 v57, v65
	s_delay_alu instid0(VALU_DEP_1) | instskip(SKIP_2) | instid1(SALU_CYCLE_1)
	v_cmp_gt_u64_e32 vcc_lo, 0x47600001, v[56:57]
	v_and_b32_e32 v57, 0x80, v21
                                        ; implicit-def: $vgpr56
	s_and_saveexec_b32 s10, vcc_lo
	s_xor_b32 s26, exec_lo, s10
	s_cbranch_execz .LBB4_960
; %bb.951:                              ;   in Loop: Header=BB4_129 Depth=2
	v_mov_b32_e32 v56, 0
	s_mov_b32 s27, exec_lo
	v_cmpx_ne_u32_e32 0, v20
	s_cbranch_execz .LBB4_959
; %bb.952:                              ;   in Loop: Header=BB4_129 Depth=2
	v_bfe_u32 v56, v20, 23, 8
	v_or_b32_e32 v82, 0x800000, v18
	s_delay_alu instid0(VALU_DEP_2) | instskip(SKIP_1) | instid1(VALU_DEP_2)
	v_sub_nc_u32_e32 v20, 0x71, v56
	v_cmp_gt_u32_e32 vcc_lo, 0x72, v56
	v_cndmask_b32_e32 v20, 0, v20, vcc_lo
	v_cmp_eq_u32_e32 vcc_lo, 0, v56
	s_delay_alu instid0(VALU_DEP_2) | instskip(SKIP_1) | instid1(VALU_DEP_2)
	v_cndmask_b32_e64 v58, v20, 0x70, vcc_lo
	v_cndmask_b32_e32 v18, v82, v18, vcc_lo
	v_dual_add_nc_u32 v20, 21, v58 :: v_dual_add_nc_u32 v83, 20, v58
	s_delay_alu instid0(VALU_DEP_1) | instskip(NEXT) | instid1(VALU_DEP_2)
	v_lshlrev_b64_e64 v[20:21], v20, -1
	v_lshlrev_b64_e64 v[60:61], v83, 1
	s_delay_alu instid0(VALU_DEP_2) | instskip(SKIP_1) | instid1(VALU_DEP_4)
	v_bfi_b32 v20, v20, 0, v18
	v_lshrrev_b64 v[18:19], v58, v[18:19]
	v_bfi_b32 v21, v21, 0, 0
	s_delay_alu instid0(VALU_DEP_1) | instskip(NEXT) | instid1(VALU_DEP_3)
	v_cmp_eq_u64_e64 s10, v[20:21], v[60:61]
	v_mov_b64_e32 v[20:21], v[18:19]
	s_and_saveexec_b32 s28, s10
; %bb.953:                              ;   in Loop: Header=BB4_129 Depth=2
	v_bfe_u32 v20, v18, 21, 1
	v_mov_b32_e32 v21, v65
	s_delay_alu instid0(VALU_DEP_1) | instskip(NEXT) | instid1(VALU_DEP_1)
	v_add_nc_u64_e32 v[20:21], v[18:19], v[20:21]
	v_add_nc_u64_e32 v[20:21], -1, v[20:21]
; %bb.954:                              ;   in Loop: Header=BB4_129 Depth=2
	s_or_b32 exec_lo, exec_lo, s28
	v_add_nc_u32_e32 v19, 0xffffff81, v56
	v_lshrrev_b32_e32 v21, 23, v18
	s_mov_b32 s10, exec_lo
	s_delay_alu instid0(VALU_DEP_2) | instskip(NEXT) | instid1(VALU_DEP_1)
	v_cndmask_b32_e64 v19, v19, 0xffffff82, vcc_lo
	v_add3_u32 v21, v58, v19, v21
	v_and_b32_e32 v19, 0x1fffff, v20
                                        ; implicit-def: $vgpr20
	s_delay_alu instid0(VALU_DEP_1) | instskip(SKIP_1) | instid1(VALU_DEP_2)
	v_dual_add_nc_u32 v56, 14, v21 :: v_dual_add_nc_u32 v18, v19, v18
	v_mov_b32_e32 v19, v65
	v_cmpx_ne_u32_e32 0, v56
	s_xor_b32 s10, exec_lo, s10
; %bb.955:                              ;   in Loop: Header=BB4_129 Depth=2
	s_delay_alu instid0(VALU_DEP_2) | instskip(SKIP_2) | instid1(VALU_DEP_2)
	v_cmp_lt_u64_e32 vcc_lo, 0xffffff, v[18:19]
	v_add_nc_u32_e32 v20, 15, v21
	v_cndmask_b32_e64 v21, 0, 1, vcc_lo
	v_cndmask_b32_e32 v20, v56, v20, vcc_lo
	s_delay_alu instid0(VALU_DEP_2)
	v_lshrrev_b64 v[18:19], v21, v[18:19]
; %bb.956:                              ;   in Loop: Header=BB4_129 Depth=2
	s_and_not1_saveexec_b32 s10, s10
; %bb.957:                              ;   in Loop: Header=BB4_129 Depth=2
	s_delay_alu instid0(VALU_DEP_1)
	v_bfe_u32 v20, v18, 23, 1
; %bb.958:                              ;   in Loop: Header=BB4_129 Depth=2
	s_or_b32 exec_lo, exec_lo, s10
	s_delay_alu instid0(VALU_DEP_2) | instskip(NEXT) | instid1(VALU_DEP_2)
	v_lshrrev_b64 v[18:19], 21, v[18:19]
	v_cmp_gt_i32_e32 vcc_lo, 32, v20
	v_min_i32_e32 v21, 31, v20
	v_cmp_eq_u32_e64 s10, 0, v20
	s_delay_alu instid0(VALU_DEP_2) | instskip(SKIP_1) | instid1(VALU_DEP_2)
	v_dual_cndmask_b32 v19, 0, v19, vcc_lo :: v_dual_lshlrev_b32 v21, 2, v21
	v_cndmask_b32_e32 v18, 3, v18, vcc_lo
	v_and_b32_e32 v21, 0xfc, v21
	s_delay_alu instid0(VALU_DEP_2) | instskip(NEXT) | instid1(VALU_DEP_2)
	v_cmp_eq_u64_e32 vcc_lo, 0, v[18:19]
	v_and_or_b32 v18, v18, 3, v21
	s_and_b32 s10, s10, vcc_lo
	s_delay_alu instid0(VALU_DEP_1) | instid1(SALU_CYCLE_1)
	v_cndmask_b32_e64 v18, v18, 0, s10
	s_delay_alu instid0(VALU_DEP_1)
	v_or_b32_e32 v56, v18, v57
.LBB4_959:                              ;   in Loop: Header=BB4_129 Depth=2
	s_or_b32 exec_lo, exec_lo, s27
                                        ; implicit-def: $vgpr57
.LBB4_960:                              ;   in Loop: Header=BB4_129 Depth=2
	s_and_not1_saveexec_b32 s10, s26
; %bb.961:                              ;   in Loop: Header=BB4_129 Depth=2
	v_or_b32_e32 v56, 0x7b, v57
; %bb.962:                              ;   in Loop: Header=BB4_129 Depth=2
	s_or_b32 exec_lo, exec_lo, s10
                                        ; implicit-def: $vgpr20
                                        ; implicit-def: $vgpr18_vgpr19
                                        ; implicit-def: $vgpr21
.LBB4_963:                              ;   in Loop: Header=BB4_129 Depth=2
	s_and_not1_saveexec_b32 s10, s25
	s_cbranch_execz .LBB4_969
; %bb.964:                              ;   in Loop: Header=BB4_129 Depth=2
	s_mov_b32 s25, exec_lo
                                        ; implicit-def: $vgpr56
	v_cmpx_ne_u64_e32 0, v[18:19]
	s_xor_b32 s25, exec_lo, s25
; %bb.965:                              ;   in Loop: Header=BB4_129 Depth=2
	v_or_b32_e32 v56, 0x7f, v21
                                        ; implicit-def: $vgpr20
; %bb.966:                              ;   in Loop: Header=BB4_129 Depth=2
	s_and_not1_saveexec_b32 s25, s25
; %bb.967:                              ;   in Loop: Header=BB4_129 Depth=2
	v_cmp_lt_i32_e32 vcc_lo, -1, v20
	v_cndmask_b32_e32 v56, 0xfc, v68, vcc_lo
; %bb.968:                              ;   in Loop: Header=BB4_129 Depth=2
	s_or_b32 exec_lo, exec_lo, s25
.LBB4_969:                              ;   in Loop: Header=BB4_129 Depth=2
	s_delay_alu instid0(SALU_CYCLE_1) | instskip(SKIP_3) | instid1(VALU_DEP_2)
	s_or_b32 exec_lo, exec_lo, s10
	v_lshrrev_b16 v18, 8, v64
	v_dual_mov_b32 v20, 0 :: v_dual_mov_b32 v19, 0
	s_mov_b32 s10, exec_lo
	v_cmpx_ne_u16_e32 0, v18
	s_cbranch_execz .LBB4_979
; %bb.970:                              ;   in Loop: Header=BB4_129 Depth=2
	v_bfrev_b32_e32 v19, 1
	s_mov_b32 s25, exec_lo
	v_cmpx_ne_u16_e32 0x80, v18
	s_cbranch_execz .LBB4_978
; %bb.971:                              ;   in Loop: Header=BB4_129 Depth=2
	v_and_b32_e32 v57, 0xffff, v18
	s_delay_alu instid0(VALU_DEP_1) | instskip(SKIP_1) | instid1(VALU_DEP_2)
	v_and_b32_e32 v19, 0x7c, v57
	v_and_b32_e32 v21, 3, v57
	v_cmp_ne_u32_e32 vcc_lo, 0x7c, v19
                                        ; implicit-def: $vgpr19
	s_and_saveexec_b32 s26, vcc_lo
	s_delay_alu instid0(SALU_CYCLE_1)
	s_xor_b32 s26, exec_lo, s26
	s_cbranch_execz .LBB4_975
; %bb.972:                              ;   in Loop: Header=BB4_129 Depth=2
	v_bfe_u32 v19, v57, 2, 5
	s_mov_b32 s27, exec_lo
	s_delay_alu instid0(VALU_DEP_1)
	v_cmpx_eq_u32_e32 0, v19
; %bb.973:                              ;   in Loop: Header=BB4_129 Depth=2
	v_clz_i32_u32_e32 v19, v21
	s_delay_alu instid0(VALU_DEP_1) | instskip(SKIP_1) | instid1(VALU_DEP_2)
	v_min_u32_e32 v21, 32, v19
	v_mov_b32_e32 v19, v65
	v_subrev_nc_u32_e32 v82, 29, v21
	s_delay_alu instid0(VALU_DEP_1) | instskip(NEXT) | instid1(VALU_DEP_1)
	v_lshlrev_b64_e32 v[18:19], v82, v[18:19]
	v_dual_sub_nc_u32 v19, 30, v21 :: v_dual_bitop2_b32 v21, 3, v18 bitop3:0x40
; %bb.974:                              ;   in Loop: Header=BB4_129 Depth=2
	s_or_b32 exec_lo, exec_lo, s27
	v_lshlrev_b32_e32 v18, 16, v64
	s_delay_alu instid0(VALU_DEP_1) | instskip(NEXT) | instid1(VALU_DEP_1)
	v_and_b32_e32 v18, 0x80000000, v18
	v_lshl_add_u32 v18, v19, 23, v18
	s_delay_alu instid0(VALU_DEP_1) | instskip(NEXT) | instid1(VALU_DEP_1)
	v_lshl_or_b32 v18, v21, 21, v18
                                        ; implicit-def: $vgpr21
	v_add_nc_u32_e32 v19, 0x38000000, v18
.LBB4_975:                              ;   in Loop: Header=BB4_129 Depth=2
	s_and_not1_saveexec_b32 s26, s26
; %bb.976:                              ;   in Loop: Header=BB4_129 Depth=2
	v_cmp_lt_i16_e32 vcc_lo, -1, v64
	v_cndmask_b32_e32 v18, 0xff800000, v126, vcc_lo
	v_cmp_eq_u32_e32 vcc_lo, 0, v21
	s_delay_alu instid0(VALU_DEP_2)
	v_cndmask_b32_e32 v19, 0x7f800001, v18, vcc_lo
; %bb.977:                              ;   in Loop: Header=BB4_129 Depth=2
	s_or_b32 exec_lo, exec_lo, s26
.LBB4_978:                              ;   in Loop: Header=BB4_129 Depth=2
	s_delay_alu instid0(SALU_CYCLE_1)
	s_or_b32 exec_lo, exec_lo, s25
.LBB4_979:                              ;   in Loop: Header=BB4_129 Depth=2
	s_delay_alu instid0(SALU_CYCLE_1) | instskip(SKIP_2) | instid1(VALU_DEP_1)
	s_or_b32 exec_lo, exec_lo, s10
	v_lshrrev_b16 v64, 8, v11
	s_mov_b32 s10, exec_lo
	v_cmpx_ne_u16_e32 0, v64
	s_cbranch_execz .LBB4_989
; %bb.980:                              ;   in Loop: Header=BB4_129 Depth=2
	v_bfrev_b32_e32 v20, 1
	s_mov_b32 s25, exec_lo
	v_cmpx_ne_u16_e32 0x80, v64
	s_cbranch_execz .LBB4_988
; %bb.981:                              ;   in Loop: Header=BB4_129 Depth=2
	v_and_b32_e32 v21, 0xffff, v64
	s_delay_alu instid0(VALU_DEP_1) | instskip(SKIP_1) | instid1(VALU_DEP_2)
	v_and_b32_e32 v20, 0x7c, v21
	v_and_b32_e32 v18, 3, v21
	v_cmp_ne_u32_e32 vcc_lo, 0x7c, v20
                                        ; implicit-def: $vgpr20
	s_and_saveexec_b32 s26, vcc_lo
	s_delay_alu instid0(SALU_CYCLE_1)
	s_xor_b32 s26, exec_lo, s26
	s_cbranch_execz .LBB4_985
; %bb.982:                              ;   in Loop: Header=BB4_129 Depth=2
	v_bfe_u32 v20, v21, 2, 5
	s_mov_b32 s27, exec_lo
	s_delay_alu instid0(VALU_DEP_1)
	v_cmpx_eq_u32_e32 0, v20
; %bb.983:                              ;   in Loop: Header=BB4_129 Depth=2
	v_clz_i32_u32_e32 v18, v18
	s_delay_alu instid0(VALU_DEP_1) | instskip(NEXT) | instid1(VALU_DEP_1)
	v_min_u32_e32 v18, 32, v18
	v_subrev_nc_u32_e32 v20, 29, v18
	s_delay_alu instid0(VALU_DEP_1) | instskip(SKIP_1) | instid1(VALU_DEP_2)
	v_lshlrev_b64_e32 v[58:59], v20, v[64:65]
	v_sub_nc_u32_e32 v20, 30, v18
	v_and_b32_e32 v18, 3, v58
; %bb.984:                              ;   in Loop: Header=BB4_129 Depth=2
	s_or_b32 exec_lo, exec_lo, s27
	v_lshlrev_b32_e32 v21, 16, v11
	s_delay_alu instid0(VALU_DEP_1) | instskip(NEXT) | instid1(VALU_DEP_1)
	v_and_b32_e32 v21, 0x80000000, v21
	v_lshl_add_u32 v20, v20, 23, v21
	s_delay_alu instid0(VALU_DEP_1) | instskip(NEXT) | instid1(VALU_DEP_1)
	v_lshl_or_b32 v18, v18, 21, v20
	v_add_nc_u32_e32 v20, 0x38000000, v18
                                        ; implicit-def: $vgpr18
.LBB4_985:                              ;   in Loop: Header=BB4_129 Depth=2
	s_and_not1_saveexec_b32 s26, s26
; %bb.986:                              ;   in Loop: Header=BB4_129 Depth=2
	v_cmp_lt_i16_e32 vcc_lo, -1, v11
	v_cndmask_b32_e32 v20, 0xff800000, v126, vcc_lo
	v_cmp_eq_u32_e32 vcc_lo, 0, v18
	s_delay_alu instid0(VALU_DEP_2)
	v_cndmask_b32_e32 v20, 0x7f800001, v20, vcc_lo
; %bb.987:                              ;   in Loop: Header=BB4_129 Depth=2
	s_or_b32 exec_lo, exec_lo, s26
.LBB4_988:                              ;   in Loop: Header=BB4_129 Depth=2
	s_delay_alu instid0(SALU_CYCLE_1)
	s_or_b32 exec_lo, exec_lo, s25
.LBB4_989:                              ;   in Loop: Header=BB4_129 Depth=2
	s_delay_alu instid0(SALU_CYCLE_1) | instskip(NEXT) | instid1(VALU_DEP_1)
	s_or_b32 exec_lo, exec_lo, s10
	v_dual_mul_f32 v18, v19, v20 :: v_dual_mov_b32 v21, v65
                                        ; implicit-def: $vgpr57
	s_mov_b32 s10, exec_lo
	s_delay_alu instid0(VALU_DEP_1) | instskip(SKIP_2) | instid1(VALU_DEP_3)
	v_and_b32_e32 v20, 0x7f800000, v18
	v_and_b32_e32 v64, 0x7fffff, v18
	v_lshrrev_b32_e32 v19, 24, v18
	v_cmpx_ne_u64_e32 0x7f800000, v[20:21]
	s_xor_b32 s25, exec_lo, s10
	s_cbranch_execz .LBB4_1003
; %bb.990:                              ;   in Loop: Header=BB4_129 Depth=2
	v_and_b32_e32 v20, 0x7fffffff, v18
	v_mov_b32_e32 v21, v65
	v_and_b32_e32 v58, 0x80, v19
                                        ; implicit-def: $vgpr57
	s_mov_b32 s10, exec_lo
	s_delay_alu instid0(VALU_DEP_2)
	v_cmpx_gt_u64_e32 0x47600001, v[20:21]
	s_xor_b32 s26, exec_lo, s10
	s_cbranch_execz .LBB4_1000
; %bb.991:                              ;   in Loop: Header=BB4_129 Depth=2
	v_mov_b32_e32 v57, 0
	s_mov_b32 s27, exec_lo
	v_cmpx_ne_u32_e32 0, v18
	s_cbranch_execz .LBB4_999
; %bb.992:                              ;   in Loop: Header=BB4_129 Depth=2
	v_bfe_u32 v57, v18, 23, 8
	v_or_b32_e32 v20, 0x800000, v64
	s_delay_alu instid0(VALU_DEP_2) | instskip(SKIP_1) | instid1(VALU_DEP_2)
	v_sub_nc_u32_e32 v18, 0x71, v57
	v_cmp_gt_u32_e32 vcc_lo, 0x72, v57
	v_cndmask_b32_e32 v18, 0, v18, vcc_lo
	v_cmp_eq_u32_e32 vcc_lo, 0, v57
	s_delay_alu instid0(VALU_DEP_2) | instskip(NEXT) | instid1(VALU_DEP_1)
	v_cndmask_b32_e64 v59, v18, 0x70, vcc_lo
	v_dual_cndmask_b32 v64, v20, v64, vcc_lo :: v_dual_add_nc_u32 v18, 21, v59
	v_add_nc_u32_e32 v21, 20, v59
	s_delay_alu instid0(VALU_DEP_2) | instskip(NEXT) | instid1(VALU_DEP_2)
	v_lshlrev_b64_e64 v[18:19], v18, -1
	v_lshlrev_b64_e64 v[20:21], v21, 1
	s_delay_alu instid0(VALU_DEP_2) | instskip(NEXT) | instid1(VALU_DEP_3)
	v_bfi_b32 v61, v19, 0, 0
	v_bfi_b32 v60, v18, 0, v64
	v_lshrrev_b64 v[18:19], v59, v[64:65]
	s_delay_alu instid0(VALU_DEP_2) | instskip(NEXT) | instid1(VALU_DEP_2)
	v_cmp_eq_u64_e64 s10, v[60:61], v[20:21]
	v_mov_b64_e32 v[20:21], v[18:19]
	s_and_saveexec_b32 s28, s10
; %bb.993:                              ;   in Loop: Header=BB4_129 Depth=2
	v_bfe_u32 v64, v18, 21, 1
	s_delay_alu instid0(VALU_DEP_1) | instskip(NEXT) | instid1(VALU_DEP_1)
	v_add_nc_u64_e32 v[20:21], v[18:19], v[64:65]
	v_add_nc_u64_e32 v[20:21], -1, v[20:21]
; %bb.994:                              ;   in Loop: Header=BB4_129 Depth=2
	s_or_b32 exec_lo, exec_lo, s28
	v_add_nc_u32_e32 v19, 0xffffff81, v57
	v_lshrrev_b32_e32 v21, 23, v18
	s_mov_b32 s10, exec_lo
	s_delay_alu instid0(VALU_DEP_2) | instskip(NEXT) | instid1(VALU_DEP_1)
	v_cndmask_b32_e64 v19, v19, 0xffffff82, vcc_lo
	v_add3_u32 v21, v59, v19, v21
	v_and_b32_e32 v19, 0x1fffff, v20
                                        ; implicit-def: $vgpr20
	s_delay_alu instid0(VALU_DEP_1) | instskip(NEXT) | instid1(VALU_DEP_1)
	v_dual_add_nc_u32 v57, 14, v21 :: v_dual_add_nc_u32 v64, v19, v18
                                        ; implicit-def: $vgpr18_vgpr19
	v_cmpx_ne_u32_e32 0, v57
	s_xor_b32 s10, exec_lo, s10
; %bb.995:                              ;   in Loop: Header=BB4_129 Depth=2
	s_delay_alu instid0(VALU_DEP_2) | instskip(SKIP_1) | instid1(VALU_DEP_1)
	v_cmp_lt_u64_e32 vcc_lo, 0xffffff, v[64:65]
	v_add_nc_u32_e32 v18, 15, v21
	v_cndmask_b32_e32 v20, v57, v18, vcc_lo
	v_cndmask_b32_e64 v18, 0, 1, vcc_lo
	s_delay_alu instid0(VALU_DEP_1)
	v_lshrrev_b64 v[18:19], v18, v[64:65]
; %bb.996:                              ;   in Loop: Header=BB4_129 Depth=2
	s_and_not1_saveexec_b32 s10, s10
; %bb.997:                              ;   in Loop: Header=BB4_129 Depth=2
	v_mov_b64_e32 v[18:19], v[64:65]
	v_bfe_u32 v20, v64, 23, 1
; %bb.998:                              ;   in Loop: Header=BB4_129 Depth=2
	s_or_b32 exec_lo, exec_lo, s10
	s_delay_alu instid0(VALU_DEP_2) | instskip(NEXT) | instid1(VALU_DEP_2)
	v_lshrrev_b64 v[18:19], 21, v[18:19]
	v_cmp_gt_i32_e32 vcc_lo, 32, v20
	v_min_i32_e32 v21, 31, v20
	v_cmp_eq_u32_e64 s10, 0, v20
	s_delay_alu instid0(VALU_DEP_2) | instskip(SKIP_1) | instid1(VALU_DEP_2)
	v_dual_cndmask_b32 v19, 0, v19, vcc_lo :: v_dual_lshlrev_b32 v21, 2, v21
	v_cndmask_b32_e32 v18, 3, v18, vcc_lo
	v_and_b32_e32 v21, 0xfc, v21
	s_delay_alu instid0(VALU_DEP_2) | instskip(NEXT) | instid1(VALU_DEP_2)
	v_cmp_eq_u64_e32 vcc_lo, 0, v[18:19]
	v_and_or_b32 v18, v18, 3, v21
	s_and_b32 s10, s10, vcc_lo
	s_delay_alu instid0(VALU_DEP_1) | instid1(SALU_CYCLE_1)
	v_cndmask_b32_e64 v18, v18, 0, s10
	s_delay_alu instid0(VALU_DEP_1)
	v_or_b32_e32 v57, v18, v58
.LBB4_999:                              ;   in Loop: Header=BB4_129 Depth=2
	s_or_b32 exec_lo, exec_lo, s27
                                        ; implicit-def: $vgpr58
.LBB4_1000:                             ;   in Loop: Header=BB4_129 Depth=2
	s_and_not1_saveexec_b32 s10, s26
; %bb.1001:                             ;   in Loop: Header=BB4_129 Depth=2
	v_or_b32_e32 v57, 0x7b, v58
; %bb.1002:                             ;   in Loop: Header=BB4_129 Depth=2
	s_or_b32 exec_lo, exec_lo, s10
                                        ; implicit-def: $vgpr18
                                        ; implicit-def: $vgpr19
.LBB4_1003:                             ;   in Loop: Header=BB4_129 Depth=2
	s_and_not1_saveexec_b32 s10, s25
	s_cbranch_execz .LBB4_1009
; %bb.1004:                             ;   in Loop: Header=BB4_129 Depth=2
	s_mov_b32 s25, exec_lo
                                        ; implicit-def: $vgpr57
	v_cmpx_ne_u64_e32 0, v[64:65]
	s_xor_b32 s25, exec_lo, s25
; %bb.1005:                             ;   in Loop: Header=BB4_129 Depth=2
	v_or_b32_e32 v57, 0x7f, v19
                                        ; implicit-def: $vgpr18
; %bb.1006:                             ;   in Loop: Header=BB4_129 Depth=2
	s_and_not1_saveexec_b32 s25, s25
; %bb.1007:                             ;   in Loop: Header=BB4_129 Depth=2
	v_cmp_lt_i32_e32 vcc_lo, -1, v18
	v_cndmask_b32_e32 v57, 0xfc, v68, vcc_lo
; %bb.1008:                             ;   in Loop: Header=BB4_129 Depth=2
	s_or_b32 exec_lo, exec_lo, s25
.LBB4_1009:                             ;   in Loop: Header=BB4_129 Depth=2
	s_delay_alu instid0(SALU_CYCLE_1) | instskip(SKIP_3) | instid1(VALU_DEP_2)
	s_or_b32 exec_lo, exec_lo, s10
	v_dual_mov_b32 v19, 0 :: v_dual_lshrrev_b32 v18, 16, v15
	v_mov_b32_e32 v20, 0
	s_mov_b32 s10, exec_lo
	v_and_b32_e32 v21, 0xff, v18
	s_delay_alu instid0(VALU_DEP_1)
	v_cmpx_ne_u16_e32 0, v21
	s_cbranch_execz .LBB4_1019
; %bb.1010:                             ;   in Loop: Header=BB4_129 Depth=2
	v_bfrev_b32_e32 v20, 1
	s_mov_b32 s25, exec_lo
	v_cmpx_ne_u16_e32 0x80, v21
	s_cbranch_execz .LBB4_1018
; %bb.1011:                             ;   in Loop: Header=BB4_129 Depth=2
	v_and_b32_e32 v20, 0x7c0000, v15
	v_bfe_u32 v21, v15, 16, 2
	s_delay_alu instid0(VALU_DEP_2) | instskip(SKIP_1) | instid1(SALU_CYCLE_1)
	v_cmp_ne_u32_e32 vcc_lo, 0x7c0000, v20
                                        ; implicit-def: $vgpr20
	s_and_saveexec_b32 s26, vcc_lo
	s_xor_b32 s26, exec_lo, s26
	s_cbranch_execz .LBB4_1015
; %bb.1012:                             ;   in Loop: Header=BB4_129 Depth=2
	v_bfe_u32 v20, v15, 18, 5
	s_mov_b32 s27, exec_lo
	s_delay_alu instid0(VALU_DEP_1)
	v_cmpx_eq_u32_e32 0, v20
; %bb.1013:                             ;   in Loop: Header=BB4_129 Depth=2
	v_clz_i32_u32_e32 v20, v21
	s_delay_alu instid0(VALU_DEP_1) | instskip(NEXT) | instid1(VALU_DEP_1)
	v_min_u32_e32 v20, 32, v20
	v_subrev_nc_u32_e32 v21, 29, v20
	s_delay_alu instid0(VALU_DEP_1) | instskip(NEXT) | instid1(VALU_DEP_1)
	v_lshlrev_b64_e32 v[58:59], v21, v[18:19]
	v_dual_sub_nc_u32 v20, 30, v20 :: v_dual_bitop2_b32 v21, 3, v58 bitop3:0x40
; %bb.1014:                             ;   in Loop: Header=BB4_129 Depth=2
	s_or_b32 exec_lo, exec_lo, s27
	v_lshlrev_b32_e32 v18, 24, v18
	s_delay_alu instid0(VALU_DEP_1) | instskip(NEXT) | instid1(VALU_DEP_1)
	v_and_b32_e32 v18, 0x80000000, v18
	v_lshl_add_u32 v18, v20, 23, v18
	s_delay_alu instid0(VALU_DEP_1) | instskip(NEXT) | instid1(VALU_DEP_1)
	v_lshl_or_b32 v18, v21, 21, v18
                                        ; implicit-def: $vgpr21
	v_add_nc_u32_e32 v20, 0x38000000, v18
                                        ; implicit-def: $vgpr18
.LBB4_1015:                             ;   in Loop: Header=BB4_129 Depth=2
	s_and_not1_saveexec_b32 s26, s26
; %bb.1016:                             ;   in Loop: Header=BB4_129 Depth=2
	v_bfe_i32 v18, v18, 0, 8
	s_delay_alu instid0(VALU_DEP_1) | instskip(SKIP_2) | instid1(VALU_DEP_2)
	v_cmp_lt_i16_e32 vcc_lo, -1, v18
	v_cndmask_b32_e32 v18, 0xff800000, v126, vcc_lo
	v_cmp_eq_u32_e32 vcc_lo, 0, v21
	v_cndmask_b32_e32 v20, 0x7f800001, v18, vcc_lo
; %bb.1017:                             ;   in Loop: Header=BB4_129 Depth=2
	s_or_b32 exec_lo, exec_lo, s26
.LBB4_1018:                             ;   in Loop: Header=BB4_129 Depth=2
	s_delay_alu instid0(SALU_CYCLE_1)
	s_or_b32 exec_lo, exec_lo, s25
.LBB4_1019:                             ;   in Loop: Header=BB4_129 Depth=2
	s_delay_alu instid0(SALU_CYCLE_1) | instskip(SKIP_2) | instid1(VALU_DEP_1)
	s_or_b32 exec_lo, exec_lo, s10
	v_lshrrev_b32_e32 v18, 16, v11
	s_mov_b32 s10, exec_lo
	v_and_b32_e32 v21, 0xff, v18
	s_delay_alu instid0(VALU_DEP_1)
	v_cmpx_ne_u16_e32 0, v21
	s_cbranch_execz .LBB4_1029
; %bb.1020:                             ;   in Loop: Header=BB4_129 Depth=2
	v_bfrev_b32_e32 v19, 1
	s_mov_b32 s25, exec_lo
	v_cmpx_ne_u16_e32 0x80, v21
	s_cbranch_execz .LBB4_1028
; %bb.1021:                             ;   in Loop: Header=BB4_129 Depth=2
	v_and_b32_e32 v19, 0x7c0000, v11
	v_bfe_u32 v21, v11, 16, 2
	s_delay_alu instid0(VALU_DEP_2) | instskip(SKIP_1) | instid1(SALU_CYCLE_1)
	v_cmp_ne_u32_e32 vcc_lo, 0x7c0000, v19
                                        ; implicit-def: $vgpr19
	s_and_saveexec_b32 s26, vcc_lo
	s_xor_b32 s26, exec_lo, s26
	s_cbranch_execz .LBB4_1025
; %bb.1022:                             ;   in Loop: Header=BB4_129 Depth=2
	v_bfe_u32 v19, v11, 18, 5
	s_mov_b32 s27, exec_lo
	s_delay_alu instid0(VALU_DEP_1)
	v_cmpx_eq_u32_e32 0, v19
; %bb.1023:                             ;   in Loop: Header=BB4_129 Depth=2
	v_clz_i32_u32_e32 v19, v21
	s_delay_alu instid0(VALU_DEP_1) | instskip(NEXT) | instid1(VALU_DEP_1)
	v_min_u32_e32 v19, 32, v19
	v_subrev_nc_u32_e32 v21, 29, v19
	s_delay_alu instid0(VALU_DEP_1) | instskip(NEXT) | instid1(VALU_DEP_1)
	v_lshlrev_b64_e32 v[58:59], v21, v[18:19]
	v_dual_sub_nc_u32 v19, 30, v19 :: v_dual_bitop2_b32 v21, 3, v58 bitop3:0x40
; %bb.1024:                             ;   in Loop: Header=BB4_129 Depth=2
	s_or_b32 exec_lo, exec_lo, s27
	v_lshlrev_b32_e32 v18, 24, v18
	s_delay_alu instid0(VALU_DEP_1) | instskip(NEXT) | instid1(VALU_DEP_1)
	v_and_b32_e32 v18, 0x80000000, v18
	v_lshl_add_u32 v18, v19, 23, v18
	s_delay_alu instid0(VALU_DEP_1) | instskip(NEXT) | instid1(VALU_DEP_1)
	v_lshl_or_b32 v18, v21, 21, v18
                                        ; implicit-def: $vgpr21
	v_add_nc_u32_e32 v19, 0x38000000, v18
                                        ; implicit-def: $vgpr18
.LBB4_1025:                             ;   in Loop: Header=BB4_129 Depth=2
	s_and_not1_saveexec_b32 s26, s26
; %bb.1026:                             ;   in Loop: Header=BB4_129 Depth=2
	v_bfe_i32 v18, v18, 0, 8
	s_delay_alu instid0(VALU_DEP_1) | instskip(SKIP_2) | instid1(VALU_DEP_2)
	v_cmp_lt_i16_e32 vcc_lo, -1, v18
	v_cndmask_b32_e32 v18, 0xff800000, v126, vcc_lo
	v_cmp_eq_u32_e32 vcc_lo, 0, v21
	v_cndmask_b32_e32 v19, 0x7f800001, v18, vcc_lo
; %bb.1027:                             ;   in Loop: Header=BB4_129 Depth=2
	s_or_b32 exec_lo, exec_lo, s26
.LBB4_1028:                             ;   in Loop: Header=BB4_129 Depth=2
	s_delay_alu instid0(SALU_CYCLE_1)
	s_or_b32 exec_lo, exec_lo, s25
.LBB4_1029:                             ;   in Loop: Header=BB4_129 Depth=2
	s_delay_alu instid0(SALU_CYCLE_1) | instskip(NEXT) | instid1(VALU_DEP_1)
	s_or_b32 exec_lo, exec_lo, s10
	v_dual_mul_f32 v18, v20, v19 :: v_dual_mov_b32 v21, v65
                                        ; implicit-def: $vgpr19
	s_delay_alu instid0(VALU_DEP_1) | instskip(SKIP_1) | instid1(VALU_DEP_2)
	v_and_b32_e32 v20, 0x7f800000, v18
	v_and_b32_e32 v64, 0x7fffff, v18
	v_cmp_ne_u64_e32 vcc_lo, 0x7f800000, v[20:21]
	v_lshrrev_b32_e32 v20, 24, v18
	s_and_saveexec_b32 s10, vcc_lo
	s_delay_alu instid0(SALU_CYCLE_1)
	s_xor_b32 s25, exec_lo, s10
	s_cbranch_execz .LBB4_1043
; %bb.1030:                             ;   in Loop: Header=BB4_129 Depth=2
	v_and_b32_e32 v58, 0x7fffffff, v18
	v_mov_b32_e32 v59, v65
                                        ; implicit-def: $vgpr19
	s_delay_alu instid0(VALU_DEP_1) | instskip(SKIP_2) | instid1(SALU_CYCLE_1)
	v_cmp_gt_u64_e32 vcc_lo, 0x47600001, v[58:59]
	v_and_b32_e32 v58, 0x80, v20
	s_and_saveexec_b32 s10, vcc_lo
	s_xor_b32 s26, exec_lo, s10
	s_cbranch_execz .LBB4_1040
; %bb.1031:                             ;   in Loop: Header=BB4_129 Depth=2
	v_mov_b32_e32 v19, 0
	s_mov_b32 s27, exec_lo
	v_cmpx_ne_u32_e32 0, v18
	s_cbranch_execz .LBB4_1039
; %bb.1032:                             ;   in Loop: Header=BB4_129 Depth=2
	v_bfe_u32 v59, v18, 23, 8
	v_or_b32_e32 v20, 0x800000, v64
	s_delay_alu instid0(VALU_DEP_2) | instskip(SKIP_1) | instid1(VALU_DEP_2)
	v_sub_nc_u32_e32 v18, 0x71, v59
	v_cmp_gt_u32_e32 vcc_lo, 0x72, v59
	v_cndmask_b32_e32 v18, 0, v18, vcc_lo
	v_cmp_eq_u32_e32 vcc_lo, 0, v59
	s_delay_alu instid0(VALU_DEP_2) | instskip(SKIP_1) | instid1(VALU_DEP_2)
	v_cndmask_b32_e64 v60, v18, 0x70, vcc_lo
	v_cndmask_b32_e32 v64, v20, v64, vcc_lo
	v_dual_add_nc_u32 v18, 21, v60 :: v_dual_add_nc_u32 v21, 20, v60
	s_delay_alu instid0(VALU_DEP_1) | instskip(NEXT) | instid1(VALU_DEP_2)
	v_lshlrev_b64_e64 v[18:19], v18, -1
	v_lshlrev_b64_e64 v[20:21], v21, 1
	s_delay_alu instid0(VALU_DEP_2) | instskip(NEXT) | instid1(VALU_DEP_3)
	v_bfi_b32 v63, v19, 0, 0
	v_bfi_b32 v62, v18, 0, v64
	v_lshrrev_b64 v[18:19], v60, v[64:65]
	s_delay_alu instid0(VALU_DEP_2) | instskip(NEXT) | instid1(VALU_DEP_2)
	v_cmp_eq_u64_e64 s10, v[62:63], v[20:21]
	v_mov_b64_e32 v[20:21], v[18:19]
	s_and_saveexec_b32 s28, s10
; %bb.1033:                             ;   in Loop: Header=BB4_129 Depth=2
	v_bfe_u32 v64, v18, 21, 1
	s_delay_alu instid0(VALU_DEP_1) | instskip(NEXT) | instid1(VALU_DEP_1)
	v_add_nc_u64_e32 v[20:21], v[18:19], v[64:65]
	v_add_nc_u64_e32 v[20:21], -1, v[20:21]
; %bb.1034:                             ;   in Loop: Header=BB4_129 Depth=2
	s_or_b32 exec_lo, exec_lo, s28
	v_add_nc_u32_e32 v19, 0xffffff81, v59
	v_lshrrev_b32_e32 v21, 23, v18
	s_mov_b32 s10, exec_lo
	s_delay_alu instid0(VALU_DEP_2) | instskip(NEXT) | instid1(VALU_DEP_1)
	v_cndmask_b32_e64 v19, v19, 0xffffff82, vcc_lo
	v_add3_u32 v21, v60, v19, v21
	v_and_b32_e32 v19, 0x1fffff, v20
                                        ; implicit-def: $vgpr20
	s_delay_alu instid0(VALU_DEP_1) | instskip(NEXT) | instid1(VALU_DEP_1)
	v_dual_add_nc_u32 v59, 14, v21 :: v_dual_add_nc_u32 v64, v19, v18
                                        ; implicit-def: $vgpr18_vgpr19
	v_cmpx_ne_u32_e32 0, v59
	s_xor_b32 s10, exec_lo, s10
; %bb.1035:                             ;   in Loop: Header=BB4_129 Depth=2
	s_delay_alu instid0(VALU_DEP_2) | instskip(SKIP_1) | instid1(VALU_DEP_1)
	v_cmp_lt_u64_e32 vcc_lo, 0xffffff, v[64:65]
	v_add_nc_u32_e32 v18, 15, v21
	v_cndmask_b32_e32 v20, v59, v18, vcc_lo
	v_cndmask_b32_e64 v18, 0, 1, vcc_lo
	s_delay_alu instid0(VALU_DEP_1)
	v_lshrrev_b64 v[18:19], v18, v[64:65]
; %bb.1036:                             ;   in Loop: Header=BB4_129 Depth=2
	s_and_not1_saveexec_b32 s10, s10
; %bb.1037:                             ;   in Loop: Header=BB4_129 Depth=2
	v_mov_b64_e32 v[18:19], v[64:65]
	v_bfe_u32 v20, v64, 23, 1
; %bb.1038:                             ;   in Loop: Header=BB4_129 Depth=2
	s_or_b32 exec_lo, exec_lo, s10
	s_delay_alu instid0(VALU_DEP_2) | instskip(NEXT) | instid1(VALU_DEP_2)
	v_lshrrev_b64 v[18:19], 21, v[18:19]
	v_cmp_gt_i32_e32 vcc_lo, 32, v20
	v_min_i32_e32 v21, 31, v20
	v_cmp_eq_u32_e64 s10, 0, v20
	s_delay_alu instid0(VALU_DEP_2) | instskip(SKIP_1) | instid1(VALU_DEP_2)
	v_dual_cndmask_b32 v19, 0, v19, vcc_lo :: v_dual_lshlrev_b32 v21, 2, v21
	v_cndmask_b32_e32 v18, 3, v18, vcc_lo
	v_and_b32_e32 v21, 0xfc, v21
	s_delay_alu instid0(VALU_DEP_2) | instskip(NEXT) | instid1(VALU_DEP_2)
	v_cmp_eq_u64_e32 vcc_lo, 0, v[18:19]
	v_and_or_b32 v18, v18, 3, v21
	s_and_b32 s10, s10, vcc_lo
	s_delay_alu instid0(VALU_DEP_1) | instid1(SALU_CYCLE_1)
	v_cndmask_b32_e64 v18, v18, 0, s10
	s_delay_alu instid0(VALU_DEP_1)
	v_or_b32_e32 v19, v18, v58
.LBB4_1039:                             ;   in Loop: Header=BB4_129 Depth=2
	s_or_b32 exec_lo, exec_lo, s27
                                        ; implicit-def: $vgpr58
.LBB4_1040:                             ;   in Loop: Header=BB4_129 Depth=2
	s_and_not1_saveexec_b32 s10, s26
; %bb.1041:                             ;   in Loop: Header=BB4_129 Depth=2
	v_or_b32_e32 v19, 0x7b, v58
; %bb.1042:                             ;   in Loop: Header=BB4_129 Depth=2
	s_or_b32 exec_lo, exec_lo, s10
                                        ; implicit-def: $vgpr18
                                        ; implicit-def: $vgpr20
.LBB4_1043:                             ;   in Loop: Header=BB4_129 Depth=2
	s_and_not1_saveexec_b32 s10, s25
	s_cbranch_execz .LBB4_1049
; %bb.1044:                             ;   in Loop: Header=BB4_129 Depth=2
	s_mov_b32 s25, exec_lo
                                        ; implicit-def: $vgpr19
	v_cmpx_ne_u64_e32 0, v[64:65]
	s_xor_b32 s25, exec_lo, s25
; %bb.1045:                             ;   in Loop: Header=BB4_129 Depth=2
	v_or_b32_e32 v19, 0x7f, v20
                                        ; implicit-def: $vgpr18
; %bb.1046:                             ;   in Loop: Header=BB4_129 Depth=2
	s_and_not1_saveexec_b32 s25, s25
; %bb.1047:                             ;   in Loop: Header=BB4_129 Depth=2
	v_cmp_lt_i32_e32 vcc_lo, -1, v18
	v_cndmask_b32_e32 v19, 0xfc, v68, vcc_lo
; %bb.1048:                             ;   in Loop: Header=BB4_129 Depth=2
	s_or_b32 exec_lo, exec_lo, s25
.LBB4_1049:                             ;   in Loop: Header=BB4_129 Depth=2
	s_delay_alu instid0(SALU_CYCLE_1)
	s_or_b32 exec_lo, exec_lo, s10
	v_dual_mov_b32 v20, 0 :: v_dual_mov_b32 v21, 0
	s_mov_b32 s10, exec_lo
	v_cmpx_lt_u64_e64 s[12:13], v[14:15]
	s_cbranch_execz .LBB4_1059
; %bb.1050:                             ;   in Loop: Header=BB4_129 Depth=2
	v_lshrrev_b32_e32 v18, 24, v15
	v_bfrev_b32_e32 v21, 1
	s_mov_b32 s25, exec_lo
	s_delay_alu instid0(VALU_DEP_2)
	v_cmpx_ne_u32_e32 0x80, v18
	s_cbranch_execz .LBB4_1058
; %bb.1051:                             ;   in Loop: Header=BB4_129 Depth=2
	v_and_b32_e32 v21, 0x7c000000, v15
	v_bfe_u32 v64, v15, 24, 2
	s_delay_alu instid0(VALU_DEP_2) | instskip(SKIP_1) | instid1(SALU_CYCLE_1)
	v_cmp_ne_u32_e32 vcc_lo, 0x7c000000, v21
                                        ; implicit-def: $vgpr21
	s_and_saveexec_b32 s26, vcc_lo
	s_xor_b32 s26, exec_lo, s26
	s_cbranch_execz .LBB4_1055
; %bb.1052:                             ;   in Loop: Header=BB4_129 Depth=2
	v_bfe_u32 v21, v15, 26, 5
	s_mov_b32 s27, exec_lo
	s_delay_alu instid0(VALU_DEP_1)
	v_cmpx_eq_u32_e32 0, v21
; %bb.1053:                             ;   in Loop: Header=BB4_129 Depth=2
	v_clz_i32_u32_e32 v21, v64
	s_delay_alu instid0(VALU_DEP_1) | instskip(NEXT) | instid1(VALU_DEP_1)
	v_min_u32_e32 v21, 32, v21
	v_subrev_nc_u32_e32 v64, 29, v21
	s_delay_alu instid0(VALU_DEP_1) | instskip(NEXT) | instid1(VALU_DEP_1)
	v_lshlrev_b64_e32 v[58:59], v64, v[18:19]
	v_dual_sub_nc_u32 v21, 30, v21 :: v_dual_bitop2_b32 v64, 3, v58 bitop3:0x40
; %bb.1054:                             ;   in Loop: Header=BB4_129 Depth=2
	s_or_b32 exec_lo, exec_lo, s27
	v_and_b32_e32 v18, 0x80000000, v15
	s_delay_alu instid0(VALU_DEP_1) | instskip(NEXT) | instid1(VALU_DEP_1)
	v_lshl_add_u32 v18, v21, 23, v18
	v_lshl_or_b32 v18, v64, 21, v18
                                        ; implicit-def: $vgpr64
	s_delay_alu instid0(VALU_DEP_1)
	v_add_nc_u32_e32 v21, 0x38000000, v18
.LBB4_1055:                             ;   in Loop: Header=BB4_129 Depth=2
	s_and_not1_saveexec_b32 s26, s26
; %bb.1056:                             ;   in Loop: Header=BB4_129 Depth=2
	v_cmp_lt_i64_e32 vcc_lo, -1, v[14:15]
	v_cndmask_b32_e32 v14, 0xff800000, v126, vcc_lo
	v_cmp_eq_u32_e32 vcc_lo, 0, v64
	s_delay_alu instid0(VALU_DEP_2)
	v_cndmask_b32_e32 v21, 0x7f800001, v14, vcc_lo
; %bb.1057:                             ;   in Loop: Header=BB4_129 Depth=2
	s_or_b32 exec_lo, exec_lo, s26
.LBB4_1058:                             ;   in Loop: Header=BB4_129 Depth=2
	s_delay_alu instid0(SALU_CYCLE_1)
	s_or_b32 exec_lo, exec_lo, s25
.LBB4_1059:                             ;   in Loop: Header=BB4_129 Depth=2
	s_delay_alu instid0(SALU_CYCLE_1) | instskip(NEXT) | instid1(SALU_CYCLE_1)
	s_or_b32 exec_lo, exec_lo, s10
	s_mov_b32 s10, exec_lo
	v_cmpx_lt_u64_e64 s[12:13], v[10:11]
	s_cbranch_execz .LBB4_1069
; %bb.1060:                             ;   in Loop: Header=BB4_129 Depth=2
	v_lshrrev_b32_e32 v14, 24, v11
	v_bfrev_b32_e32 v20, 1
	s_mov_b32 s25, exec_lo
	s_delay_alu instid0(VALU_DEP_2)
	v_cmpx_ne_u32_e32 0x80, v14
	s_cbranch_execz .LBB4_1068
; %bb.1061:                             ;   in Loop: Header=BB4_129 Depth=2
	v_and_b32_e32 v18, 0x7c000000, v11
	v_bfe_u32 v15, v11, 24, 2
	s_mov_b32 s26, exec_lo
                                        ; implicit-def: $vgpr20
	s_delay_alu instid0(VALU_DEP_2)
	v_cmpx_ne_u32_e32 0x7c000000, v18
	s_xor_b32 s26, exec_lo, s26
	s_cbranch_execz .LBB4_1065
; %bb.1062:                             ;   in Loop: Header=BB4_129 Depth=2
	v_bfe_u32 v18, v11, 26, 5
	s_mov_b32 s27, exec_lo
	s_delay_alu instid0(VALU_DEP_1)
	v_cmpx_eq_u32_e32 0, v18
; %bb.1063:                             ;   in Loop: Header=BB4_129 Depth=2
	v_clz_i32_u32_e32 v15, v15
	s_delay_alu instid0(VALU_DEP_1) | instskip(NEXT) | instid1(VALU_DEP_1)
	v_min_u32_e32 v18, 32, v15
	v_subrev_nc_u32_e32 v15, 29, v18
	v_sub_nc_u32_e32 v18, 30, v18
	s_delay_alu instid0(VALU_DEP_2) | instskip(NEXT) | instid1(VALU_DEP_1)
	v_lshlrev_b64_e32 v[14:15], v15, v[14:15]
	v_and_b32_e32 v15, 3, v14
; %bb.1064:                             ;   in Loop: Header=BB4_129 Depth=2
	s_or_b32 exec_lo, exec_lo, s27
	v_and_b32_e32 v14, 0x80000000, v11
	s_delay_alu instid0(VALU_DEP_1) | instskip(NEXT) | instid1(VALU_DEP_1)
	v_lshl_add_u32 v14, v18, 23, v14
	v_lshl_or_b32 v14, v15, 21, v14
                                        ; implicit-def: $vgpr15
	s_delay_alu instid0(VALU_DEP_1)
	v_add_nc_u32_e32 v20, 0x38000000, v14
.LBB4_1065:                             ;   in Loop: Header=BB4_129 Depth=2
	s_and_not1_saveexec_b32 s26, s26
; %bb.1066:                             ;   in Loop: Header=BB4_129 Depth=2
	v_cmp_lt_i64_e32 vcc_lo, -1, v[10:11]
	v_cndmask_b32_e32 v10, 0xff800000, v126, vcc_lo
	v_cmp_eq_u32_e32 vcc_lo, 0, v15
	s_delay_alu instid0(VALU_DEP_2)
	v_cndmask_b32_e32 v20, 0x7f800001, v10, vcc_lo
; %bb.1067:                             ;   in Loop: Header=BB4_129 Depth=2
	s_or_b32 exec_lo, exec_lo, s26
.LBB4_1068:                             ;   in Loop: Header=BB4_129 Depth=2
	s_delay_alu instid0(SALU_CYCLE_1)
	s_or_b32 exec_lo, exec_lo, s25
.LBB4_1069:                             ;   in Loop: Header=BB4_129 Depth=2
	s_delay_alu instid0(SALU_CYCLE_1) | instskip(NEXT) | instid1(VALU_DEP_1)
	s_or_b32 exec_lo, exec_lo, s10
	v_mul_f32_e32 v10, v21, v20
	v_mov_b32_e32 v15, v65
                                        ; implicit-def: $vgpr18
	s_mov_b32 s10, exec_lo
	s_delay_alu instid0(VALU_DEP_2) | instskip(SKIP_2) | instid1(VALU_DEP_3)
	v_and_b32_e32 v14, 0x7f800000, v10
	v_and_b32_e32 v64, 0x7fffff, v10
	v_lshrrev_b32_e32 v11, 24, v10
	v_cmpx_ne_u64_e32 0x7f800000, v[14:15]
	s_xor_b32 s25, exec_lo, s10
	s_cbranch_execz .LBB4_1083
; %bb.1070:                             ;   in Loop: Header=BB4_129 Depth=2
	v_and_b32_e32 v14, 0x7fffffff, v10
	v_mov_b32_e32 v15, v65
	v_and_b32_e32 v20, 0x80, v11
                                        ; implicit-def: $vgpr18
	s_mov_b32 s10, exec_lo
	s_delay_alu instid0(VALU_DEP_2)
	v_cmpx_gt_u64_e32 0x47600001, v[14:15]
	s_xor_b32 s26, exec_lo, s10
	s_cbranch_execz .LBB4_1080
; %bb.1071:                             ;   in Loop: Header=BB4_129 Depth=2
	v_mov_b32_e32 v18, 0
	s_mov_b32 s27, exec_lo
	v_cmpx_ne_u32_e32 0, v10
	s_cbranch_execz .LBB4_1079
; %bb.1072:                             ;   in Loop: Header=BB4_129 Depth=2
	v_bfe_u32 v18, v10, 23, 8
	v_or_b32_e32 v14, 0x800000, v64
	s_delay_alu instid0(VALU_DEP_2) | instskip(SKIP_1) | instid1(VALU_DEP_2)
	v_sub_nc_u32_e32 v10, 0x71, v18
	v_cmp_gt_u32_e32 vcc_lo, 0x72, v18
	v_cndmask_b32_e32 v10, 0, v10, vcc_lo
	v_cmp_eq_u32_e32 vcc_lo, 0, v18
	s_delay_alu instid0(VALU_DEP_2) | instskip(NEXT) | instid1(VALU_DEP_1)
	v_cndmask_b32_e64 v21, v10, 0x70, vcc_lo
	v_dual_cndmask_b32 v64, v14, v64, vcc_lo :: v_dual_add_nc_u32 v10, 21, v21
	v_add_nc_u32_e32 v15, 20, v21
	s_delay_alu instid0(VALU_DEP_2) | instskip(NEXT) | instid1(VALU_DEP_2)
	v_lshlrev_b64_e64 v[10:11], v10, -1
	v_lshlrev_b64_e64 v[14:15], v15, 1
	s_delay_alu instid0(VALU_DEP_2) | instskip(NEXT) | instid1(VALU_DEP_3)
	v_bfi_b32 v59, v11, 0, 0
	v_bfi_b32 v58, v10, 0, v64
	v_lshrrev_b64 v[10:11], v21, v[64:65]
	s_delay_alu instid0(VALU_DEP_2) | instskip(NEXT) | instid1(VALU_DEP_2)
	v_cmp_eq_u64_e64 s10, v[58:59], v[14:15]
	v_mov_b64_e32 v[14:15], v[10:11]
	s_and_saveexec_b32 s28, s10
; %bb.1073:                             ;   in Loop: Header=BB4_129 Depth=2
	v_bfe_u32 v64, v10, 21, 1
	s_delay_alu instid0(VALU_DEP_1) | instskip(NEXT) | instid1(VALU_DEP_1)
	v_add_nc_u64_e32 v[14:15], v[10:11], v[64:65]
	v_add_nc_u64_e32 v[14:15], -1, v[14:15]
; %bb.1074:                             ;   in Loop: Header=BB4_129 Depth=2
	s_or_b32 exec_lo, exec_lo, s28
	v_add_nc_u32_e32 v11, 0xffffff81, v18
	v_lshrrev_b32_e32 v15, 23, v10
	s_mov_b32 s10, exec_lo
	s_delay_alu instid0(VALU_DEP_2) | instskip(NEXT) | instid1(VALU_DEP_1)
	v_cndmask_b32_e64 v11, v11, 0xffffff82, vcc_lo
	v_add3_u32 v15, v21, v11, v15
	v_and_b32_e32 v11, 0x1fffff, v14
                                        ; implicit-def: $vgpr14
	s_delay_alu instid0(VALU_DEP_1) | instskip(NEXT) | instid1(VALU_DEP_1)
	v_dual_add_nc_u32 v18, 14, v15 :: v_dual_add_nc_u32 v64, v11, v10
                                        ; implicit-def: $vgpr10_vgpr11
	v_cmpx_ne_u32_e32 0, v18
	s_xor_b32 s10, exec_lo, s10
; %bb.1075:                             ;   in Loop: Header=BB4_129 Depth=2
	s_delay_alu instid0(VALU_DEP_2) | instskip(SKIP_1) | instid1(VALU_DEP_1)
	v_cmp_lt_u64_e32 vcc_lo, 0xffffff, v[64:65]
	v_add_nc_u32_e32 v10, 15, v15
	v_cndmask_b32_e32 v14, v18, v10, vcc_lo
	v_cndmask_b32_e64 v10, 0, 1, vcc_lo
	s_delay_alu instid0(VALU_DEP_1)
	v_lshrrev_b64 v[10:11], v10, v[64:65]
; %bb.1076:                             ;   in Loop: Header=BB4_129 Depth=2
	s_and_not1_saveexec_b32 s10, s10
; %bb.1077:                             ;   in Loop: Header=BB4_129 Depth=2
	v_mov_b64_e32 v[10:11], v[64:65]
	v_bfe_u32 v14, v64, 23, 1
; %bb.1078:                             ;   in Loop: Header=BB4_129 Depth=2
	s_or_b32 exec_lo, exec_lo, s10
	s_delay_alu instid0(VALU_DEP_2) | instskip(NEXT) | instid1(VALU_DEP_2)
	v_lshrrev_b64 v[10:11], 21, v[10:11]
	v_cmp_gt_i32_e32 vcc_lo, 32, v14
	v_min_i32_e32 v15, 31, v14
	v_cmp_eq_u32_e64 s10, 0, v14
	s_delay_alu instid0(VALU_DEP_4) | instskip(NEXT) | instid1(VALU_DEP_3)
	v_cndmask_b32_e32 v11, 0, v11, vcc_lo
	v_dual_cndmask_b32 v10, 3, v10 :: v_dual_lshlrev_b32 v15, 2, v15
	s_delay_alu instid0(VALU_DEP_1) | instskip(NEXT) | instid1(VALU_DEP_2)
	v_and_b32_e32 v15, 0xfc, v15
	v_cmp_eq_u64_e32 vcc_lo, 0, v[10:11]
	s_delay_alu instid0(VALU_DEP_2)
	v_and_or_b32 v10, v10, 3, v15
	s_and_b32 s10, s10, vcc_lo
	s_delay_alu instid0(VALU_DEP_1) | instid1(SALU_CYCLE_1)
	v_cndmask_b32_e64 v10, v10, 0, s10
	s_delay_alu instid0(VALU_DEP_1)
	v_or_b32_e32 v18, v10, v20
.LBB4_1079:                             ;   in Loop: Header=BB4_129 Depth=2
	s_or_b32 exec_lo, exec_lo, s27
                                        ; implicit-def: $vgpr20
.LBB4_1080:                             ;   in Loop: Header=BB4_129 Depth=2
	s_and_not1_saveexec_b32 s10, s26
; %bb.1081:                             ;   in Loop: Header=BB4_129 Depth=2
	v_or_b32_e32 v18, 0x7b, v20
; %bb.1082:                             ;   in Loop: Header=BB4_129 Depth=2
	s_or_b32 exec_lo, exec_lo, s10
                                        ; implicit-def: $vgpr10
                                        ; implicit-def: $vgpr11
.LBB4_1083:                             ;   in Loop: Header=BB4_129 Depth=2
	s_and_not1_saveexec_b32 s10, s25
	s_cbranch_execz .LBB4_1089
; %bb.1084:                             ;   in Loop: Header=BB4_129 Depth=2
	s_mov_b32 s25, exec_lo
                                        ; implicit-def: $vgpr18
	v_cmpx_ne_u64_e32 0, v[64:65]
	s_xor_b32 s25, exec_lo, s25
; %bb.1085:                             ;   in Loop: Header=BB4_129 Depth=2
	v_or_b32_e32 v18, 0x7f, v11
                                        ; implicit-def: $vgpr10
; %bb.1086:                             ;   in Loop: Header=BB4_129 Depth=2
	s_and_not1_saveexec_b32 s25, s25
; %bb.1087:                             ;   in Loop: Header=BB4_129 Depth=2
	v_cmp_lt_i32_e32 vcc_lo, -1, v10
	v_cndmask_b32_e32 v18, 0xfc, v68, vcc_lo
; %bb.1088:                             ;   in Loop: Header=BB4_129 Depth=2
	s_or_b32 exec_lo, exec_lo, s25
.LBB4_1089:                             ;   in Loop: Header=BB4_129 Depth=2
	s_delay_alu instid0(SALU_CYCLE_1) | instskip(SKIP_2) | instid1(VALU_DEP_2)
	s_or_b32 exec_lo, exec_lo, s10
	v_and_b32_e32 v11, 0xff, v16
	v_mov_b32_e32 v10, 0
	v_cmp_ne_u16_e32 vcc_lo, 0, v11
	v_mov_b32_e32 v11, 0
	s_and_saveexec_b32 s10, vcc_lo
	s_cbranch_execz .LBB4_1099
; %bb.1090:                             ;   in Loop: Header=BB4_129 Depth=2
	v_bfe_i32 v15, v16, 0, 8
	v_bfrev_b32_e32 v11, 1
	s_mov_b32 s25, exec_lo
	s_delay_alu instid0(VALU_DEP_2)
	v_cmpx_ne_u16_e32 0xff80, v15
	s_cbranch_execz .LBB4_1098
; %bb.1091:                             ;   in Loop: Header=BB4_129 Depth=2
	v_and_b32_e32 v11, 0x7c, v16
	v_and_b32_e32 v14, 3, v16
	s_delay_alu instid0(VALU_DEP_2) | instskip(SKIP_1) | instid1(SALU_CYCLE_1)
	v_cmp_ne_u32_e32 vcc_lo, 0x7c, v11
                                        ; implicit-def: $vgpr11
	s_and_saveexec_b32 s26, vcc_lo
	s_xor_b32 s26, exec_lo, s26
	s_cbranch_execz .LBB4_1095
; %bb.1092:                             ;   in Loop: Header=BB4_129 Depth=2
	v_bfe_u32 v11, v16, 2, 5
	s_mov_b32 s27, exec_lo
	s_delay_alu instid0(VALU_DEP_1)
	v_cmpx_eq_u32_e32 0, v11
; %bb.1093:                             ;   in Loop: Header=BB4_129 Depth=2
	v_clz_i32_u32_e32 v11, v14
	s_delay_alu instid0(VALU_DEP_1) | instskip(NEXT) | instid1(VALU_DEP_1)
	v_min_u32_e32 v11, 32, v11
	v_subrev_nc_u32_e32 v14, 29, v11
	s_delay_alu instid0(VALU_DEP_1) | instskip(NEXT) | instid1(VALU_DEP_1)
	v_lshlrev_b64_e32 v[14:15], v14, v[16:17]
	v_dual_sub_nc_u32 v11, 30, v11 :: v_dual_bitop2_b32 v14, 3, v14 bitop3:0x40
; %bb.1094:                             ;   in Loop: Header=BB4_129 Depth=2
	s_or_b32 exec_lo, exec_lo, s27
	v_lshlrev_b32_e32 v15, 24, v16
	s_delay_alu instid0(VALU_DEP_1) | instskip(NEXT) | instid1(VALU_DEP_1)
	v_and_b32_e32 v15, 0x80000000, v15
	v_lshl_add_u32 v11, v11, 23, v15
                                        ; implicit-def: $vgpr15
	s_delay_alu instid0(VALU_DEP_1) | instskip(NEXT) | instid1(VALU_DEP_1)
	v_lshl_or_b32 v11, v14, 21, v11
                                        ; implicit-def: $vgpr14
	v_add_nc_u32_e32 v11, 0x38000000, v11
.LBB4_1095:                             ;   in Loop: Header=BB4_129 Depth=2
	s_and_not1_saveexec_b32 s26, s26
; %bb.1096:                             ;   in Loop: Header=BB4_129 Depth=2
	v_cmp_lt_i16_e32 vcc_lo, -1, v15
	v_cndmask_b32_e32 v11, 0xff800000, v126, vcc_lo
	v_cmp_eq_u32_e32 vcc_lo, 0, v14
	s_delay_alu instid0(VALU_DEP_2)
	v_cndmask_b32_e32 v11, 0x7f800001, v11, vcc_lo
; %bb.1097:                             ;   in Loop: Header=BB4_129 Depth=2
	s_or_b32 exec_lo, exec_lo, s26
.LBB4_1098:                             ;   in Loop: Header=BB4_129 Depth=2
	s_delay_alu instid0(SALU_CYCLE_1)
	s_or_b32 exec_lo, exec_lo, s25
.LBB4_1099:                             ;   in Loop: Header=BB4_129 Depth=2
	s_delay_alu instid0(SALU_CYCLE_1) | instskip(SKIP_2) | instid1(VALU_DEP_1)
	s_or_b32 exec_lo, exec_lo, s10
	v_and_b32_e32 v14, 0xff, v12
	s_mov_b32 s10, exec_lo
	v_cmpx_ne_u16_e32 0, v14
	s_cbranch_execz .LBB4_1109
; %bb.1100:                             ;   in Loop: Header=BB4_129 Depth=2
	v_bfe_i32 v15, v12, 0, 8
	v_bfrev_b32_e32 v10, 1
	s_mov_b32 s25, exec_lo
	s_delay_alu instid0(VALU_DEP_2)
	v_cmpx_ne_u16_e32 0xff80, v15
	s_cbranch_execz .LBB4_1108
; %bb.1101:                             ;   in Loop: Header=BB4_129 Depth=2
	v_and_b32_e32 v10, 0x7c, v12
	v_and_b32_e32 v14, 3, v12
	s_delay_alu instid0(VALU_DEP_2) | instskip(SKIP_1) | instid1(SALU_CYCLE_1)
	v_cmp_ne_u32_e32 vcc_lo, 0x7c, v10
                                        ; implicit-def: $vgpr10
	s_and_saveexec_b32 s26, vcc_lo
	s_xor_b32 s26, exec_lo, s26
	s_cbranch_execz .LBB4_1105
; %bb.1102:                             ;   in Loop: Header=BB4_129 Depth=2
	v_bfe_u32 v10, v12, 2, 5
	s_mov_b32 s27, exec_lo
	s_delay_alu instid0(VALU_DEP_1)
	v_cmpx_eq_u32_e32 0, v10
; %bb.1103:                             ;   in Loop: Header=BB4_129 Depth=2
	v_clz_i32_u32_e32 v10, v14
	s_delay_alu instid0(VALU_DEP_1) | instskip(NEXT) | instid1(VALU_DEP_1)
	v_min_u32_e32 v10, 32, v10
	v_subrev_nc_u32_e32 v14, 29, v10
	v_sub_nc_u32_e32 v10, 30, v10
	s_delay_alu instid0(VALU_DEP_2) | instskip(NEXT) | instid1(VALU_DEP_1)
	v_lshlrev_b64_e32 v[14:15], v14, v[12:13]
	v_and_b32_e32 v14, 3, v14
; %bb.1104:                             ;   in Loop: Header=BB4_129 Depth=2
	s_or_b32 exec_lo, exec_lo, s27
	v_lshlrev_b32_e32 v15, 24, v12
	s_delay_alu instid0(VALU_DEP_1) | instskip(NEXT) | instid1(VALU_DEP_1)
	v_and_b32_e32 v15, 0x80000000, v15
	v_lshl_add_u32 v10, v10, 23, v15
                                        ; implicit-def: $vgpr15
	s_delay_alu instid0(VALU_DEP_1) | instskip(NEXT) | instid1(VALU_DEP_1)
	v_lshl_or_b32 v10, v14, 21, v10
                                        ; implicit-def: $vgpr14
	v_add_nc_u32_e32 v10, 0x38000000, v10
.LBB4_1105:                             ;   in Loop: Header=BB4_129 Depth=2
	s_and_not1_saveexec_b32 s26, s26
; %bb.1106:                             ;   in Loop: Header=BB4_129 Depth=2
	v_cmp_lt_i16_e32 vcc_lo, -1, v15
	v_cndmask_b32_e32 v10, 0xff800000, v126, vcc_lo
	v_cmp_eq_u32_e32 vcc_lo, 0, v14
	s_delay_alu instid0(VALU_DEP_2)
	v_cndmask_b32_e32 v10, 0x7f800001, v10, vcc_lo
; %bb.1107:                             ;   in Loop: Header=BB4_129 Depth=2
	s_or_b32 exec_lo, exec_lo, s26
.LBB4_1108:                             ;   in Loop: Header=BB4_129 Depth=2
	s_delay_alu instid0(SALU_CYCLE_1)
	s_or_b32 exec_lo, exec_lo, s25
.LBB4_1109:                             ;   in Loop: Header=BB4_129 Depth=2
	s_delay_alu instid0(SALU_CYCLE_1) | instskip(NEXT) | instid1(VALU_DEP_1)
	s_or_b32 exec_lo, exec_lo, s10
	v_dual_mul_f32 v10, v11, v10 :: v_dual_mov_b32 v15, v65
                                        ; implicit-def: $vgpr20
	s_mov_b32 s10, exec_lo
	s_delay_alu instid0(VALU_DEP_1) | instskip(SKIP_2) | instid1(VALU_DEP_3)
	v_and_b32_e32 v14, 0x7f800000, v10
	v_and_b32_e32 v64, 0x7fffff, v10
	v_lshrrev_b32_e32 v11, 24, v10
	v_cmpx_ne_u64_e32 0x7f800000, v[14:15]
	s_xor_b32 s25, exec_lo, s10
	s_cbranch_execz .LBB4_1123
; %bb.1110:                             ;   in Loop: Header=BB4_129 Depth=2
	v_and_b32_e32 v14, 0x7fffffff, v10
	v_mov_b32_e32 v15, v65
	v_and_b32_e32 v21, 0x80, v11
                                        ; implicit-def: $vgpr20
	s_mov_b32 s10, exec_lo
	s_delay_alu instid0(VALU_DEP_2)
	v_cmpx_gt_u64_e32 0x47600001, v[14:15]
	s_xor_b32 s26, exec_lo, s10
	s_cbranch_execz .LBB4_1120
; %bb.1111:                             ;   in Loop: Header=BB4_129 Depth=2
	v_mov_b32_e32 v20, 0
	s_mov_b32 s27, exec_lo
	v_cmpx_ne_u32_e32 0, v10
	s_cbranch_execz .LBB4_1119
; %bb.1112:                             ;   in Loop: Header=BB4_129 Depth=2
	v_bfe_u32 v20, v10, 23, 8
	v_or_b32_e32 v14, 0x800000, v64
	s_delay_alu instid0(VALU_DEP_2) | instskip(SKIP_1) | instid1(VALU_DEP_2)
	v_sub_nc_u32_e32 v10, 0x71, v20
	v_cmp_gt_u32_e32 vcc_lo, 0x72, v20
	v_cndmask_b32_e32 v10, 0, v10, vcc_lo
	v_cmp_eq_u32_e32 vcc_lo, 0, v20
	v_cndmask_b32_e32 v64, v14, v64, vcc_lo
	s_delay_alu instid0(VALU_DEP_3) | instskip(NEXT) | instid1(VALU_DEP_1)
	v_cndmask_b32_e64 v58, v10, 0x70, vcc_lo
	v_dual_add_nc_u32 v10, 21, v58 :: v_dual_add_nc_u32 v15, 20, v58
	s_delay_alu instid0(VALU_DEP_1) | instskip(NEXT) | instid1(VALU_DEP_2)
	v_lshlrev_b64_e64 v[10:11], v10, -1
	v_lshlrev_b64_e64 v[14:15], v15, 1
	s_delay_alu instid0(VALU_DEP_2) | instskip(NEXT) | instid1(VALU_DEP_3)
	v_bfi_b32 v61, v11, 0, 0
	v_bfi_b32 v60, v10, 0, v64
	v_lshrrev_b64 v[10:11], v58, v[64:65]
	s_delay_alu instid0(VALU_DEP_2) | instskip(NEXT) | instid1(VALU_DEP_2)
	v_cmp_eq_u64_e64 s10, v[60:61], v[14:15]
	v_mov_b64_e32 v[14:15], v[10:11]
	s_and_saveexec_b32 s28, s10
; %bb.1113:                             ;   in Loop: Header=BB4_129 Depth=2
	v_bfe_u32 v64, v10, 21, 1
	s_delay_alu instid0(VALU_DEP_1) | instskip(NEXT) | instid1(VALU_DEP_1)
	v_add_nc_u64_e32 v[14:15], v[10:11], v[64:65]
	v_add_nc_u64_e32 v[14:15], -1, v[14:15]
; %bb.1114:                             ;   in Loop: Header=BB4_129 Depth=2
	s_or_b32 exec_lo, exec_lo, s28
	v_add_nc_u32_e32 v11, 0xffffff81, v20
	v_lshrrev_b32_e32 v15, 23, v10
	s_mov_b32 s10, exec_lo
	s_delay_alu instid0(VALU_DEP_2) | instskip(NEXT) | instid1(VALU_DEP_1)
	v_cndmask_b32_e64 v11, v11, 0xffffff82, vcc_lo
	v_add3_u32 v15, v58, v11, v15
	v_and_b32_e32 v11, 0x1fffff, v14
                                        ; implicit-def: $vgpr14
	s_delay_alu instid0(VALU_DEP_1) | instskip(NEXT) | instid1(VALU_DEP_1)
	v_dual_add_nc_u32 v20, 14, v15 :: v_dual_add_nc_u32 v64, v11, v10
                                        ; implicit-def: $vgpr10_vgpr11
	v_cmpx_ne_u32_e32 0, v20
	s_xor_b32 s10, exec_lo, s10
; %bb.1115:                             ;   in Loop: Header=BB4_129 Depth=2
	s_delay_alu instid0(VALU_DEP_2) | instskip(SKIP_1) | instid1(VALU_DEP_1)
	v_cmp_lt_u64_e32 vcc_lo, 0xffffff, v[64:65]
	v_add_nc_u32_e32 v10, 15, v15
	v_cndmask_b32_e32 v14, v20, v10, vcc_lo
	v_cndmask_b32_e64 v10, 0, 1, vcc_lo
	s_delay_alu instid0(VALU_DEP_1)
	v_lshrrev_b64 v[10:11], v10, v[64:65]
; %bb.1116:                             ;   in Loop: Header=BB4_129 Depth=2
	s_and_not1_saveexec_b32 s10, s10
; %bb.1117:                             ;   in Loop: Header=BB4_129 Depth=2
	v_mov_b64_e32 v[10:11], v[64:65]
	v_bfe_u32 v14, v64, 23, 1
; %bb.1118:                             ;   in Loop: Header=BB4_129 Depth=2
	s_or_b32 exec_lo, exec_lo, s10
	s_delay_alu instid0(VALU_DEP_2) | instskip(NEXT) | instid1(VALU_DEP_2)
	v_lshrrev_b64 v[10:11], 21, v[10:11]
	v_cmp_gt_i32_e32 vcc_lo, 32, v14
	v_min_i32_e32 v15, 31, v14
	v_cmp_eq_u32_e64 s10, 0, v14
	s_delay_alu instid0(VALU_DEP_4) | instskip(NEXT) | instid1(VALU_DEP_3)
	v_cndmask_b32_e32 v11, 0, v11, vcc_lo
	v_dual_cndmask_b32 v10, 3, v10 :: v_dual_lshlrev_b32 v15, 2, v15
	s_delay_alu instid0(VALU_DEP_1) | instskip(NEXT) | instid1(VALU_DEP_2)
	v_and_b32_e32 v15, 0xfc, v15
	v_cmp_eq_u64_e32 vcc_lo, 0, v[10:11]
	s_delay_alu instid0(VALU_DEP_2)
	v_and_or_b32 v10, v10, 3, v15
	s_and_b32 s10, s10, vcc_lo
	s_delay_alu instid0(VALU_DEP_1) | instid1(SALU_CYCLE_1)
	v_cndmask_b32_e64 v10, v10, 0, s10
	s_delay_alu instid0(VALU_DEP_1)
	v_or_b32_e32 v20, v10, v21
.LBB4_1119:                             ;   in Loop: Header=BB4_129 Depth=2
	s_or_b32 exec_lo, exec_lo, s27
                                        ; implicit-def: $vgpr21
.LBB4_1120:                             ;   in Loop: Header=BB4_129 Depth=2
	s_and_not1_saveexec_b32 s10, s26
; %bb.1121:                             ;   in Loop: Header=BB4_129 Depth=2
	v_or_b32_e32 v20, 0x7b, v21
; %bb.1122:                             ;   in Loop: Header=BB4_129 Depth=2
	s_or_b32 exec_lo, exec_lo, s10
                                        ; implicit-def: $vgpr10
                                        ; implicit-def: $vgpr11
.LBB4_1123:                             ;   in Loop: Header=BB4_129 Depth=2
	s_and_not1_saveexec_b32 s10, s25
	s_cbranch_execz .LBB4_1129
; %bb.1124:                             ;   in Loop: Header=BB4_129 Depth=2
	s_mov_b32 s25, exec_lo
                                        ; implicit-def: $vgpr20
	v_cmpx_ne_u64_e32 0, v[64:65]
	s_xor_b32 s25, exec_lo, s25
; %bb.1125:                             ;   in Loop: Header=BB4_129 Depth=2
	v_or_b32_e32 v20, 0x7f, v11
                                        ; implicit-def: $vgpr10
; %bb.1126:                             ;   in Loop: Header=BB4_129 Depth=2
	s_and_not1_saveexec_b32 s25, s25
; %bb.1127:                             ;   in Loop: Header=BB4_129 Depth=2
	v_cmp_lt_i32_e32 vcc_lo, -1, v10
	v_cndmask_b32_e32 v20, 0xfc, v68, vcc_lo
; %bb.1128:                             ;   in Loop: Header=BB4_129 Depth=2
	s_or_b32 exec_lo, exec_lo, s25
.LBB4_1129:                             ;   in Loop: Header=BB4_129 Depth=2
	s_delay_alu instid0(SALU_CYCLE_1) | instskip(SKIP_3) | instid1(VALU_DEP_2)
	s_or_b32 exec_lo, exec_lo, s10
	v_lshrrev_b16 v64, 8, v16
	v_dual_mov_b32 v10, 0 :: v_dual_mov_b32 v11, 0
	s_mov_b32 s10, exec_lo
	v_cmpx_ne_u16_e32 0, v64
	s_cbranch_execz .LBB4_1139
; %bb.1130:                             ;   in Loop: Header=BB4_129 Depth=2
	v_bfrev_b32_e32 v11, 1
	s_mov_b32 s25, exec_lo
	v_cmpx_ne_u16_e32 0x80, v64
	s_cbranch_execz .LBB4_1138
; %bb.1131:                             ;   in Loop: Header=BB4_129 Depth=2
	v_and_b32_e32 v15, 0xffff, v64
	s_delay_alu instid0(VALU_DEP_1) | instskip(SKIP_1) | instid1(VALU_DEP_2)
	v_and_b32_e32 v11, 0x7c, v15
	v_and_b32_e32 v14, 3, v15
	v_cmp_ne_u32_e32 vcc_lo, 0x7c, v11
                                        ; implicit-def: $vgpr11
	s_and_saveexec_b32 s26, vcc_lo
	s_delay_alu instid0(SALU_CYCLE_1)
	s_xor_b32 s26, exec_lo, s26
	s_cbranch_execz .LBB4_1135
; %bb.1132:                             ;   in Loop: Header=BB4_129 Depth=2
	v_bfe_u32 v11, v15, 2, 5
	s_mov_b32 s27, exec_lo
	s_delay_alu instid0(VALU_DEP_1)
	v_cmpx_eq_u32_e32 0, v11
; %bb.1133:                             ;   in Loop: Header=BB4_129 Depth=2
	v_clz_i32_u32_e32 v11, v14
	s_delay_alu instid0(VALU_DEP_1) | instskip(NEXT) | instid1(VALU_DEP_1)
	v_min_u32_e32 v11, 32, v11
	v_subrev_nc_u32_e32 v14, 29, v11
	s_delay_alu instid0(VALU_DEP_1) | instskip(NEXT) | instid1(VALU_DEP_1)
	v_lshlrev_b64_e32 v[14:15], v14, v[64:65]
	v_dual_sub_nc_u32 v11, 30, v11 :: v_dual_bitop2_b32 v14, 3, v14 bitop3:0x40
; %bb.1134:                             ;   in Loop: Header=BB4_129 Depth=2
	s_or_b32 exec_lo, exec_lo, s27
	v_lshlrev_b32_e32 v15, 16, v16
	s_delay_alu instid0(VALU_DEP_1) | instskip(NEXT) | instid1(VALU_DEP_1)
	v_and_b32_e32 v15, 0x80000000, v15
	v_lshl_add_u32 v11, v11, 23, v15
	s_delay_alu instid0(VALU_DEP_1) | instskip(NEXT) | instid1(VALU_DEP_1)
	v_lshl_or_b32 v11, v14, 21, v11
                                        ; implicit-def: $vgpr14
	v_add_nc_u32_e32 v11, 0x38000000, v11
.LBB4_1135:                             ;   in Loop: Header=BB4_129 Depth=2
	s_and_not1_saveexec_b32 s26, s26
; %bb.1136:                             ;   in Loop: Header=BB4_129 Depth=2
	v_cmp_lt_i16_e32 vcc_lo, -1, v16
	v_cndmask_b32_e32 v11, 0xff800000, v126, vcc_lo
	v_cmp_eq_u32_e32 vcc_lo, 0, v14
	s_delay_alu instid0(VALU_DEP_2)
	v_cndmask_b32_e32 v11, 0x7f800001, v11, vcc_lo
; %bb.1137:                             ;   in Loop: Header=BB4_129 Depth=2
	s_or_b32 exec_lo, exec_lo, s26
.LBB4_1138:                             ;   in Loop: Header=BB4_129 Depth=2
	s_delay_alu instid0(SALU_CYCLE_1)
	s_or_b32 exec_lo, exec_lo, s25
.LBB4_1139:                             ;   in Loop: Header=BB4_129 Depth=2
	s_delay_alu instid0(SALU_CYCLE_1) | instskip(SKIP_2) | instid1(VALU_DEP_1)
	s_or_b32 exec_lo, exec_lo, s10
	v_lshrrev_b16 v64, 8, v12
	s_mov_b32 s10, exec_lo
	v_cmpx_ne_u16_e32 0, v64
	s_cbranch_execz .LBB4_1149
; %bb.1140:                             ;   in Loop: Header=BB4_129 Depth=2
	v_bfrev_b32_e32 v10, 1
	s_mov_b32 s25, exec_lo
	v_cmpx_ne_u16_e32 0x80, v64
	s_cbranch_execz .LBB4_1148
; %bb.1141:                             ;   in Loop: Header=BB4_129 Depth=2
	v_and_b32_e32 v15, 0xffff, v64
	s_delay_alu instid0(VALU_DEP_1) | instskip(SKIP_1) | instid1(VALU_DEP_2)
	v_and_b32_e32 v10, 0x7c, v15
	v_and_b32_e32 v14, 3, v15
	v_cmp_ne_u32_e32 vcc_lo, 0x7c, v10
                                        ; implicit-def: $vgpr10
	s_and_saveexec_b32 s26, vcc_lo
	s_delay_alu instid0(SALU_CYCLE_1)
	s_xor_b32 s26, exec_lo, s26
	s_cbranch_execz .LBB4_1145
; %bb.1142:                             ;   in Loop: Header=BB4_129 Depth=2
	v_bfe_u32 v10, v15, 2, 5
	s_mov_b32 s27, exec_lo
	s_delay_alu instid0(VALU_DEP_1)
	v_cmpx_eq_u32_e32 0, v10
; %bb.1143:                             ;   in Loop: Header=BB4_129 Depth=2
	v_clz_i32_u32_e32 v10, v14
	s_delay_alu instid0(VALU_DEP_1) | instskip(NEXT) | instid1(VALU_DEP_1)
	v_min_u32_e32 v10, 32, v10
	v_subrev_nc_u32_e32 v14, 29, v10
	v_sub_nc_u32_e32 v10, 30, v10
	s_delay_alu instid0(VALU_DEP_2) | instskip(NEXT) | instid1(VALU_DEP_1)
	v_lshlrev_b64_e32 v[14:15], v14, v[64:65]
	v_and_b32_e32 v14, 3, v14
; %bb.1144:                             ;   in Loop: Header=BB4_129 Depth=2
	s_or_b32 exec_lo, exec_lo, s27
	v_lshlrev_b32_e32 v15, 16, v12
	s_delay_alu instid0(VALU_DEP_1) | instskip(NEXT) | instid1(VALU_DEP_1)
	v_and_b32_e32 v15, 0x80000000, v15
	v_lshl_add_u32 v10, v10, 23, v15
	s_delay_alu instid0(VALU_DEP_1) | instskip(NEXT) | instid1(VALU_DEP_1)
	v_lshl_or_b32 v10, v14, 21, v10
                                        ; implicit-def: $vgpr14
	v_add_nc_u32_e32 v10, 0x38000000, v10
.LBB4_1145:                             ;   in Loop: Header=BB4_129 Depth=2
	s_and_not1_saveexec_b32 s26, s26
; %bb.1146:                             ;   in Loop: Header=BB4_129 Depth=2
	v_cmp_lt_i16_e32 vcc_lo, -1, v12
	v_cndmask_b32_e32 v10, 0xff800000, v126, vcc_lo
	v_cmp_eq_u32_e32 vcc_lo, 0, v14
	s_delay_alu instid0(VALU_DEP_2)
	v_cndmask_b32_e32 v10, 0x7f800001, v10, vcc_lo
; %bb.1147:                             ;   in Loop: Header=BB4_129 Depth=2
	s_or_b32 exec_lo, exec_lo, s26
.LBB4_1148:                             ;   in Loop: Header=BB4_129 Depth=2
	s_delay_alu instid0(SALU_CYCLE_1)
	s_or_b32 exec_lo, exec_lo, s25
.LBB4_1149:                             ;   in Loop: Header=BB4_129 Depth=2
	s_delay_alu instid0(SALU_CYCLE_1) | instskip(NEXT) | instid1(VALU_DEP_1)
	s_or_b32 exec_lo, exec_lo, s10
	v_dual_mul_f32 v10, v11, v10 :: v_dual_mov_b32 v15, v65
                                        ; implicit-def: $vgpr21
	s_mov_b32 s10, exec_lo
	s_delay_alu instid0(VALU_DEP_1) | instskip(SKIP_2) | instid1(VALU_DEP_3)
	v_and_b32_e32 v14, 0x7f800000, v10
	v_and_b32_e32 v64, 0x7fffff, v10
	v_lshrrev_b32_e32 v11, 24, v10
	v_cmpx_ne_u64_e32 0x7f800000, v[14:15]
	s_xor_b32 s25, exec_lo, s10
	s_cbranch_execz .LBB4_1163
; %bb.1150:                             ;   in Loop: Header=BB4_129 Depth=2
	v_and_b32_e32 v14, 0x7fffffff, v10
	v_mov_b32_e32 v15, v65
	v_and_b32_e32 v58, 0x80, v11
                                        ; implicit-def: $vgpr21
	s_mov_b32 s10, exec_lo
	s_delay_alu instid0(VALU_DEP_2)
	v_cmpx_gt_u64_e32 0x47600001, v[14:15]
	s_xor_b32 s26, exec_lo, s10
	s_cbranch_execz .LBB4_1160
; %bb.1151:                             ;   in Loop: Header=BB4_129 Depth=2
	v_mov_b32_e32 v21, 0
	s_mov_b32 s27, exec_lo
	v_cmpx_ne_u32_e32 0, v10
	s_cbranch_execz .LBB4_1159
; %bb.1152:                             ;   in Loop: Header=BB4_129 Depth=2
	v_bfe_u32 v21, v10, 23, 8
	v_or_b32_e32 v14, 0x800000, v64
	s_delay_alu instid0(VALU_DEP_2) | instskip(SKIP_1) | instid1(VALU_DEP_2)
	v_sub_nc_u32_e32 v10, 0x71, v21
	v_cmp_gt_u32_e32 vcc_lo, 0x72, v21
	v_cndmask_b32_e32 v10, 0, v10, vcc_lo
	v_cmp_eq_u32_e32 vcc_lo, 0, v21
	s_delay_alu instid0(VALU_DEP_2) | instskip(NEXT) | instid1(VALU_DEP_1)
	v_cndmask_b32_e64 v59, v10, 0x70, vcc_lo
	v_dual_cndmask_b32 v64, v14, v64, vcc_lo :: v_dual_add_nc_u32 v10, 21, v59
	v_add_nc_u32_e32 v15, 20, v59
	s_delay_alu instid0(VALU_DEP_2) | instskip(NEXT) | instid1(VALU_DEP_2)
	v_lshlrev_b64_e64 v[10:11], v10, -1
	v_lshlrev_b64_e64 v[14:15], v15, 1
	s_delay_alu instid0(VALU_DEP_2) | instskip(NEXT) | instid1(VALU_DEP_3)
	v_bfi_b32 v61, v11, 0, 0
	v_bfi_b32 v60, v10, 0, v64
	v_lshrrev_b64 v[10:11], v59, v[64:65]
	s_delay_alu instid0(VALU_DEP_2) | instskip(NEXT) | instid1(VALU_DEP_2)
	v_cmp_eq_u64_e64 s10, v[60:61], v[14:15]
	v_mov_b64_e32 v[14:15], v[10:11]
	s_and_saveexec_b32 s28, s10
; %bb.1153:                             ;   in Loop: Header=BB4_129 Depth=2
	v_bfe_u32 v64, v10, 21, 1
	s_delay_alu instid0(VALU_DEP_1) | instskip(NEXT) | instid1(VALU_DEP_1)
	v_add_nc_u64_e32 v[14:15], v[10:11], v[64:65]
	v_add_nc_u64_e32 v[14:15], -1, v[14:15]
; %bb.1154:                             ;   in Loop: Header=BB4_129 Depth=2
	s_or_b32 exec_lo, exec_lo, s28
	v_add_nc_u32_e32 v11, 0xffffff81, v21
	v_lshrrev_b32_e32 v15, 23, v10
	s_mov_b32 s10, exec_lo
	s_delay_alu instid0(VALU_DEP_2) | instskip(NEXT) | instid1(VALU_DEP_1)
	v_cndmask_b32_e64 v11, v11, 0xffffff82, vcc_lo
	v_add3_u32 v15, v59, v11, v15
	v_and_b32_e32 v11, 0x1fffff, v14
                                        ; implicit-def: $vgpr14
	s_delay_alu instid0(VALU_DEP_1) | instskip(NEXT) | instid1(VALU_DEP_1)
	v_dual_add_nc_u32 v21, 14, v15 :: v_dual_add_nc_u32 v64, v11, v10
                                        ; implicit-def: $vgpr10_vgpr11
	v_cmpx_ne_u32_e32 0, v21
	s_xor_b32 s10, exec_lo, s10
; %bb.1155:                             ;   in Loop: Header=BB4_129 Depth=2
	s_delay_alu instid0(VALU_DEP_2) | instskip(SKIP_1) | instid1(VALU_DEP_1)
	v_cmp_lt_u64_e32 vcc_lo, 0xffffff, v[64:65]
	v_add_nc_u32_e32 v10, 15, v15
	v_cndmask_b32_e32 v14, v21, v10, vcc_lo
	v_cndmask_b32_e64 v10, 0, 1, vcc_lo
	s_delay_alu instid0(VALU_DEP_1)
	v_lshrrev_b64 v[10:11], v10, v[64:65]
; %bb.1156:                             ;   in Loop: Header=BB4_129 Depth=2
	s_and_not1_saveexec_b32 s10, s10
; %bb.1157:                             ;   in Loop: Header=BB4_129 Depth=2
	v_mov_b64_e32 v[10:11], v[64:65]
	v_bfe_u32 v14, v64, 23, 1
; %bb.1158:                             ;   in Loop: Header=BB4_129 Depth=2
	s_or_b32 exec_lo, exec_lo, s10
	s_delay_alu instid0(VALU_DEP_2) | instskip(NEXT) | instid1(VALU_DEP_2)
	v_lshrrev_b64 v[10:11], 21, v[10:11]
	v_cmp_gt_i32_e32 vcc_lo, 32, v14
	v_min_i32_e32 v15, 31, v14
	v_cmp_eq_u32_e64 s10, 0, v14
	s_delay_alu instid0(VALU_DEP_4) | instskip(NEXT) | instid1(VALU_DEP_3)
	v_cndmask_b32_e32 v11, 0, v11, vcc_lo
	v_dual_cndmask_b32 v10, 3, v10 :: v_dual_lshlrev_b32 v15, 2, v15
	s_delay_alu instid0(VALU_DEP_1) | instskip(NEXT) | instid1(VALU_DEP_2)
	v_and_b32_e32 v15, 0xfc, v15
	v_cmp_eq_u64_e32 vcc_lo, 0, v[10:11]
	s_delay_alu instid0(VALU_DEP_2)
	v_and_or_b32 v10, v10, 3, v15
	s_and_b32 s10, s10, vcc_lo
	s_delay_alu instid0(VALU_DEP_1) | instid1(SALU_CYCLE_1)
	v_cndmask_b32_e64 v10, v10, 0, s10
	s_delay_alu instid0(VALU_DEP_1)
	v_or_b32_e32 v21, v10, v58
.LBB4_1159:                             ;   in Loop: Header=BB4_129 Depth=2
	s_or_b32 exec_lo, exec_lo, s27
                                        ; implicit-def: $vgpr58
.LBB4_1160:                             ;   in Loop: Header=BB4_129 Depth=2
	s_and_not1_saveexec_b32 s10, s26
; %bb.1161:                             ;   in Loop: Header=BB4_129 Depth=2
	v_or_b32_e32 v21, 0x7b, v58
; %bb.1162:                             ;   in Loop: Header=BB4_129 Depth=2
	s_or_b32 exec_lo, exec_lo, s10
                                        ; implicit-def: $vgpr10
                                        ; implicit-def: $vgpr11
.LBB4_1163:                             ;   in Loop: Header=BB4_129 Depth=2
	s_and_not1_saveexec_b32 s10, s25
	s_cbranch_execz .LBB4_1169
; %bb.1164:                             ;   in Loop: Header=BB4_129 Depth=2
	s_mov_b32 s25, exec_lo
                                        ; implicit-def: $vgpr21
	v_cmpx_ne_u64_e32 0, v[64:65]
	s_xor_b32 s25, exec_lo, s25
; %bb.1165:                             ;   in Loop: Header=BB4_129 Depth=2
	v_or_b32_e32 v21, 0x7f, v11
                                        ; implicit-def: $vgpr10
; %bb.1166:                             ;   in Loop: Header=BB4_129 Depth=2
	s_and_not1_saveexec_b32 s25, s25
; %bb.1167:                             ;   in Loop: Header=BB4_129 Depth=2
	v_cmp_lt_i32_e32 vcc_lo, -1, v10
	v_cndmask_b32_e32 v21, 0xfc, v68, vcc_lo
; %bb.1168:                             ;   in Loop: Header=BB4_129 Depth=2
	s_or_b32 exec_lo, exec_lo, s25
.LBB4_1169:                             ;   in Loop: Header=BB4_129 Depth=2
	s_delay_alu instid0(SALU_CYCLE_1) | instskip(SKIP_3) | instid1(VALU_DEP_2)
	s_or_b32 exec_lo, exec_lo, s10
	v_dual_mov_b32 v11, 0 :: v_dual_lshrrev_b32 v10, 16, v16
	v_mov_b32_e32 v14, 0
	s_mov_b32 s10, exec_lo
	v_and_b32_e32 v15, 0xff, v10
	s_delay_alu instid0(VALU_DEP_1)
	v_cmpx_ne_u16_e32 0, v15
	s_cbranch_execz .LBB4_1179
; %bb.1170:                             ;   in Loop: Header=BB4_129 Depth=2
	v_bfrev_b32_e32 v14, 1
	s_mov_b32 s25, exec_lo
	v_cmpx_ne_u16_e32 0x80, v15
	s_cbranch_execz .LBB4_1178
; %bb.1171:                             ;   in Loop: Header=BB4_129 Depth=2
	v_and_b32_e32 v14, 0x7c0000, v16
	v_bfe_u32 v15, v16, 16, 2
	s_delay_alu instid0(VALU_DEP_2) | instskip(SKIP_1) | instid1(SALU_CYCLE_1)
	v_cmp_ne_u32_e32 vcc_lo, 0x7c0000, v14
                                        ; implicit-def: $vgpr14
	s_and_saveexec_b32 s26, vcc_lo
	s_xor_b32 s26, exec_lo, s26
	s_cbranch_execz .LBB4_1175
; %bb.1172:                             ;   in Loop: Header=BB4_129 Depth=2
	v_bfe_u32 v14, v16, 18, 5
	s_mov_b32 s27, exec_lo
	s_delay_alu instid0(VALU_DEP_1)
	v_cmpx_eq_u32_e32 0, v14
; %bb.1173:                             ;   in Loop: Header=BB4_129 Depth=2
	v_clz_i32_u32_e32 v14, v15
	s_delay_alu instid0(VALU_DEP_1) | instskip(NEXT) | instid1(VALU_DEP_1)
	v_min_u32_e32 v14, 32, v14
	v_subrev_nc_u32_e32 v15, 29, v14
	v_sub_nc_u32_e32 v14, 30, v14
	s_delay_alu instid0(VALU_DEP_2) | instskip(NEXT) | instid1(VALU_DEP_1)
	v_lshlrev_b64_e32 v[58:59], v15, v[10:11]
	v_and_b32_e32 v15, 3, v58
; %bb.1174:                             ;   in Loop: Header=BB4_129 Depth=2
	s_or_b32 exec_lo, exec_lo, s27
	v_lshlrev_b32_e32 v10, 24, v10
	s_delay_alu instid0(VALU_DEP_1) | instskip(NEXT) | instid1(VALU_DEP_1)
	v_and_b32_e32 v10, 0x80000000, v10
	v_lshl_add_u32 v10, v14, 23, v10
	s_delay_alu instid0(VALU_DEP_1) | instskip(NEXT) | instid1(VALU_DEP_1)
	v_lshl_or_b32 v10, v15, 21, v10
                                        ; implicit-def: $vgpr15
	v_add_nc_u32_e32 v14, 0x38000000, v10
                                        ; implicit-def: $vgpr10
.LBB4_1175:                             ;   in Loop: Header=BB4_129 Depth=2
	s_and_not1_saveexec_b32 s26, s26
; %bb.1176:                             ;   in Loop: Header=BB4_129 Depth=2
	v_bfe_i32 v10, v10, 0, 8
	s_delay_alu instid0(VALU_DEP_1) | instskip(SKIP_2) | instid1(VALU_DEP_2)
	v_cmp_lt_i16_e32 vcc_lo, -1, v10
	v_cndmask_b32_e32 v10, 0xff800000, v126, vcc_lo
	v_cmp_eq_u32_e32 vcc_lo, 0, v15
	v_cndmask_b32_e32 v14, 0x7f800001, v10, vcc_lo
; %bb.1177:                             ;   in Loop: Header=BB4_129 Depth=2
	s_or_b32 exec_lo, exec_lo, s26
.LBB4_1178:                             ;   in Loop: Header=BB4_129 Depth=2
	s_delay_alu instid0(SALU_CYCLE_1)
	s_or_b32 exec_lo, exec_lo, s25
.LBB4_1179:                             ;   in Loop: Header=BB4_129 Depth=2
	s_delay_alu instid0(SALU_CYCLE_1) | instskip(SKIP_2) | instid1(VALU_DEP_1)
	s_or_b32 exec_lo, exec_lo, s10
	v_lshrrev_b32_e32 v10, 16, v12
	s_mov_b32 s10, exec_lo
	v_and_b32_e32 v15, 0xff, v10
	s_delay_alu instid0(VALU_DEP_1)
	v_cmpx_ne_u16_e32 0, v15
	s_cbranch_execz .LBB4_1189
; %bb.1180:                             ;   in Loop: Header=BB4_129 Depth=2
	v_bfrev_b32_e32 v11, 1
	s_mov_b32 s25, exec_lo
	v_cmpx_ne_u16_e32 0x80, v15
	s_cbranch_execz .LBB4_1188
; %bb.1181:                             ;   in Loop: Header=BB4_129 Depth=2
	v_and_b32_e32 v11, 0x7c0000, v12
	v_bfe_u32 v15, v12, 16, 2
	s_delay_alu instid0(VALU_DEP_2) | instskip(SKIP_1) | instid1(SALU_CYCLE_1)
	v_cmp_ne_u32_e32 vcc_lo, 0x7c0000, v11
                                        ; implicit-def: $vgpr11
	s_and_saveexec_b32 s26, vcc_lo
	s_xor_b32 s26, exec_lo, s26
	s_cbranch_execz .LBB4_1185
; %bb.1182:                             ;   in Loop: Header=BB4_129 Depth=2
	v_bfe_u32 v11, v12, 18, 5
	s_mov_b32 s27, exec_lo
	s_delay_alu instid0(VALU_DEP_1)
	v_cmpx_eq_u32_e32 0, v11
; %bb.1183:                             ;   in Loop: Header=BB4_129 Depth=2
	v_clz_i32_u32_e32 v11, v15
	s_delay_alu instid0(VALU_DEP_1) | instskip(NEXT) | instid1(VALU_DEP_1)
	v_min_u32_e32 v11, 32, v11
	v_subrev_nc_u32_e32 v15, 29, v11
	s_delay_alu instid0(VALU_DEP_1) | instskip(NEXT) | instid1(VALU_DEP_1)
	v_lshlrev_b64_e32 v[58:59], v15, v[10:11]
	v_dual_sub_nc_u32 v11, 30, v11 :: v_dual_bitop2_b32 v15, 3, v58 bitop3:0x40
; %bb.1184:                             ;   in Loop: Header=BB4_129 Depth=2
	s_or_b32 exec_lo, exec_lo, s27
	v_lshlrev_b32_e32 v10, 24, v10
	s_delay_alu instid0(VALU_DEP_1) | instskip(NEXT) | instid1(VALU_DEP_1)
	v_and_b32_e32 v10, 0x80000000, v10
	v_lshl_add_u32 v10, v11, 23, v10
	s_delay_alu instid0(VALU_DEP_1) | instskip(NEXT) | instid1(VALU_DEP_1)
	v_lshl_or_b32 v10, v15, 21, v10
                                        ; implicit-def: $vgpr15
	v_add_nc_u32_e32 v11, 0x38000000, v10
                                        ; implicit-def: $vgpr10
.LBB4_1185:                             ;   in Loop: Header=BB4_129 Depth=2
	s_and_not1_saveexec_b32 s26, s26
; %bb.1186:                             ;   in Loop: Header=BB4_129 Depth=2
	v_bfe_i32 v10, v10, 0, 8
	s_delay_alu instid0(VALU_DEP_1) | instskip(SKIP_2) | instid1(VALU_DEP_2)
	v_cmp_lt_i16_e32 vcc_lo, -1, v10
	v_cndmask_b32_e32 v10, 0xff800000, v126, vcc_lo
	v_cmp_eq_u32_e32 vcc_lo, 0, v15
	v_cndmask_b32_e32 v11, 0x7f800001, v10, vcc_lo
; %bb.1187:                             ;   in Loop: Header=BB4_129 Depth=2
	s_or_b32 exec_lo, exec_lo, s26
.LBB4_1188:                             ;   in Loop: Header=BB4_129 Depth=2
	s_delay_alu instid0(SALU_CYCLE_1)
	s_or_b32 exec_lo, exec_lo, s25
.LBB4_1189:                             ;   in Loop: Header=BB4_129 Depth=2
	s_delay_alu instid0(SALU_CYCLE_1) | instskip(NEXT) | instid1(VALU_DEP_1)
	s_or_b32 exec_lo, exec_lo, s10
	v_dual_mul_f32 v10, v14, v11 :: v_dual_mov_b32 v15, v65
                                        ; implicit-def: $vgpr58
	s_mov_b32 s10, exec_lo
	s_delay_alu instid0(VALU_DEP_1) | instskip(SKIP_2) | instid1(VALU_DEP_3)
	v_and_b32_e32 v14, 0x7f800000, v10
	v_and_b32_e32 v64, 0x7fffff, v10
	v_lshrrev_b32_e32 v11, 24, v10
	v_cmpx_ne_u64_e32 0x7f800000, v[14:15]
	s_xor_b32 s25, exec_lo, s10
	s_cbranch_execz .LBB4_1203
; %bb.1190:                             ;   in Loop: Header=BB4_129 Depth=2
	v_and_b32_e32 v14, 0x7fffffff, v10
	v_mov_b32_e32 v15, v65
	v_and_b32_e32 v59, 0x80, v11
                                        ; implicit-def: $vgpr58
	s_mov_b32 s10, exec_lo
	s_delay_alu instid0(VALU_DEP_2)
	v_cmpx_gt_u64_e32 0x47600001, v[14:15]
	s_xor_b32 s26, exec_lo, s10
	s_cbranch_execz .LBB4_1200
; %bb.1191:                             ;   in Loop: Header=BB4_129 Depth=2
	v_mov_b32_e32 v58, 0
	s_mov_b32 s27, exec_lo
	v_cmpx_ne_u32_e32 0, v10
	s_cbranch_execz .LBB4_1199
; %bb.1192:                             ;   in Loop: Header=BB4_129 Depth=2
	v_bfe_u32 v58, v10, 23, 8
	v_or_b32_e32 v14, 0x800000, v64
	s_delay_alu instid0(VALU_DEP_2) | instskip(SKIP_1) | instid1(VALU_DEP_2)
	v_sub_nc_u32_e32 v10, 0x71, v58
	v_cmp_gt_u32_e32 vcc_lo, 0x72, v58
	v_cndmask_b32_e32 v10, 0, v10, vcc_lo
	v_cmp_eq_u32_e32 vcc_lo, 0, v58
	s_delay_alu instid0(VALU_DEP_2) | instskip(SKIP_1) | instid1(VALU_DEP_2)
	v_cndmask_b32_e64 v60, v10, 0x70, vcc_lo
	v_cndmask_b32_e32 v64, v14, v64, vcc_lo
	v_dual_add_nc_u32 v10, 21, v60 :: v_dual_add_nc_u32 v15, 20, v60
	s_delay_alu instid0(VALU_DEP_1) | instskip(NEXT) | instid1(VALU_DEP_2)
	v_lshlrev_b64_e64 v[10:11], v10, -1
	v_lshlrev_b64_e64 v[14:15], v15, 1
	s_delay_alu instid0(VALU_DEP_2) | instskip(NEXT) | instid1(VALU_DEP_3)
	v_bfi_b32 v63, v11, 0, 0
	v_bfi_b32 v62, v10, 0, v64
	v_lshrrev_b64 v[10:11], v60, v[64:65]
	s_delay_alu instid0(VALU_DEP_2) | instskip(NEXT) | instid1(VALU_DEP_2)
	v_cmp_eq_u64_e64 s10, v[62:63], v[14:15]
	v_mov_b64_e32 v[14:15], v[10:11]
	s_and_saveexec_b32 s28, s10
; %bb.1193:                             ;   in Loop: Header=BB4_129 Depth=2
	v_bfe_u32 v64, v10, 21, 1
	s_delay_alu instid0(VALU_DEP_1) | instskip(NEXT) | instid1(VALU_DEP_1)
	v_add_nc_u64_e32 v[14:15], v[10:11], v[64:65]
	v_add_nc_u64_e32 v[14:15], -1, v[14:15]
; %bb.1194:                             ;   in Loop: Header=BB4_129 Depth=2
	s_or_b32 exec_lo, exec_lo, s28
	v_add_nc_u32_e32 v11, 0xffffff81, v58
	v_lshrrev_b32_e32 v15, 23, v10
	s_mov_b32 s10, exec_lo
	s_delay_alu instid0(VALU_DEP_2) | instskip(NEXT) | instid1(VALU_DEP_1)
	v_cndmask_b32_e64 v11, v11, 0xffffff82, vcc_lo
	v_add3_u32 v15, v60, v11, v15
	v_and_b32_e32 v11, 0x1fffff, v14
                                        ; implicit-def: $vgpr14
	s_delay_alu instid0(VALU_DEP_1) | instskip(NEXT) | instid1(VALU_DEP_1)
	v_dual_add_nc_u32 v58, 14, v15 :: v_dual_add_nc_u32 v64, v11, v10
                                        ; implicit-def: $vgpr10_vgpr11
	v_cmpx_ne_u32_e32 0, v58
	s_xor_b32 s10, exec_lo, s10
; %bb.1195:                             ;   in Loop: Header=BB4_129 Depth=2
	s_delay_alu instid0(VALU_DEP_2) | instskip(SKIP_1) | instid1(VALU_DEP_1)
	v_cmp_lt_u64_e32 vcc_lo, 0xffffff, v[64:65]
	v_add_nc_u32_e32 v10, 15, v15
	v_cndmask_b32_e32 v14, v58, v10, vcc_lo
	v_cndmask_b32_e64 v10, 0, 1, vcc_lo
	s_delay_alu instid0(VALU_DEP_1)
	v_lshrrev_b64 v[10:11], v10, v[64:65]
; %bb.1196:                             ;   in Loop: Header=BB4_129 Depth=2
	s_and_not1_saveexec_b32 s10, s10
; %bb.1197:                             ;   in Loop: Header=BB4_129 Depth=2
	v_mov_b64_e32 v[10:11], v[64:65]
	v_bfe_u32 v14, v64, 23, 1
; %bb.1198:                             ;   in Loop: Header=BB4_129 Depth=2
	s_or_b32 exec_lo, exec_lo, s10
	s_delay_alu instid0(VALU_DEP_2) | instskip(NEXT) | instid1(VALU_DEP_2)
	v_lshrrev_b64 v[10:11], 21, v[10:11]
	v_cmp_gt_i32_e32 vcc_lo, 32, v14
	v_min_i32_e32 v15, 31, v14
	v_cmp_eq_u32_e64 s10, 0, v14
	s_delay_alu instid0(VALU_DEP_4) | instskip(NEXT) | instid1(VALU_DEP_3)
	v_cndmask_b32_e32 v11, 0, v11, vcc_lo
	v_dual_cndmask_b32 v10, 3, v10 :: v_dual_lshlrev_b32 v15, 2, v15
	s_delay_alu instid0(VALU_DEP_1) | instskip(NEXT) | instid1(VALU_DEP_2)
	v_and_b32_e32 v15, 0xfc, v15
	v_cmp_eq_u64_e32 vcc_lo, 0, v[10:11]
	s_delay_alu instid0(VALU_DEP_2)
	v_and_or_b32 v10, v10, 3, v15
	s_and_b32 s10, s10, vcc_lo
	s_delay_alu instid0(VALU_DEP_1) | instid1(SALU_CYCLE_1)
	v_cndmask_b32_e64 v10, v10, 0, s10
	s_delay_alu instid0(VALU_DEP_1)
	v_or_b32_e32 v58, v10, v59
.LBB4_1199:                             ;   in Loop: Header=BB4_129 Depth=2
	s_or_b32 exec_lo, exec_lo, s27
                                        ; implicit-def: $vgpr59
.LBB4_1200:                             ;   in Loop: Header=BB4_129 Depth=2
	s_and_not1_saveexec_b32 s10, s26
; %bb.1201:                             ;   in Loop: Header=BB4_129 Depth=2
	v_or_b32_e32 v58, 0x7b, v59
; %bb.1202:                             ;   in Loop: Header=BB4_129 Depth=2
	s_or_b32 exec_lo, exec_lo, s10
                                        ; implicit-def: $vgpr10
                                        ; implicit-def: $vgpr11
.LBB4_1203:                             ;   in Loop: Header=BB4_129 Depth=2
	s_and_not1_saveexec_b32 s10, s25
	s_cbranch_execz .LBB4_1209
; %bb.1204:                             ;   in Loop: Header=BB4_129 Depth=2
	s_mov_b32 s25, exec_lo
                                        ; implicit-def: $vgpr58
	v_cmpx_ne_u64_e32 0, v[64:65]
	s_xor_b32 s25, exec_lo, s25
; %bb.1205:                             ;   in Loop: Header=BB4_129 Depth=2
	v_or_b32_e32 v58, 0x7f, v11
                                        ; implicit-def: $vgpr10
; %bb.1206:                             ;   in Loop: Header=BB4_129 Depth=2
	s_and_not1_saveexec_b32 s25, s25
; %bb.1207:                             ;   in Loop: Header=BB4_129 Depth=2
	v_cmp_lt_i32_e32 vcc_lo, -1, v10
	v_cndmask_b32_e32 v58, 0xfc, v68, vcc_lo
; %bb.1208:                             ;   in Loop: Header=BB4_129 Depth=2
	s_or_b32 exec_lo, exec_lo, s25
.LBB4_1209:                             ;   in Loop: Header=BB4_129 Depth=2
	s_delay_alu instid0(SALU_CYCLE_1)
	s_or_b32 exec_lo, exec_lo, s10
	v_dual_mov_b32 v11, 0 :: v_dual_mov_b32 v14, 0
	s_mov_b32 s10, exec_lo
	v_cmpx_lt_u32_e32 0xffffff, v16
	s_cbranch_execz .LBB4_1219
; %bb.1210:                             ;   in Loop: Header=BB4_129 Depth=2
	v_lshrrev_b32_e32 v10, 24, v16
	v_bfrev_b32_e32 v14, 1
	s_mov_b32 s25, exec_lo
	s_delay_alu instid0(VALU_DEP_2)
	v_cmpx_ne_u32_e32 0x80, v10
	s_cbranch_execz .LBB4_1218
; %bb.1211:                             ;   in Loop: Header=BB4_129 Depth=2
	v_and_b32_e32 v14, 0x7c000000, v16
	v_bfe_u32 v15, v16, 24, 2
	s_delay_alu instid0(VALU_DEP_2) | instskip(SKIP_1) | instid1(SALU_CYCLE_1)
	v_cmp_ne_u32_e32 vcc_lo, 0x7c000000, v14
                                        ; implicit-def: $vgpr14
	s_and_saveexec_b32 s26, vcc_lo
	s_xor_b32 s26, exec_lo, s26
	s_cbranch_execz .LBB4_1215
; %bb.1212:                             ;   in Loop: Header=BB4_129 Depth=2
	v_bfe_u32 v14, v16, 26, 5
	s_mov_b32 s27, exec_lo
	s_delay_alu instid0(VALU_DEP_1)
	v_cmpx_eq_u32_e32 0, v14
; %bb.1213:                             ;   in Loop: Header=BB4_129 Depth=2
	v_clz_i32_u32_e32 v14, v15
	s_delay_alu instid0(VALU_DEP_1) | instskip(NEXT) | instid1(VALU_DEP_1)
	v_min_u32_e32 v14, 32, v14
	v_subrev_nc_u32_e32 v15, 29, v14
	s_delay_alu instid0(VALU_DEP_1) | instskip(NEXT) | instid1(VALU_DEP_1)
	v_lshlrev_b64_e32 v[60:61], v15, v[10:11]
	v_dual_sub_nc_u32 v14, 30, v14 :: v_dual_bitop2_b32 v15, 3, v60 bitop3:0x40
; %bb.1214:                             ;   in Loop: Header=BB4_129 Depth=2
	s_or_b32 exec_lo, exec_lo, s27
	v_and_b32_e32 v10, 0x80000000, v16
	s_delay_alu instid0(VALU_DEP_1) | instskip(NEXT) | instid1(VALU_DEP_1)
	v_lshl_add_u32 v10, v14, 23, v10
	v_lshl_or_b32 v10, v15, 21, v10
                                        ; implicit-def: $vgpr15
	s_delay_alu instid0(VALU_DEP_1)
	v_add_nc_u32_e32 v14, 0x38000000, v10
.LBB4_1215:                             ;   in Loop: Header=BB4_129 Depth=2
	s_and_not1_saveexec_b32 s26, s26
; %bb.1216:                             ;   in Loop: Header=BB4_129 Depth=2
	v_cmp_lt_i32_e32 vcc_lo, -1, v16
	v_cndmask_b32_e32 v10, 0xff800000, v126, vcc_lo
	v_cmp_eq_u32_e32 vcc_lo, 0, v15
	s_delay_alu instid0(VALU_DEP_2)
	v_cndmask_b32_e32 v14, 0x7f800001, v10, vcc_lo
; %bb.1217:                             ;   in Loop: Header=BB4_129 Depth=2
	s_or_b32 exec_lo, exec_lo, s26
.LBB4_1218:                             ;   in Loop: Header=BB4_129 Depth=2
	s_delay_alu instid0(SALU_CYCLE_1)
	s_or_b32 exec_lo, exec_lo, s25
.LBB4_1219:                             ;   in Loop: Header=BB4_129 Depth=2
	s_delay_alu instid0(SALU_CYCLE_1) | instskip(NEXT) | instid1(SALU_CYCLE_1)
	s_or_b32 exec_lo, exec_lo, s10
	s_mov_b32 s10, exec_lo
	v_cmpx_lt_u32_e32 0xffffff, v12
	s_cbranch_execz .LBB4_1229
; %bb.1220:                             ;   in Loop: Header=BB4_129 Depth=2
	v_lshrrev_b32_e32 v10, 24, v12
	v_bfrev_b32_e32 v11, 1
	s_mov_b32 s25, exec_lo
	s_delay_alu instid0(VALU_DEP_2)
	v_cmpx_ne_u32_e32 0x80, v10
	s_cbranch_execz .LBB4_1228
; %bb.1221:                             ;   in Loop: Header=BB4_129 Depth=2
	v_and_b32_e32 v11, 0x7c000000, v12
	v_bfe_u32 v15, v12, 24, 2
	s_delay_alu instid0(VALU_DEP_2) | instskip(SKIP_1) | instid1(SALU_CYCLE_1)
	v_cmp_ne_u32_e32 vcc_lo, 0x7c000000, v11
                                        ; implicit-def: $vgpr11
	s_and_saveexec_b32 s26, vcc_lo
	s_xor_b32 s26, exec_lo, s26
	s_cbranch_execz .LBB4_1225
; %bb.1222:                             ;   in Loop: Header=BB4_129 Depth=2
	v_bfe_u32 v11, v12, 26, 5
	s_mov_b32 s27, exec_lo
	s_delay_alu instid0(VALU_DEP_1)
	v_cmpx_eq_u32_e32 0, v11
; %bb.1223:                             ;   in Loop: Header=BB4_129 Depth=2
	v_clz_i32_u32_e32 v11, v15
	s_delay_alu instid0(VALU_DEP_1) | instskip(NEXT) | instid1(VALU_DEP_1)
	v_min_u32_e32 v15, 32, v11
	v_subrev_nc_u32_e32 v11, 29, v15
	s_delay_alu instid0(VALU_DEP_1) | instskip(NEXT) | instid1(VALU_DEP_1)
	v_lshlrev_b64_e32 v[10:11], v11, v[10:11]
	v_dual_sub_nc_u32 v11, 30, v15 :: v_dual_bitop2_b32 v15, 3, v10 bitop3:0x40
; %bb.1224:                             ;   in Loop: Header=BB4_129 Depth=2
	s_or_b32 exec_lo, exec_lo, s27
	v_and_b32_e32 v10, 0x80000000, v12
	s_delay_alu instid0(VALU_DEP_1) | instskip(NEXT) | instid1(VALU_DEP_1)
	v_lshl_add_u32 v10, v11, 23, v10
	v_lshl_or_b32 v10, v15, 21, v10
                                        ; implicit-def: $vgpr15
	s_delay_alu instid0(VALU_DEP_1)
	v_add_nc_u32_e32 v11, 0x38000000, v10
.LBB4_1225:                             ;   in Loop: Header=BB4_129 Depth=2
	s_and_not1_saveexec_b32 s26, s26
; %bb.1226:                             ;   in Loop: Header=BB4_129 Depth=2
	v_cmp_lt_i32_e32 vcc_lo, -1, v12
	v_cndmask_b32_e32 v10, 0xff800000, v126, vcc_lo
	v_cmp_eq_u32_e32 vcc_lo, 0, v15
	s_delay_alu instid0(VALU_DEP_2)
	v_cndmask_b32_e32 v11, 0x7f800001, v10, vcc_lo
; %bb.1227:                             ;   in Loop: Header=BB4_129 Depth=2
	s_or_b32 exec_lo, exec_lo, s26
.LBB4_1228:                             ;   in Loop: Header=BB4_129 Depth=2
	s_delay_alu instid0(SALU_CYCLE_1)
	s_or_b32 exec_lo, exec_lo, s25
.LBB4_1229:                             ;   in Loop: Header=BB4_129 Depth=2
	s_delay_alu instid0(SALU_CYCLE_1) | instskip(NEXT) | instid1(VALU_DEP_1)
	s_or_b32 exec_lo, exec_lo, s10
	v_dual_mul_f32 v10, v14, v11 :: v_dual_mov_b32 v15, v65
                                        ; implicit-def: $vgpr59
	s_mov_b32 s10, exec_lo
	s_delay_alu instid0(VALU_DEP_1) | instskip(SKIP_2) | instid1(VALU_DEP_3)
	v_and_b32_e32 v14, 0x7f800000, v10
	v_and_b32_e32 v64, 0x7fffff, v10
	v_lshrrev_b32_e32 v11, 24, v10
	v_cmpx_ne_u64_e32 0x7f800000, v[14:15]
	s_xor_b32 s25, exec_lo, s10
	s_cbranch_execz .LBB4_1243
; %bb.1230:                             ;   in Loop: Header=BB4_129 Depth=2
	v_and_b32_e32 v14, 0x7fffffff, v10
	v_mov_b32_e32 v15, v65
	v_and_b32_e32 v60, 0x80, v11
                                        ; implicit-def: $vgpr59
	s_mov_b32 s10, exec_lo
	s_delay_alu instid0(VALU_DEP_2)
	v_cmpx_gt_u64_e32 0x47600001, v[14:15]
	s_xor_b32 s26, exec_lo, s10
	s_cbranch_execz .LBB4_1240
; %bb.1231:                             ;   in Loop: Header=BB4_129 Depth=2
	v_mov_b32_e32 v59, 0
	s_mov_b32 s27, exec_lo
	v_cmpx_ne_u32_e32 0, v10
	s_cbranch_execz .LBB4_1239
; %bb.1232:                             ;   in Loop: Header=BB4_129 Depth=2
	v_bfe_u32 v59, v10, 23, 8
	v_or_b32_e32 v14, 0x800000, v64
	s_delay_alu instid0(VALU_DEP_2) | instskip(SKIP_1) | instid1(VALU_DEP_2)
	v_sub_nc_u32_e32 v10, 0x71, v59
	v_cmp_gt_u32_e32 vcc_lo, 0x72, v59
	v_cndmask_b32_e32 v10, 0, v10, vcc_lo
	v_cmp_eq_u32_e32 vcc_lo, 0, v59
	s_delay_alu instid0(VALU_DEP_2) | instskip(NEXT) | instid1(VALU_DEP_1)
	v_cndmask_b32_e64 v61, v10, 0x70, vcc_lo
	v_dual_cndmask_b32 v64, v14, v64, vcc_lo :: v_dual_add_nc_u32 v10, 21, v61
	v_add_nc_u32_e32 v15, 20, v61
	s_delay_alu instid0(VALU_DEP_2) | instskip(NEXT) | instid1(VALU_DEP_2)
	v_lshlrev_b64_e64 v[10:11], v10, -1
	v_lshlrev_b64_e64 v[14:15], v15, 1
	s_delay_alu instid0(VALU_DEP_2) | instskip(NEXT) | instid1(VALU_DEP_3)
	v_bfi_b32 v63, v11, 0, 0
	v_bfi_b32 v62, v10, 0, v64
	v_lshrrev_b64 v[10:11], v61, v[64:65]
	s_delay_alu instid0(VALU_DEP_2) | instskip(NEXT) | instid1(VALU_DEP_2)
	v_cmp_eq_u64_e64 s10, v[62:63], v[14:15]
	v_mov_b64_e32 v[14:15], v[10:11]
	s_and_saveexec_b32 s28, s10
; %bb.1233:                             ;   in Loop: Header=BB4_129 Depth=2
	v_bfe_u32 v64, v10, 21, 1
	s_delay_alu instid0(VALU_DEP_1) | instskip(NEXT) | instid1(VALU_DEP_1)
	v_add_nc_u64_e32 v[14:15], v[10:11], v[64:65]
	v_add_nc_u64_e32 v[14:15], -1, v[14:15]
; %bb.1234:                             ;   in Loop: Header=BB4_129 Depth=2
	s_or_b32 exec_lo, exec_lo, s28
	v_add_nc_u32_e32 v11, 0xffffff81, v59
	v_lshrrev_b32_e32 v15, 23, v10
	s_mov_b32 s10, exec_lo
	s_delay_alu instid0(VALU_DEP_2) | instskip(NEXT) | instid1(VALU_DEP_1)
	v_cndmask_b32_e64 v11, v11, 0xffffff82, vcc_lo
	v_add3_u32 v15, v61, v11, v15
	v_and_b32_e32 v11, 0x1fffff, v14
                                        ; implicit-def: $vgpr14
	s_delay_alu instid0(VALU_DEP_1) | instskip(NEXT) | instid1(VALU_DEP_1)
	v_dual_add_nc_u32 v59, 14, v15 :: v_dual_add_nc_u32 v64, v11, v10
                                        ; implicit-def: $vgpr10_vgpr11
	v_cmpx_ne_u32_e32 0, v59
	s_xor_b32 s10, exec_lo, s10
; %bb.1235:                             ;   in Loop: Header=BB4_129 Depth=2
	s_delay_alu instid0(VALU_DEP_2) | instskip(SKIP_1) | instid1(VALU_DEP_1)
	v_cmp_lt_u64_e32 vcc_lo, 0xffffff, v[64:65]
	v_add_nc_u32_e32 v10, 15, v15
	v_cndmask_b32_e32 v14, v59, v10, vcc_lo
	v_cndmask_b32_e64 v10, 0, 1, vcc_lo
	s_delay_alu instid0(VALU_DEP_1)
	v_lshrrev_b64 v[10:11], v10, v[64:65]
; %bb.1236:                             ;   in Loop: Header=BB4_129 Depth=2
	s_and_not1_saveexec_b32 s10, s10
; %bb.1237:                             ;   in Loop: Header=BB4_129 Depth=2
	v_mov_b64_e32 v[10:11], v[64:65]
	v_bfe_u32 v14, v64, 23, 1
; %bb.1238:                             ;   in Loop: Header=BB4_129 Depth=2
	s_or_b32 exec_lo, exec_lo, s10
	s_delay_alu instid0(VALU_DEP_2) | instskip(NEXT) | instid1(VALU_DEP_2)
	v_lshrrev_b64 v[10:11], 21, v[10:11]
	v_cmp_gt_i32_e32 vcc_lo, 32, v14
	v_min_i32_e32 v15, 31, v14
	v_cmp_eq_u32_e64 s10, 0, v14
	s_delay_alu instid0(VALU_DEP_4) | instskip(NEXT) | instid1(VALU_DEP_3)
	v_cndmask_b32_e32 v11, 0, v11, vcc_lo
	v_dual_cndmask_b32 v10, 3, v10 :: v_dual_lshlrev_b32 v15, 2, v15
	s_delay_alu instid0(VALU_DEP_1) | instskip(NEXT) | instid1(VALU_DEP_2)
	v_and_b32_e32 v15, 0xfc, v15
	v_cmp_eq_u64_e32 vcc_lo, 0, v[10:11]
	s_delay_alu instid0(VALU_DEP_2)
	v_and_or_b32 v10, v10, 3, v15
	s_and_b32 s10, s10, vcc_lo
	s_delay_alu instid0(VALU_DEP_1) | instid1(SALU_CYCLE_1)
	v_cndmask_b32_e64 v10, v10, 0, s10
	s_delay_alu instid0(VALU_DEP_1)
	v_or_b32_e32 v59, v10, v60
.LBB4_1239:                             ;   in Loop: Header=BB4_129 Depth=2
	s_or_b32 exec_lo, exec_lo, s27
                                        ; implicit-def: $vgpr60
.LBB4_1240:                             ;   in Loop: Header=BB4_129 Depth=2
	s_and_not1_saveexec_b32 s10, s26
; %bb.1241:                             ;   in Loop: Header=BB4_129 Depth=2
	v_or_b32_e32 v59, 0x7b, v60
; %bb.1242:                             ;   in Loop: Header=BB4_129 Depth=2
	s_or_b32 exec_lo, exec_lo, s10
                                        ; implicit-def: $vgpr10
                                        ; implicit-def: $vgpr11
.LBB4_1243:                             ;   in Loop: Header=BB4_129 Depth=2
	s_and_not1_saveexec_b32 s10, s25
	s_cbranch_execz .LBB4_1249
; %bb.1244:                             ;   in Loop: Header=BB4_129 Depth=2
	s_mov_b32 s25, exec_lo
                                        ; implicit-def: $vgpr59
	v_cmpx_ne_u64_e32 0, v[64:65]
	s_xor_b32 s25, exec_lo, s25
; %bb.1245:                             ;   in Loop: Header=BB4_129 Depth=2
	v_or_b32_e32 v59, 0x7f, v11
                                        ; implicit-def: $vgpr10
; %bb.1246:                             ;   in Loop: Header=BB4_129 Depth=2
	s_and_not1_saveexec_b32 s25, s25
; %bb.1247:                             ;   in Loop: Header=BB4_129 Depth=2
	v_cmp_lt_i32_e32 vcc_lo, -1, v10
	v_cndmask_b32_e32 v59, 0xfc, v68, vcc_lo
; %bb.1248:                             ;   in Loop: Header=BB4_129 Depth=2
	s_or_b32 exec_lo, exec_lo, s25
.LBB4_1249:                             ;   in Loop: Header=BB4_129 Depth=2
	s_delay_alu instid0(SALU_CYCLE_1) | instskip(SKIP_4) | instid1(VALU_DEP_3)
	s_or_b32 exec_lo, exec_lo, s10
	v_and_b32_e32 v14, 0xff, v17
	v_dual_mov_b32 v64, v17 :: v_dual_mov_b32 v11, 0
	v_mov_b32_e32 v10, 0
	s_mov_b32 s10, exec_lo
	v_cmpx_ne_u16_e32 0, v14
	s_cbranch_execz .LBB4_1259
; %bb.1250:                             ;   in Loop: Header=BB4_129 Depth=2
	v_bfrev_b32_e32 v10, 1
	s_mov_b32 s25, exec_lo
	v_cmpx_ne_u16_e32 0x80, v14
	s_cbranch_execz .LBB4_1258
; %bb.1251:                             ;   in Loop: Header=BB4_129 Depth=2
	v_and_b32_e32 v10, 0x7c, v17
	v_and_b32_e32 v14, 3, v17
	s_delay_alu instid0(VALU_DEP_2) | instskip(SKIP_1) | instid1(SALU_CYCLE_1)
	v_cmp_ne_u32_e32 vcc_lo, 0x7c, v10
                                        ; implicit-def: $vgpr10
	s_and_saveexec_b32 s26, vcc_lo
	s_xor_b32 s26, exec_lo, s26
	s_cbranch_execz .LBB4_1255
; %bb.1252:                             ;   in Loop: Header=BB4_129 Depth=2
	v_bfe_u32 v10, v17, 2, 5
	s_mov_b32 s27, exec_lo
	s_delay_alu instid0(VALU_DEP_1)
	v_cmpx_eq_u32_e32 0, v10
; %bb.1253:                             ;   in Loop: Header=BB4_129 Depth=2
	v_clz_i32_u32_e32 v10, v14
	s_delay_alu instid0(VALU_DEP_1) | instskip(NEXT) | instid1(VALU_DEP_1)
	v_min_u32_e32 v10, 32, v10
	v_subrev_nc_u32_e32 v14, 29, v10
	v_sub_nc_u32_e32 v10, 30, v10
	s_delay_alu instid0(VALU_DEP_2) | instskip(NEXT) | instid1(VALU_DEP_1)
	v_lshlrev_b64_e32 v[14:15], v14, v[64:65]
	v_and_b32_e32 v14, 3, v14
; %bb.1254:                             ;   in Loop: Header=BB4_129 Depth=2
	s_or_b32 exec_lo, exec_lo, s27
	v_lshlrev_b32_e32 v15, 24, v17
	s_delay_alu instid0(VALU_DEP_1) | instskip(NEXT) | instid1(VALU_DEP_1)
	v_and_b32_e32 v15, 0x80000000, v15
	v_lshl_add_u32 v10, v10, 23, v15
	s_delay_alu instid0(VALU_DEP_1) | instskip(NEXT) | instid1(VALU_DEP_1)
	v_lshl_or_b32 v10, v14, 21, v10
                                        ; implicit-def: $vgpr14
	v_add_nc_u32_e32 v10, 0x38000000, v10
.LBB4_1255:                             ;   in Loop: Header=BB4_129 Depth=2
	s_and_not1_saveexec_b32 s26, s26
; %bb.1256:                             ;   in Loop: Header=BB4_129 Depth=2
	v_bfe_i32 v10, v17, 0, 8
	s_delay_alu instid0(VALU_DEP_1) | instskip(SKIP_2) | instid1(VALU_DEP_2)
	v_cmp_lt_i16_e32 vcc_lo, -1, v10
	v_cndmask_b32_e32 v10, 0xff800000, v126, vcc_lo
	v_cmp_eq_u32_e32 vcc_lo, 0, v14
	v_cndmask_b32_e32 v10, 0x7f800001, v10, vcc_lo
; %bb.1257:                             ;   in Loop: Header=BB4_129 Depth=2
	s_or_b32 exec_lo, exec_lo, s26
.LBB4_1258:                             ;   in Loop: Header=BB4_129 Depth=2
	s_delay_alu instid0(SALU_CYCLE_1)
	s_or_b32 exec_lo, exec_lo, s25
.LBB4_1259:                             ;   in Loop: Header=BB4_129 Depth=2
	s_delay_alu instid0(SALU_CYCLE_1) | instskip(SKIP_2) | instid1(VALU_DEP_1)
	s_or_b32 exec_lo, exec_lo, s10
	v_and_b32_e32 v14, 0xff, v13
	s_mov_b32 s10, exec_lo
	v_cmpx_ne_u16_e32 0, v14
	s_cbranch_execz .LBB4_1269
; %bb.1260:                             ;   in Loop: Header=BB4_129 Depth=2
	v_bfrev_b32_e32 v11, 1
	s_mov_b32 s25, exec_lo
	v_cmpx_ne_u16_e32 0x80, v14
	s_cbranch_execz .LBB4_1268
; %bb.1261:                             ;   in Loop: Header=BB4_129 Depth=2
	v_and_b32_e32 v11, 0x7c, v13
	v_and_b32_e32 v14, 3, v13
	s_delay_alu instid0(VALU_DEP_2) | instskip(SKIP_1) | instid1(SALU_CYCLE_1)
	v_cmp_ne_u32_e32 vcc_lo, 0x7c, v11
                                        ; implicit-def: $vgpr11
	s_and_saveexec_b32 s26, vcc_lo
	s_xor_b32 s26, exec_lo, s26
	s_cbranch_execz .LBB4_1265
; %bb.1262:                             ;   in Loop: Header=BB4_129 Depth=2
	v_bfe_u32 v11, v13, 2, 5
	s_mov_b32 s27, exec_lo
	s_delay_alu instid0(VALU_DEP_1)
	v_cmpx_eq_u32_e32 0, v11
; %bb.1263:                             ;   in Loop: Header=BB4_129 Depth=2
	v_clz_i32_u32_e32 v11, v14
	v_dual_mov_b32 v14, v13 :: v_dual_mov_b32 v15, v65
	s_delay_alu instid0(VALU_DEP_2) | instskip(NEXT) | instid1(VALU_DEP_1)
	v_min_u32_e32 v11, 32, v11
	v_subrev_nc_u32_e32 v82, 29, v11
	s_delay_alu instid0(VALU_DEP_1) | instskip(NEXT) | instid1(VALU_DEP_1)
	v_lshlrev_b64_e32 v[14:15], v82, v[14:15]
	v_dual_sub_nc_u32 v11, 30, v11 :: v_dual_bitop2_b32 v14, 3, v14 bitop3:0x40
; %bb.1264:                             ;   in Loop: Header=BB4_129 Depth=2
	s_or_b32 exec_lo, exec_lo, s27
	v_lshlrev_b32_e32 v15, 24, v13
	s_delay_alu instid0(VALU_DEP_1) | instskip(NEXT) | instid1(VALU_DEP_1)
	v_and_b32_e32 v15, 0x80000000, v15
	v_lshl_add_u32 v11, v11, 23, v15
	s_delay_alu instid0(VALU_DEP_1) | instskip(NEXT) | instid1(VALU_DEP_1)
	v_lshl_or_b32 v11, v14, 21, v11
                                        ; implicit-def: $vgpr14
	v_add_nc_u32_e32 v11, 0x38000000, v11
.LBB4_1265:                             ;   in Loop: Header=BB4_129 Depth=2
	s_and_not1_saveexec_b32 s26, s26
; %bb.1266:                             ;   in Loop: Header=BB4_129 Depth=2
	v_bfe_i32 v11, v13, 0, 8
	s_delay_alu instid0(VALU_DEP_1) | instskip(SKIP_2) | instid1(VALU_DEP_2)
	v_cmp_lt_i16_e32 vcc_lo, -1, v11
	v_cndmask_b32_e32 v11, 0xff800000, v126, vcc_lo
	v_cmp_eq_u32_e32 vcc_lo, 0, v14
	v_cndmask_b32_e32 v11, 0x7f800001, v11, vcc_lo
; %bb.1267:                             ;   in Loop: Header=BB4_129 Depth=2
	s_or_b32 exec_lo, exec_lo, s26
.LBB4_1268:                             ;   in Loop: Header=BB4_129 Depth=2
	s_delay_alu instid0(SALU_CYCLE_1)
	s_or_b32 exec_lo, exec_lo, s25
.LBB4_1269:                             ;   in Loop: Header=BB4_129 Depth=2
	s_delay_alu instid0(SALU_CYCLE_1) | instskip(NEXT) | instid1(VALU_DEP_1)
	s_or_b32 exec_lo, exec_lo, s10
	v_dual_mul_f32 v14, v10, v11 :: v_dual_mov_b32 v61, v65
	s_delay_alu instid0(VALU_DEP_1) | instskip(SKIP_2) | instid1(VALU_DEP_2)
	v_dual_mov_b32 v11, v65 :: v_dual_lshrrev_b32 v15, 24, v14
	v_and_b32_e32 v60, 0x7f800000, v14
	v_and_b32_e32 v10, 0x7fffff, v14
	v_cmp_ne_u64_e32 vcc_lo, 0x7f800000, v[60:61]
                                        ; implicit-def: $vgpr60
	s_and_saveexec_b32 s10, vcc_lo
	s_delay_alu instid0(SALU_CYCLE_1)
	s_xor_b32 s25, exec_lo, s10
	s_cbranch_execz .LBB4_1283
; %bb.1270:                             ;   in Loop: Header=BB4_129 Depth=2
	v_and_b32_e32 v60, 0x7fffffff, v14
	v_mov_b32_e32 v61, v65
	s_delay_alu instid0(VALU_DEP_1) | instskip(SKIP_2) | instid1(SALU_CYCLE_1)
	v_cmp_gt_u64_e32 vcc_lo, 0x47600001, v[60:61]
	v_and_b32_e32 v61, 0x80, v15
                                        ; implicit-def: $vgpr60
	s_and_saveexec_b32 s10, vcc_lo
	s_xor_b32 s26, exec_lo, s10
	s_cbranch_execz .LBB4_1280
; %bb.1271:                             ;   in Loop: Header=BB4_129 Depth=2
	v_mov_b32_e32 v60, 0
	s_mov_b32 s27, exec_lo
	v_cmpx_ne_u32_e32 0, v14
	s_cbranch_execz .LBB4_1279
; %bb.1272:                             ;   in Loop: Header=BB4_129 Depth=2
	v_bfe_u32 v60, v14, 23, 8
	v_or_b32_e32 v82, 0x800000, v10
	s_delay_alu instid0(VALU_DEP_2) | instskip(SKIP_1) | instid1(VALU_DEP_2)
	v_sub_nc_u32_e32 v14, 0x71, v60
	v_cmp_gt_u32_e32 vcc_lo, 0x72, v60
	v_cndmask_b32_e32 v14, 0, v14, vcc_lo
	v_cmp_eq_u32_e32 vcc_lo, 0, v60
	s_delay_alu instid0(VALU_DEP_2) | instskip(SKIP_1) | instid1(VALU_DEP_2)
	v_cndmask_b32_e64 v62, v14, 0x70, vcc_lo
	v_cndmask_b32_e32 v10, v82, v10, vcc_lo
	v_dual_add_nc_u32 v14, 21, v62 :: v_dual_add_nc_u32 v83, 20, v62
	s_delay_alu instid0(VALU_DEP_1) | instskip(NEXT) | instid1(VALU_DEP_2)
	v_lshlrev_b64_e64 v[14:15], v14, -1
	v_lshlrev_b64_e64 v[72:73], v83, 1
	s_delay_alu instid0(VALU_DEP_2) | instskip(SKIP_1) | instid1(VALU_DEP_4)
	v_bfi_b32 v14, v14, 0, v10
	v_lshrrev_b64 v[10:11], v62, v[10:11]
	v_bfi_b32 v15, v15, 0, 0
	s_delay_alu instid0(VALU_DEP_1) | instskip(NEXT) | instid1(VALU_DEP_3)
	v_cmp_eq_u64_e64 s10, v[14:15], v[72:73]
	v_mov_b64_e32 v[14:15], v[10:11]
	s_and_saveexec_b32 s28, s10
; %bb.1273:                             ;   in Loop: Header=BB4_129 Depth=2
	v_bfe_u32 v14, v10, 21, 1
	v_mov_b32_e32 v15, v65
	s_delay_alu instid0(VALU_DEP_1) | instskip(NEXT) | instid1(VALU_DEP_1)
	v_add_nc_u64_e32 v[14:15], v[10:11], v[14:15]
	v_add_nc_u64_e32 v[14:15], -1, v[14:15]
; %bb.1274:                             ;   in Loop: Header=BB4_129 Depth=2
	s_or_b32 exec_lo, exec_lo, s28
	v_add_nc_u32_e32 v11, 0xffffff81, v60
	v_lshrrev_b32_e32 v15, 23, v10
	s_mov_b32 s10, exec_lo
	s_delay_alu instid0(VALU_DEP_2) | instskip(NEXT) | instid1(VALU_DEP_1)
	v_cndmask_b32_e64 v11, v11, 0xffffff82, vcc_lo
	v_add3_u32 v15, v62, v11, v15
	v_and_b32_e32 v11, 0x1fffff, v14
                                        ; implicit-def: $vgpr14
	s_delay_alu instid0(VALU_DEP_1) | instskip(SKIP_1) | instid1(VALU_DEP_2)
	v_dual_add_nc_u32 v60, 14, v15 :: v_dual_add_nc_u32 v10, v11, v10
	v_mov_b32_e32 v11, v65
	v_cmpx_ne_u32_e32 0, v60
	s_xor_b32 s10, exec_lo, s10
; %bb.1275:                             ;   in Loop: Header=BB4_129 Depth=2
	s_delay_alu instid0(VALU_DEP_2) | instskip(SKIP_2) | instid1(VALU_DEP_2)
	v_cmp_lt_u64_e32 vcc_lo, 0xffffff, v[10:11]
	v_add_nc_u32_e32 v14, 15, v15
	v_cndmask_b32_e64 v15, 0, 1, vcc_lo
	v_cndmask_b32_e32 v14, v60, v14, vcc_lo
	s_delay_alu instid0(VALU_DEP_2)
	v_lshrrev_b64 v[10:11], v15, v[10:11]
; %bb.1276:                             ;   in Loop: Header=BB4_129 Depth=2
	s_and_not1_saveexec_b32 s10, s10
; %bb.1277:                             ;   in Loop: Header=BB4_129 Depth=2
	s_delay_alu instid0(VALU_DEP_1)
	v_bfe_u32 v14, v10, 23, 1
; %bb.1278:                             ;   in Loop: Header=BB4_129 Depth=2
	s_or_b32 exec_lo, exec_lo, s10
	s_delay_alu instid0(VALU_DEP_2) | instskip(NEXT) | instid1(VALU_DEP_2)
	v_lshrrev_b64 v[10:11], 21, v[10:11]
	v_cmp_gt_i32_e32 vcc_lo, 32, v14
	v_min_i32_e32 v15, 31, v14
	v_cmp_eq_u32_e64 s10, 0, v14
	s_delay_alu instid0(VALU_DEP_4) | instskip(NEXT) | instid1(VALU_DEP_3)
	v_cndmask_b32_e32 v11, 0, v11, vcc_lo
	v_dual_cndmask_b32 v10, 3, v10 :: v_dual_lshlrev_b32 v15, 2, v15
	s_delay_alu instid0(VALU_DEP_1) | instskip(NEXT) | instid1(VALU_DEP_2)
	v_and_b32_e32 v15, 0xfc, v15
	v_cmp_eq_u64_e32 vcc_lo, 0, v[10:11]
	s_delay_alu instid0(VALU_DEP_2)
	v_and_or_b32 v10, v10, 3, v15
	s_and_b32 s10, s10, vcc_lo
	s_delay_alu instid0(VALU_DEP_1) | instid1(SALU_CYCLE_1)
	v_cndmask_b32_e64 v10, v10, 0, s10
	s_delay_alu instid0(VALU_DEP_1)
	v_or_b32_e32 v60, v10, v61
.LBB4_1279:                             ;   in Loop: Header=BB4_129 Depth=2
	s_or_b32 exec_lo, exec_lo, s27
                                        ; implicit-def: $vgpr61
.LBB4_1280:                             ;   in Loop: Header=BB4_129 Depth=2
	s_and_not1_saveexec_b32 s10, s26
; %bb.1281:                             ;   in Loop: Header=BB4_129 Depth=2
	v_or_b32_e32 v60, 0x7b, v61
; %bb.1282:                             ;   in Loop: Header=BB4_129 Depth=2
	s_or_b32 exec_lo, exec_lo, s10
                                        ; implicit-def: $vgpr14
                                        ; implicit-def: $vgpr10_vgpr11
                                        ; implicit-def: $vgpr15
.LBB4_1283:                             ;   in Loop: Header=BB4_129 Depth=2
	s_and_not1_saveexec_b32 s10, s25
	s_cbranch_execz .LBB4_1289
; %bb.1284:                             ;   in Loop: Header=BB4_129 Depth=2
	s_mov_b32 s25, exec_lo
                                        ; implicit-def: $vgpr60
	v_cmpx_ne_u64_e32 0, v[10:11]
	s_xor_b32 s25, exec_lo, s25
; %bb.1285:                             ;   in Loop: Header=BB4_129 Depth=2
	v_or_b32_e32 v60, 0x7f, v15
                                        ; implicit-def: $vgpr14
; %bb.1286:                             ;   in Loop: Header=BB4_129 Depth=2
	s_and_not1_saveexec_b32 s25, s25
; %bb.1287:                             ;   in Loop: Header=BB4_129 Depth=2
	v_cmp_lt_i32_e32 vcc_lo, -1, v14
	v_cndmask_b32_e32 v60, 0xfc, v68, vcc_lo
; %bb.1288:                             ;   in Loop: Header=BB4_129 Depth=2
	s_or_b32 exec_lo, exec_lo, s25
.LBB4_1289:                             ;   in Loop: Header=BB4_129 Depth=2
	s_delay_alu instid0(SALU_CYCLE_1) | instskip(SKIP_3) | instid1(VALU_DEP_2)
	s_or_b32 exec_lo, exec_lo, s10
	v_lshrrev_b16 v10, 8, v64
	v_dual_mov_b32 v14, 0 :: v_dual_mov_b32 v11, 0
	s_mov_b32 s10, exec_lo
	v_cmpx_ne_u16_e32 0, v10
	s_cbranch_execz .LBB4_1299
; %bb.1290:                             ;   in Loop: Header=BB4_129 Depth=2
	v_bfrev_b32_e32 v11, 1
	s_mov_b32 s25, exec_lo
	v_cmpx_ne_u16_e32 0x80, v10
	s_cbranch_execz .LBB4_1298
; %bb.1291:                             ;   in Loop: Header=BB4_129 Depth=2
	v_and_b32_e32 v61, 0xffff, v10
	s_delay_alu instid0(VALU_DEP_1) | instskip(SKIP_1) | instid1(VALU_DEP_2)
	v_and_b32_e32 v11, 0x7c, v61
	v_and_b32_e32 v15, 3, v61
	v_cmp_ne_u32_e32 vcc_lo, 0x7c, v11
                                        ; implicit-def: $vgpr11
	s_and_saveexec_b32 s26, vcc_lo
	s_delay_alu instid0(SALU_CYCLE_1)
	s_xor_b32 s26, exec_lo, s26
	s_cbranch_execz .LBB4_1295
; %bb.1292:                             ;   in Loop: Header=BB4_129 Depth=2
	v_bfe_u32 v11, v61, 2, 5
	s_mov_b32 s27, exec_lo
	s_delay_alu instid0(VALU_DEP_1)
	v_cmpx_eq_u32_e32 0, v11
; %bb.1293:                             ;   in Loop: Header=BB4_129 Depth=2
	v_clz_i32_u32_e32 v11, v15
	s_delay_alu instid0(VALU_DEP_1) | instskip(SKIP_1) | instid1(VALU_DEP_2)
	v_min_u32_e32 v15, 32, v11
	v_mov_b32_e32 v11, v65
	v_subrev_nc_u32_e32 v82, 29, v15
	s_delay_alu instid0(VALU_DEP_1) | instskip(NEXT) | instid1(VALU_DEP_1)
	v_lshlrev_b64_e32 v[10:11], v82, v[10:11]
	v_dual_sub_nc_u32 v11, 30, v15 :: v_dual_bitop2_b32 v15, 3, v10 bitop3:0x40
; %bb.1294:                             ;   in Loop: Header=BB4_129 Depth=2
	s_or_b32 exec_lo, exec_lo, s27
	v_lshlrev_b32_e32 v10, 16, v64
	s_delay_alu instid0(VALU_DEP_1) | instskip(NEXT) | instid1(VALU_DEP_1)
	v_and_b32_e32 v10, 0x80000000, v10
	v_lshl_add_u32 v10, v11, 23, v10
	s_delay_alu instid0(VALU_DEP_1) | instskip(NEXT) | instid1(VALU_DEP_1)
	v_lshl_or_b32 v10, v15, 21, v10
                                        ; implicit-def: $vgpr15
	v_add_nc_u32_e32 v11, 0x38000000, v10
.LBB4_1295:                             ;   in Loop: Header=BB4_129 Depth=2
	s_and_not1_saveexec_b32 s26, s26
; %bb.1296:                             ;   in Loop: Header=BB4_129 Depth=2
	v_cmp_lt_i16_e32 vcc_lo, -1, v64
	v_cndmask_b32_e32 v10, 0xff800000, v126, vcc_lo
	v_cmp_eq_u32_e32 vcc_lo, 0, v15
	s_delay_alu instid0(VALU_DEP_2)
	v_cndmask_b32_e32 v11, 0x7f800001, v10, vcc_lo
; %bb.1297:                             ;   in Loop: Header=BB4_129 Depth=2
	s_or_b32 exec_lo, exec_lo, s26
.LBB4_1298:                             ;   in Loop: Header=BB4_129 Depth=2
	s_delay_alu instid0(SALU_CYCLE_1)
	s_or_b32 exec_lo, exec_lo, s25
.LBB4_1299:                             ;   in Loop: Header=BB4_129 Depth=2
	s_delay_alu instid0(SALU_CYCLE_1) | instskip(SKIP_2) | instid1(VALU_DEP_1)
	s_or_b32 exec_lo, exec_lo, s10
	v_lshrrev_b16 v64, 8, v13
	s_mov_b32 s10, exec_lo
	v_cmpx_ne_u16_e32 0, v64
	s_cbranch_execz .LBB4_1309
; %bb.1300:                             ;   in Loop: Header=BB4_129 Depth=2
	v_bfrev_b32_e32 v14, 1
	s_mov_b32 s25, exec_lo
	v_cmpx_ne_u16_e32 0x80, v64
	s_cbranch_execz .LBB4_1308
; %bb.1301:                             ;   in Loop: Header=BB4_129 Depth=2
	v_and_b32_e32 v15, 0xffff, v64
	s_delay_alu instid0(VALU_DEP_1) | instskip(SKIP_1) | instid1(VALU_DEP_2)
	v_and_b32_e32 v14, 0x7c, v15
	v_and_b32_e32 v10, 3, v15
	v_cmp_ne_u32_e32 vcc_lo, 0x7c, v14
                                        ; implicit-def: $vgpr14
	s_and_saveexec_b32 s26, vcc_lo
	s_delay_alu instid0(SALU_CYCLE_1)
	s_xor_b32 s26, exec_lo, s26
	s_cbranch_execz .LBB4_1305
; %bb.1302:                             ;   in Loop: Header=BB4_129 Depth=2
	v_bfe_u32 v14, v15, 2, 5
	s_mov_b32 s27, exec_lo
	s_delay_alu instid0(VALU_DEP_1)
	v_cmpx_eq_u32_e32 0, v14
; %bb.1303:                             ;   in Loop: Header=BB4_129 Depth=2
	v_clz_i32_u32_e32 v10, v10
	s_delay_alu instid0(VALU_DEP_1) | instskip(NEXT) | instid1(VALU_DEP_1)
	v_min_u32_e32 v10, 32, v10
	v_subrev_nc_u32_e32 v14, 29, v10
	s_delay_alu instid0(VALU_DEP_1) | instskip(SKIP_1) | instid1(VALU_DEP_2)
	v_lshlrev_b64_e32 v[62:63], v14, v[64:65]
	v_sub_nc_u32_e32 v14, 30, v10
	v_and_b32_e32 v10, 3, v62
; %bb.1304:                             ;   in Loop: Header=BB4_129 Depth=2
	s_or_b32 exec_lo, exec_lo, s27
	v_lshlrev_b32_e32 v15, 16, v13
	s_delay_alu instid0(VALU_DEP_1) | instskip(NEXT) | instid1(VALU_DEP_1)
	v_and_b32_e32 v15, 0x80000000, v15
	v_lshl_add_u32 v14, v14, 23, v15
	s_delay_alu instid0(VALU_DEP_1) | instskip(NEXT) | instid1(VALU_DEP_1)
	v_lshl_or_b32 v10, v10, 21, v14
	v_add_nc_u32_e32 v14, 0x38000000, v10
                                        ; implicit-def: $vgpr10
.LBB4_1305:                             ;   in Loop: Header=BB4_129 Depth=2
	s_and_not1_saveexec_b32 s26, s26
; %bb.1306:                             ;   in Loop: Header=BB4_129 Depth=2
	v_cmp_lt_i16_e32 vcc_lo, -1, v13
	v_cndmask_b32_e32 v14, 0xff800000, v126, vcc_lo
	v_cmp_eq_u32_e32 vcc_lo, 0, v10
	s_delay_alu instid0(VALU_DEP_2)
	v_cndmask_b32_e32 v14, 0x7f800001, v14, vcc_lo
; %bb.1307:                             ;   in Loop: Header=BB4_129 Depth=2
	s_or_b32 exec_lo, exec_lo, s26
.LBB4_1308:                             ;   in Loop: Header=BB4_129 Depth=2
	s_delay_alu instid0(SALU_CYCLE_1)
	s_or_b32 exec_lo, exec_lo, s25
.LBB4_1309:                             ;   in Loop: Header=BB4_129 Depth=2
	s_delay_alu instid0(SALU_CYCLE_1) | instskip(NEXT) | instid1(VALU_DEP_1)
	s_or_b32 exec_lo, exec_lo, s10
	v_dual_mul_f32 v10, v11, v14 :: v_dual_mov_b32 v15, v65
                                        ; implicit-def: $vgpr61
	s_mov_b32 s10, exec_lo
	s_delay_alu instid0(VALU_DEP_1) | instskip(SKIP_2) | instid1(VALU_DEP_3)
	v_and_b32_e32 v14, 0x7f800000, v10
	v_and_b32_e32 v64, 0x7fffff, v10
	v_lshrrev_b32_e32 v11, 24, v10
	v_cmpx_ne_u64_e32 0x7f800000, v[14:15]
	s_xor_b32 s25, exec_lo, s10
	s_cbranch_execz .LBB4_1323
; %bb.1310:                             ;   in Loop: Header=BB4_129 Depth=2
	v_and_b32_e32 v14, 0x7fffffff, v10
	v_mov_b32_e32 v15, v65
	v_and_b32_e32 v62, 0x80, v11
                                        ; implicit-def: $vgpr61
	s_mov_b32 s10, exec_lo
	s_delay_alu instid0(VALU_DEP_2)
	v_cmpx_gt_u64_e32 0x47600001, v[14:15]
	s_xor_b32 s26, exec_lo, s10
	s_cbranch_execz .LBB4_1320
; %bb.1311:                             ;   in Loop: Header=BB4_129 Depth=2
	v_mov_b32_e32 v61, 0
	s_mov_b32 s27, exec_lo
	v_cmpx_ne_u32_e32 0, v10
	s_cbranch_execz .LBB4_1319
; %bb.1312:                             ;   in Loop: Header=BB4_129 Depth=2
	v_bfe_u32 v61, v10, 23, 8
	v_or_b32_e32 v14, 0x800000, v64
	s_delay_alu instid0(VALU_DEP_2) | instskip(SKIP_1) | instid1(VALU_DEP_2)
	v_sub_nc_u32_e32 v10, 0x71, v61
	v_cmp_gt_u32_e32 vcc_lo, 0x72, v61
	v_cndmask_b32_e32 v10, 0, v10, vcc_lo
	v_cmp_eq_u32_e32 vcc_lo, 0, v61
	s_delay_alu instid0(VALU_DEP_2) | instskip(NEXT) | instid1(VALU_DEP_1)
	v_cndmask_b32_e64 v63, v10, 0x70, vcc_lo
	v_dual_cndmask_b32 v64, v14, v64, vcc_lo :: v_dual_add_nc_u32 v10, 21, v63
	v_add_nc_u32_e32 v15, 20, v63
	s_delay_alu instid0(VALU_DEP_2) | instskip(NEXT) | instid1(VALU_DEP_2)
	v_lshlrev_b64_e64 v[10:11], v10, -1
	v_lshlrev_b64_e64 v[14:15], v15, 1
	s_delay_alu instid0(VALU_DEP_2) | instskip(NEXT) | instid1(VALU_DEP_3)
	v_bfi_b32 v73, v11, 0, 0
	v_bfi_b32 v72, v10, 0, v64
	v_lshrrev_b64 v[10:11], v63, v[64:65]
	s_delay_alu instid0(VALU_DEP_2) | instskip(NEXT) | instid1(VALU_DEP_2)
	v_cmp_eq_u64_e64 s10, v[72:73], v[14:15]
	v_mov_b64_e32 v[14:15], v[10:11]
	s_and_saveexec_b32 s28, s10
; %bb.1313:                             ;   in Loop: Header=BB4_129 Depth=2
	v_bfe_u32 v64, v10, 21, 1
	s_delay_alu instid0(VALU_DEP_1) | instskip(NEXT) | instid1(VALU_DEP_1)
	v_add_nc_u64_e32 v[14:15], v[10:11], v[64:65]
	v_add_nc_u64_e32 v[14:15], -1, v[14:15]
; %bb.1314:                             ;   in Loop: Header=BB4_129 Depth=2
	s_or_b32 exec_lo, exec_lo, s28
	v_add_nc_u32_e32 v11, 0xffffff81, v61
	v_lshrrev_b32_e32 v15, 23, v10
	s_mov_b32 s10, exec_lo
	s_delay_alu instid0(VALU_DEP_2) | instskip(NEXT) | instid1(VALU_DEP_1)
	v_cndmask_b32_e64 v11, v11, 0xffffff82, vcc_lo
	v_add3_u32 v15, v63, v11, v15
	v_and_b32_e32 v11, 0x1fffff, v14
                                        ; implicit-def: $vgpr14
	s_delay_alu instid0(VALU_DEP_1) | instskip(NEXT) | instid1(VALU_DEP_1)
	v_dual_add_nc_u32 v61, 14, v15 :: v_dual_add_nc_u32 v64, v11, v10
                                        ; implicit-def: $vgpr10_vgpr11
	v_cmpx_ne_u32_e32 0, v61
	s_xor_b32 s10, exec_lo, s10
; %bb.1315:                             ;   in Loop: Header=BB4_129 Depth=2
	s_delay_alu instid0(VALU_DEP_2) | instskip(SKIP_1) | instid1(VALU_DEP_1)
	v_cmp_lt_u64_e32 vcc_lo, 0xffffff, v[64:65]
	v_add_nc_u32_e32 v10, 15, v15
	v_cndmask_b32_e32 v14, v61, v10, vcc_lo
	v_cndmask_b32_e64 v10, 0, 1, vcc_lo
	s_delay_alu instid0(VALU_DEP_1)
	v_lshrrev_b64 v[10:11], v10, v[64:65]
; %bb.1316:                             ;   in Loop: Header=BB4_129 Depth=2
	s_and_not1_saveexec_b32 s10, s10
; %bb.1317:                             ;   in Loop: Header=BB4_129 Depth=2
	v_mov_b64_e32 v[10:11], v[64:65]
	v_bfe_u32 v14, v64, 23, 1
; %bb.1318:                             ;   in Loop: Header=BB4_129 Depth=2
	s_or_b32 exec_lo, exec_lo, s10
	s_delay_alu instid0(VALU_DEP_2) | instskip(NEXT) | instid1(VALU_DEP_2)
	v_lshrrev_b64 v[10:11], 21, v[10:11]
	v_cmp_gt_i32_e32 vcc_lo, 32, v14
	v_min_i32_e32 v15, 31, v14
	v_cmp_eq_u32_e64 s10, 0, v14
	s_delay_alu instid0(VALU_DEP_4) | instskip(NEXT) | instid1(VALU_DEP_3)
	v_cndmask_b32_e32 v11, 0, v11, vcc_lo
	v_dual_cndmask_b32 v10, 3, v10 :: v_dual_lshlrev_b32 v15, 2, v15
	s_delay_alu instid0(VALU_DEP_1) | instskip(NEXT) | instid1(VALU_DEP_2)
	v_and_b32_e32 v15, 0xfc, v15
	v_cmp_eq_u64_e32 vcc_lo, 0, v[10:11]
	s_delay_alu instid0(VALU_DEP_2)
	v_and_or_b32 v10, v10, 3, v15
	s_and_b32 s10, s10, vcc_lo
	s_delay_alu instid0(VALU_DEP_1) | instid1(SALU_CYCLE_1)
	v_cndmask_b32_e64 v10, v10, 0, s10
	s_delay_alu instid0(VALU_DEP_1)
	v_or_b32_e32 v61, v10, v62
.LBB4_1319:                             ;   in Loop: Header=BB4_129 Depth=2
	s_or_b32 exec_lo, exec_lo, s27
                                        ; implicit-def: $vgpr62
.LBB4_1320:                             ;   in Loop: Header=BB4_129 Depth=2
	s_and_not1_saveexec_b32 s10, s26
; %bb.1321:                             ;   in Loop: Header=BB4_129 Depth=2
	v_or_b32_e32 v61, 0x7b, v62
; %bb.1322:                             ;   in Loop: Header=BB4_129 Depth=2
	s_or_b32 exec_lo, exec_lo, s10
                                        ; implicit-def: $vgpr10
                                        ; implicit-def: $vgpr11
.LBB4_1323:                             ;   in Loop: Header=BB4_129 Depth=2
	s_and_not1_saveexec_b32 s10, s25
	s_cbranch_execz .LBB4_1329
; %bb.1324:                             ;   in Loop: Header=BB4_129 Depth=2
	s_mov_b32 s25, exec_lo
                                        ; implicit-def: $vgpr61
	v_cmpx_ne_u64_e32 0, v[64:65]
	s_xor_b32 s25, exec_lo, s25
; %bb.1325:                             ;   in Loop: Header=BB4_129 Depth=2
	v_or_b32_e32 v61, 0x7f, v11
                                        ; implicit-def: $vgpr10
; %bb.1326:                             ;   in Loop: Header=BB4_129 Depth=2
	s_and_not1_saveexec_b32 s25, s25
; %bb.1327:                             ;   in Loop: Header=BB4_129 Depth=2
	v_cmp_lt_i32_e32 vcc_lo, -1, v10
	v_cndmask_b32_e32 v61, 0xfc, v68, vcc_lo
; %bb.1328:                             ;   in Loop: Header=BB4_129 Depth=2
	s_or_b32 exec_lo, exec_lo, s25
.LBB4_1329:                             ;   in Loop: Header=BB4_129 Depth=2
	s_delay_alu instid0(SALU_CYCLE_1) | instskip(SKIP_3) | instid1(VALU_DEP_2)
	s_or_b32 exec_lo, exec_lo, s10
	v_dual_mov_b32 v11, 0 :: v_dual_lshrrev_b32 v10, 16, v17
	v_mov_b32_e32 v14, 0
	s_mov_b32 s10, exec_lo
	v_and_b32_e32 v15, 0xff, v10
	s_delay_alu instid0(VALU_DEP_1)
	v_cmpx_ne_u16_e32 0, v15
	s_cbranch_execz .LBB4_1339
; %bb.1330:                             ;   in Loop: Header=BB4_129 Depth=2
	v_bfrev_b32_e32 v14, 1
	s_mov_b32 s25, exec_lo
	v_cmpx_ne_u16_e32 0x80, v15
	s_cbranch_execz .LBB4_1338
; %bb.1331:                             ;   in Loop: Header=BB4_129 Depth=2
	v_and_b32_e32 v14, 0x7c0000, v17
	v_bfe_u32 v15, v17, 16, 2
	s_delay_alu instid0(VALU_DEP_2) | instskip(SKIP_1) | instid1(SALU_CYCLE_1)
	v_cmp_ne_u32_e32 vcc_lo, 0x7c0000, v14
                                        ; implicit-def: $vgpr14
	s_and_saveexec_b32 s26, vcc_lo
	s_xor_b32 s26, exec_lo, s26
	s_cbranch_execz .LBB4_1335
; %bb.1332:                             ;   in Loop: Header=BB4_129 Depth=2
	v_bfe_u32 v14, v17, 18, 5
	s_mov_b32 s27, exec_lo
	s_delay_alu instid0(VALU_DEP_1)
	v_cmpx_eq_u32_e32 0, v14
; %bb.1333:                             ;   in Loop: Header=BB4_129 Depth=2
	v_clz_i32_u32_e32 v14, v15
	s_delay_alu instid0(VALU_DEP_1) | instskip(NEXT) | instid1(VALU_DEP_1)
	v_min_u32_e32 v14, 32, v14
	v_subrev_nc_u32_e32 v15, 29, v14
	v_sub_nc_u32_e32 v14, 30, v14
	s_delay_alu instid0(VALU_DEP_2) | instskip(NEXT) | instid1(VALU_DEP_1)
	v_lshlrev_b64_e32 v[62:63], v15, v[10:11]
	v_and_b32_e32 v15, 3, v62
; %bb.1334:                             ;   in Loop: Header=BB4_129 Depth=2
	s_or_b32 exec_lo, exec_lo, s27
	v_lshlrev_b32_e32 v10, 24, v10
	s_delay_alu instid0(VALU_DEP_1) | instskip(NEXT) | instid1(VALU_DEP_1)
	v_and_b32_e32 v10, 0x80000000, v10
	v_lshl_add_u32 v10, v14, 23, v10
	s_delay_alu instid0(VALU_DEP_1) | instskip(NEXT) | instid1(VALU_DEP_1)
	v_lshl_or_b32 v10, v15, 21, v10
                                        ; implicit-def: $vgpr15
	v_add_nc_u32_e32 v14, 0x38000000, v10
                                        ; implicit-def: $vgpr10
.LBB4_1335:                             ;   in Loop: Header=BB4_129 Depth=2
	s_and_not1_saveexec_b32 s26, s26
; %bb.1336:                             ;   in Loop: Header=BB4_129 Depth=2
	v_bfe_i32 v10, v10, 0, 8
	s_delay_alu instid0(VALU_DEP_1) | instskip(SKIP_2) | instid1(VALU_DEP_2)
	v_cmp_lt_i16_e32 vcc_lo, -1, v10
	v_cndmask_b32_e32 v10, 0xff800000, v126, vcc_lo
	v_cmp_eq_u32_e32 vcc_lo, 0, v15
	v_cndmask_b32_e32 v14, 0x7f800001, v10, vcc_lo
; %bb.1337:                             ;   in Loop: Header=BB4_129 Depth=2
	s_or_b32 exec_lo, exec_lo, s26
.LBB4_1338:                             ;   in Loop: Header=BB4_129 Depth=2
	s_delay_alu instid0(SALU_CYCLE_1)
	s_or_b32 exec_lo, exec_lo, s25
.LBB4_1339:                             ;   in Loop: Header=BB4_129 Depth=2
	s_delay_alu instid0(SALU_CYCLE_1) | instskip(SKIP_2) | instid1(VALU_DEP_1)
	s_or_b32 exec_lo, exec_lo, s10
	v_lshrrev_b32_e32 v10, 16, v13
	s_mov_b32 s10, exec_lo
	v_and_b32_e32 v15, 0xff, v10
	s_delay_alu instid0(VALU_DEP_1)
	v_cmpx_ne_u16_e32 0, v15
	s_cbranch_execz .LBB4_1349
; %bb.1340:                             ;   in Loop: Header=BB4_129 Depth=2
	v_bfrev_b32_e32 v11, 1
	s_mov_b32 s25, exec_lo
	v_cmpx_ne_u16_e32 0x80, v15
	s_cbranch_execz .LBB4_1348
; %bb.1341:                             ;   in Loop: Header=BB4_129 Depth=2
	v_and_b32_e32 v11, 0x7c0000, v13
	v_bfe_u32 v15, v13, 16, 2
	s_delay_alu instid0(VALU_DEP_2) | instskip(SKIP_1) | instid1(SALU_CYCLE_1)
	v_cmp_ne_u32_e32 vcc_lo, 0x7c0000, v11
                                        ; implicit-def: $vgpr11
	s_and_saveexec_b32 s26, vcc_lo
	s_xor_b32 s26, exec_lo, s26
	s_cbranch_execz .LBB4_1345
; %bb.1342:                             ;   in Loop: Header=BB4_129 Depth=2
	v_bfe_u32 v11, v13, 18, 5
	s_mov_b32 s27, exec_lo
	s_delay_alu instid0(VALU_DEP_1)
	v_cmpx_eq_u32_e32 0, v11
; %bb.1343:                             ;   in Loop: Header=BB4_129 Depth=2
	v_clz_i32_u32_e32 v11, v15
	s_delay_alu instid0(VALU_DEP_1) | instskip(NEXT) | instid1(VALU_DEP_1)
	v_min_u32_e32 v11, 32, v11
	v_subrev_nc_u32_e32 v15, 29, v11
	s_delay_alu instid0(VALU_DEP_1) | instskip(NEXT) | instid1(VALU_DEP_1)
	v_lshlrev_b64_e32 v[62:63], v15, v[10:11]
	v_dual_sub_nc_u32 v11, 30, v11 :: v_dual_bitop2_b32 v15, 3, v62 bitop3:0x40
; %bb.1344:                             ;   in Loop: Header=BB4_129 Depth=2
	s_or_b32 exec_lo, exec_lo, s27
	v_lshlrev_b32_e32 v10, 24, v10
	s_delay_alu instid0(VALU_DEP_1) | instskip(NEXT) | instid1(VALU_DEP_1)
	v_and_b32_e32 v10, 0x80000000, v10
	v_lshl_add_u32 v10, v11, 23, v10
	s_delay_alu instid0(VALU_DEP_1) | instskip(NEXT) | instid1(VALU_DEP_1)
	v_lshl_or_b32 v10, v15, 21, v10
                                        ; implicit-def: $vgpr15
	v_add_nc_u32_e32 v11, 0x38000000, v10
                                        ; implicit-def: $vgpr10
.LBB4_1345:                             ;   in Loop: Header=BB4_129 Depth=2
	s_and_not1_saveexec_b32 s26, s26
; %bb.1346:                             ;   in Loop: Header=BB4_129 Depth=2
	v_bfe_i32 v10, v10, 0, 8
	s_delay_alu instid0(VALU_DEP_1) | instskip(SKIP_2) | instid1(VALU_DEP_2)
	v_cmp_lt_i16_e32 vcc_lo, -1, v10
	v_cndmask_b32_e32 v10, 0xff800000, v126, vcc_lo
	v_cmp_eq_u32_e32 vcc_lo, 0, v15
	v_cndmask_b32_e32 v11, 0x7f800001, v10, vcc_lo
; %bb.1347:                             ;   in Loop: Header=BB4_129 Depth=2
	s_or_b32 exec_lo, exec_lo, s26
.LBB4_1348:                             ;   in Loop: Header=BB4_129 Depth=2
	s_delay_alu instid0(SALU_CYCLE_1)
	s_or_b32 exec_lo, exec_lo, s25
.LBB4_1349:                             ;   in Loop: Header=BB4_129 Depth=2
	s_delay_alu instid0(SALU_CYCLE_1) | instskip(NEXT) | instid1(VALU_DEP_1)
	s_or_b32 exec_lo, exec_lo, s10
	v_dual_mul_f32 v10, v14, v11 :: v_dual_mov_b32 v15, v65
	s_delay_alu instid0(VALU_DEP_1) | instskip(SKIP_2) | instid1(VALU_DEP_3)
	v_and_b32_e32 v14, 0x7f800000, v10
	v_and_b32_e32 v64, 0x7fffff, v10
	v_lshrrev_b32_e32 v11, 24, v10
	v_cmp_ne_u64_e32 vcc_lo, 0x7f800000, v[14:15]
                                        ; implicit-def: $vgpr14
	s_and_saveexec_b32 s10, vcc_lo
	s_delay_alu instid0(SALU_CYCLE_1)
	s_xor_b32 s25, exec_lo, s10
	s_cbranch_execz .LBB4_1363
; %bb.1350:                             ;   in Loop: Header=BB4_129 Depth=2
	v_and_b32_e32 v14, 0x7fffffff, v10
	v_mov_b32_e32 v15, v65
	v_and_b32_e32 v62, 0x80, v11
	s_delay_alu instid0(VALU_DEP_2) | instskip(SKIP_1) | instid1(SALU_CYCLE_1)
	v_cmp_gt_u64_e32 vcc_lo, 0x47600001, v[14:15]
                                        ; implicit-def: $vgpr14
	s_and_saveexec_b32 s10, vcc_lo
	s_xor_b32 s26, exec_lo, s10
	s_cbranch_execz .LBB4_1360
; %bb.1351:                             ;   in Loop: Header=BB4_129 Depth=2
	v_mov_b32_e32 v14, 0
	s_mov_b32 s27, exec_lo
	v_cmpx_ne_u32_e32 0, v10
	s_cbranch_execz .LBB4_1359
; %bb.1352:                             ;   in Loop: Header=BB4_129 Depth=2
	v_bfe_u32 v63, v10, 23, 8
	v_or_b32_e32 v14, 0x800000, v64
	s_delay_alu instid0(VALU_DEP_2) | instskip(SKIP_1) | instid1(VALU_DEP_2)
	v_sub_nc_u32_e32 v10, 0x71, v63
	v_cmp_gt_u32_e32 vcc_lo, 0x72, v63
	v_cndmask_b32_e32 v10, 0, v10, vcc_lo
	v_cmp_eq_u32_e32 vcc_lo, 0, v63
	s_delay_alu instid0(VALU_DEP_2) | instskip(SKIP_1) | instid1(VALU_DEP_2)
	v_cndmask_b32_e64 v72, v10, 0x70, vcc_lo
	v_cndmask_b32_e32 v64, v14, v64, vcc_lo
	v_dual_add_nc_u32 v10, 21, v72 :: v_dual_add_nc_u32 v15, 20, v72
	s_delay_alu instid0(VALU_DEP_1) | instskip(NEXT) | instid1(VALU_DEP_2)
	v_lshlrev_b64_e64 v[10:11], v10, -1
	v_lshlrev_b64_e64 v[14:15], v15, 1
	s_delay_alu instid0(VALU_DEP_2) | instskip(NEXT) | instid1(VALU_DEP_3)
	v_bfi_b32 v75, v11, 0, 0
	v_bfi_b32 v74, v10, 0, v64
	v_lshrrev_b64 v[10:11], v72, v[64:65]
	s_delay_alu instid0(VALU_DEP_2) | instskip(NEXT) | instid1(VALU_DEP_2)
	v_cmp_eq_u64_e64 s10, v[74:75], v[14:15]
	v_mov_b64_e32 v[14:15], v[10:11]
	s_and_saveexec_b32 s28, s10
; %bb.1353:                             ;   in Loop: Header=BB4_129 Depth=2
	v_bfe_u32 v64, v10, 21, 1
	s_delay_alu instid0(VALU_DEP_1) | instskip(NEXT) | instid1(VALU_DEP_1)
	v_add_nc_u64_e32 v[14:15], v[10:11], v[64:65]
	v_add_nc_u64_e32 v[14:15], -1, v[14:15]
; %bb.1354:                             ;   in Loop: Header=BB4_129 Depth=2
	s_or_b32 exec_lo, exec_lo, s28
	v_add_nc_u32_e32 v11, 0xffffff81, v63
	v_lshrrev_b32_e32 v15, 23, v10
	s_mov_b32 s10, exec_lo
	s_delay_alu instid0(VALU_DEP_2) | instskip(NEXT) | instid1(VALU_DEP_1)
	v_cndmask_b32_e64 v11, v11, 0xffffff82, vcc_lo
	v_add3_u32 v15, v72, v11, v15
	v_and_b32_e32 v11, 0x1fffff, v14
                                        ; implicit-def: $vgpr14
	s_delay_alu instid0(VALU_DEP_1) | instskip(NEXT) | instid1(VALU_DEP_1)
	v_dual_add_nc_u32 v63, 14, v15 :: v_dual_add_nc_u32 v64, v11, v10
                                        ; implicit-def: $vgpr10_vgpr11
	v_cmpx_ne_u32_e32 0, v63
	s_xor_b32 s10, exec_lo, s10
; %bb.1355:                             ;   in Loop: Header=BB4_129 Depth=2
	s_delay_alu instid0(VALU_DEP_2) | instskip(SKIP_1) | instid1(VALU_DEP_1)
	v_cmp_lt_u64_e32 vcc_lo, 0xffffff, v[64:65]
	v_add_nc_u32_e32 v10, 15, v15
	v_cndmask_b32_e32 v14, v63, v10, vcc_lo
	v_cndmask_b32_e64 v10, 0, 1, vcc_lo
	s_delay_alu instid0(VALU_DEP_1)
	v_lshrrev_b64 v[10:11], v10, v[64:65]
; %bb.1356:                             ;   in Loop: Header=BB4_129 Depth=2
	s_and_not1_saveexec_b32 s10, s10
; %bb.1357:                             ;   in Loop: Header=BB4_129 Depth=2
	v_mov_b64_e32 v[10:11], v[64:65]
	v_bfe_u32 v14, v64, 23, 1
; %bb.1358:                             ;   in Loop: Header=BB4_129 Depth=2
	s_or_b32 exec_lo, exec_lo, s10
	s_delay_alu instid0(VALU_DEP_2) | instskip(NEXT) | instid1(VALU_DEP_2)
	v_lshrrev_b64 v[10:11], 21, v[10:11]
	v_cmp_gt_i32_e32 vcc_lo, 32, v14
	v_min_i32_e32 v15, 31, v14
	v_cmp_eq_u32_e64 s10, 0, v14
	s_delay_alu instid0(VALU_DEP_4) | instskip(NEXT) | instid1(VALU_DEP_3)
	v_cndmask_b32_e32 v11, 0, v11, vcc_lo
	v_dual_cndmask_b32 v10, 3, v10 :: v_dual_lshlrev_b32 v15, 2, v15
	s_delay_alu instid0(VALU_DEP_1) | instskip(NEXT) | instid1(VALU_DEP_2)
	v_and_b32_e32 v15, 0xfc, v15
	v_cmp_eq_u64_e32 vcc_lo, 0, v[10:11]
	s_delay_alu instid0(VALU_DEP_2)
	v_and_or_b32 v10, v10, 3, v15
	s_and_b32 s10, s10, vcc_lo
	s_delay_alu instid0(VALU_DEP_1) | instid1(SALU_CYCLE_1)
	v_cndmask_b32_e64 v10, v10, 0, s10
	s_delay_alu instid0(VALU_DEP_1)
	v_or_b32_e32 v14, v10, v62
.LBB4_1359:                             ;   in Loop: Header=BB4_129 Depth=2
	s_or_b32 exec_lo, exec_lo, s27
                                        ; implicit-def: $vgpr62
.LBB4_1360:                             ;   in Loop: Header=BB4_129 Depth=2
	s_and_not1_saveexec_b32 s10, s26
; %bb.1361:                             ;   in Loop: Header=BB4_129 Depth=2
	v_or_b32_e32 v14, 0x7b, v62
; %bb.1362:                             ;   in Loop: Header=BB4_129 Depth=2
	s_or_b32 exec_lo, exec_lo, s10
                                        ; implicit-def: $vgpr10
                                        ; implicit-def: $vgpr11
.LBB4_1363:                             ;   in Loop: Header=BB4_129 Depth=2
	s_and_not1_saveexec_b32 s10, s25
	s_cbranch_execz .LBB4_1369
; %bb.1364:                             ;   in Loop: Header=BB4_129 Depth=2
	s_mov_b32 s25, exec_lo
                                        ; implicit-def: $vgpr14
	v_cmpx_ne_u64_e32 0, v[64:65]
	s_xor_b32 s25, exec_lo, s25
; %bb.1365:                             ;   in Loop: Header=BB4_129 Depth=2
	v_or_b32_e32 v14, 0x7f, v11
                                        ; implicit-def: $vgpr10
; %bb.1366:                             ;   in Loop: Header=BB4_129 Depth=2
	s_and_not1_saveexec_b32 s25, s25
; %bb.1367:                             ;   in Loop: Header=BB4_129 Depth=2
	v_cmp_lt_i32_e32 vcc_lo, -1, v10
	v_cndmask_b32_e32 v14, 0xfc, v68, vcc_lo
; %bb.1368:                             ;   in Loop: Header=BB4_129 Depth=2
	s_or_b32 exec_lo, exec_lo, s25
.LBB4_1369:                             ;   in Loop: Header=BB4_129 Depth=2
	s_delay_alu instid0(SALU_CYCLE_1)
	s_or_b32 exec_lo, exec_lo, s10
	v_dual_mov_b32 v11, 0 :: v_dual_mov_b32 v15, 0
	s_mov_b32 s10, exec_lo
	v_cmpx_lt_u64_e64 s[12:13], v[16:17]
	s_cbranch_execz .LBB4_1379
; %bb.1370:                             ;   in Loop: Header=BB4_129 Depth=2
	v_lshrrev_b32_e32 v10, 24, v17
	v_bfrev_b32_e32 v15, 1
	s_mov_b32 s25, exec_lo
	s_delay_alu instid0(VALU_DEP_2)
	v_cmpx_ne_u32_e32 0x80, v10
	s_cbranch_execz .LBB4_1378
; %bb.1371:                             ;   in Loop: Header=BB4_129 Depth=2
	v_and_b32_e32 v15, 0x7c000000, v17
	v_bfe_u32 v64, v17, 24, 2
	s_delay_alu instid0(VALU_DEP_2) | instskip(SKIP_1) | instid1(SALU_CYCLE_1)
	v_cmp_ne_u32_e32 vcc_lo, 0x7c000000, v15
                                        ; implicit-def: $vgpr15
	s_and_saveexec_b32 s26, vcc_lo
	s_xor_b32 s26, exec_lo, s26
	s_cbranch_execz .LBB4_1375
; %bb.1372:                             ;   in Loop: Header=BB4_129 Depth=2
	v_bfe_u32 v15, v17, 26, 5
	s_mov_b32 s27, exec_lo
	s_delay_alu instid0(VALU_DEP_1)
	v_cmpx_eq_u32_e32 0, v15
; %bb.1373:                             ;   in Loop: Header=BB4_129 Depth=2
	v_clz_i32_u32_e32 v15, v64
	s_delay_alu instid0(VALU_DEP_1) | instskip(NEXT) | instid1(VALU_DEP_1)
	v_min_u32_e32 v15, 32, v15
	v_subrev_nc_u32_e32 v16, 29, v15
	s_delay_alu instid0(VALU_DEP_1) | instskip(NEXT) | instid1(VALU_DEP_1)
	v_lshlrev_b64_e32 v[62:63], v16, v[10:11]
	v_dual_sub_nc_u32 v15, 30, v15 :: v_dual_bitop2_b32 v64, 3, v62 bitop3:0x40
; %bb.1374:                             ;   in Loop: Header=BB4_129 Depth=2
	s_or_b32 exec_lo, exec_lo, s27
	v_and_b32_e32 v10, 0x80000000, v17
                                        ; implicit-def: $vgpr16_vgpr17
	s_delay_alu instid0(VALU_DEP_1) | instskip(NEXT) | instid1(VALU_DEP_1)
	v_lshl_add_u32 v10, v15, 23, v10
	v_lshl_or_b32 v10, v64, 21, v10
                                        ; implicit-def: $vgpr64
	s_delay_alu instid0(VALU_DEP_1)
	v_add_nc_u32_e32 v15, 0x38000000, v10
.LBB4_1375:                             ;   in Loop: Header=BB4_129 Depth=2
	s_and_not1_saveexec_b32 s26, s26
; %bb.1376:                             ;   in Loop: Header=BB4_129 Depth=2
	v_cmp_lt_i64_e32 vcc_lo, -1, v[16:17]
	v_cndmask_b32_e32 v10, 0xff800000, v126, vcc_lo
	v_cmp_eq_u32_e32 vcc_lo, 0, v64
	s_delay_alu instid0(VALU_DEP_2)
	v_cndmask_b32_e32 v15, 0x7f800001, v10, vcc_lo
; %bb.1377:                             ;   in Loop: Header=BB4_129 Depth=2
	s_or_b32 exec_lo, exec_lo, s26
.LBB4_1378:                             ;   in Loop: Header=BB4_129 Depth=2
	s_delay_alu instid0(SALU_CYCLE_1)
	s_or_b32 exec_lo, exec_lo, s25
.LBB4_1379:                             ;   in Loop: Header=BB4_129 Depth=2
	s_delay_alu instid0(SALU_CYCLE_1) | instskip(NEXT) | instid1(SALU_CYCLE_1)
	s_or_b32 exec_lo, exec_lo, s10
	s_mov_b32 s10, exec_lo
	v_cmpx_lt_u64_e64 s[12:13], v[12:13]
	s_cbranch_execz .LBB4_1389
; %bb.1380:                             ;   in Loop: Header=BB4_129 Depth=2
	v_lshrrev_b32_e32 v10, 24, v13
	v_bfrev_b32_e32 v11, 1
	s_mov_b32 s25, exec_lo
	s_delay_alu instid0(VALU_DEP_2)
	v_cmpx_ne_u32_e32 0x80, v10
	s_cbranch_execz .LBB4_1388
; %bb.1381:                             ;   in Loop: Header=BB4_129 Depth=2
	v_and_b32_e32 v11, 0x7c000000, v13
	v_bfe_u32 v16, v13, 24, 2
	s_delay_alu instid0(VALU_DEP_2) | instskip(SKIP_1) | instid1(SALU_CYCLE_1)
	v_cmp_ne_u32_e32 vcc_lo, 0x7c000000, v11
                                        ; implicit-def: $vgpr11
	s_and_saveexec_b32 s26, vcc_lo
	s_xor_b32 s26, exec_lo, s26
	s_cbranch_execz .LBB4_1385
; %bb.1382:                             ;   in Loop: Header=BB4_129 Depth=2
	v_bfe_u32 v11, v13, 26, 5
	s_mov_b32 s27, exec_lo
	s_delay_alu instid0(VALU_DEP_1)
	v_cmpx_eq_u32_e32 0, v11
; %bb.1383:                             ;   in Loop: Header=BB4_129 Depth=2
	v_clz_i32_u32_e32 v11, v16
	s_delay_alu instid0(VALU_DEP_1) | instskip(NEXT) | instid1(VALU_DEP_1)
	v_min_u32_e32 v12, 32, v11
	v_subrev_nc_u32_e32 v11, 29, v12
	s_delay_alu instid0(VALU_DEP_1) | instskip(NEXT) | instid1(VALU_DEP_1)
	v_lshlrev_b64_e32 v[10:11], v11, v[10:11]
	v_dual_sub_nc_u32 v11, 30, v12 :: v_dual_bitop2_b32 v16, 3, v10 bitop3:0x40
; %bb.1384:                             ;   in Loop: Header=BB4_129 Depth=2
	s_or_b32 exec_lo, exec_lo, s27
	v_and_b32_e32 v10, 0x80000000, v13
                                        ; implicit-def: $vgpr12_vgpr13
	s_delay_alu instid0(VALU_DEP_1) | instskip(NEXT) | instid1(VALU_DEP_1)
	v_lshl_add_u32 v10, v11, 23, v10
	v_lshl_or_b32 v10, v16, 21, v10
                                        ; implicit-def: $vgpr16
	s_delay_alu instid0(VALU_DEP_1)
	v_add_nc_u32_e32 v11, 0x38000000, v10
.LBB4_1385:                             ;   in Loop: Header=BB4_129 Depth=2
	s_and_not1_saveexec_b32 s26, s26
; %bb.1386:                             ;   in Loop: Header=BB4_129 Depth=2
	v_cmp_lt_i64_e32 vcc_lo, -1, v[12:13]
	v_cndmask_b32_e32 v10, 0xff800000, v126, vcc_lo
	v_cmp_eq_u32_e32 vcc_lo, 0, v16
	s_delay_alu instid0(VALU_DEP_2)
	v_cndmask_b32_e32 v11, 0x7f800001, v10, vcc_lo
; %bb.1387:                             ;   in Loop: Header=BB4_129 Depth=2
	s_or_b32 exec_lo, exec_lo, s26
.LBB4_1388:                             ;   in Loop: Header=BB4_129 Depth=2
	s_delay_alu instid0(SALU_CYCLE_1)
	s_or_b32 exec_lo, exec_lo, s25
.LBB4_1389:                             ;   in Loop: Header=BB4_129 Depth=2
	s_delay_alu instid0(SALU_CYCLE_1) | instskip(NEXT) | instid1(VALU_DEP_1)
	s_or_b32 exec_lo, exec_lo, s10
	v_dual_mul_f32 v11, v15, v11 :: v_dual_mov_b32 v13, v65
                                        ; implicit-def: $vgpr10
	s_delay_alu instid0(VALU_DEP_1) | instskip(SKIP_1) | instid1(VALU_DEP_2)
	v_and_b32_e32 v12, 0x7f800000, v11
	v_and_b32_e32 v64, 0x7fffff, v11
	v_cmp_ne_u64_e32 vcc_lo, 0x7f800000, v[12:13]
	v_lshrrev_b32_e32 v12, 24, v11
	s_and_saveexec_b32 s10, vcc_lo
	s_delay_alu instid0(SALU_CYCLE_1)
	s_xor_b32 s25, exec_lo, s10
	s_cbranch_execz .LBB4_1403
; %bb.1390:                             ;   in Loop: Header=BB4_129 Depth=2
	v_and_b32_e32 v16, 0x7fffffff, v11
	v_mov_b32_e32 v17, v65
	v_and_b32_e32 v15, 0x80, v12
                                        ; implicit-def: $vgpr10
	s_mov_b32 s10, exec_lo
	s_delay_alu instid0(VALU_DEP_2)
	v_cmpx_gt_u64_e32 0x47600001, v[16:17]
	s_xor_b32 s26, exec_lo, s10
	s_cbranch_execz .LBB4_1400
; %bb.1391:                             ;   in Loop: Header=BB4_129 Depth=2
	v_mov_b32_e32 v10, 0
	s_mov_b32 s27, exec_lo
	v_cmpx_ne_u32_e32 0, v11
	s_cbranch_execz .LBB4_1399
; %bb.1392:                             ;   in Loop: Header=BB4_129 Depth=2
	v_bfe_u32 v16, v11, 23, 8
	v_or_b32_e32 v12, 0x800000, v64
	s_delay_alu instid0(VALU_DEP_2) | instskip(SKIP_1) | instid1(VALU_DEP_2)
	v_sub_nc_u32_e32 v10, 0x71, v16
	v_cmp_gt_u32_e32 vcc_lo, 0x72, v16
	v_cndmask_b32_e32 v10, 0, v10, vcc_lo
	v_cmp_eq_u32_e32 vcc_lo, 0, v16
	s_delay_alu instid0(VALU_DEP_2) | instskip(NEXT) | instid1(VALU_DEP_1)
	v_cndmask_b32_e64 v17, v10, 0x70, vcc_lo
	v_dual_cndmask_b32 v64, v12, v64, vcc_lo :: v_dual_add_nc_u32 v10, 21, v17
	v_add_nc_u32_e32 v13, 20, v17
	s_delay_alu instid0(VALU_DEP_2) | instskip(NEXT) | instid1(VALU_DEP_2)
	v_lshlrev_b64_e64 v[10:11], v10, -1
	v_lshlrev_b64_e64 v[12:13], v13, 1
	s_delay_alu instid0(VALU_DEP_2) | instskip(NEXT) | instid1(VALU_DEP_3)
	v_bfi_b32 v63, v11, 0, 0
	v_bfi_b32 v62, v10, 0, v64
	v_lshrrev_b64 v[10:11], v17, v[64:65]
	s_delay_alu instid0(VALU_DEP_2) | instskip(NEXT) | instid1(VALU_DEP_2)
	v_cmp_eq_u64_e64 s10, v[62:63], v[12:13]
	v_mov_b64_e32 v[12:13], v[10:11]
	s_and_saveexec_b32 s28, s10
; %bb.1393:                             ;   in Loop: Header=BB4_129 Depth=2
	v_bfe_u32 v64, v10, 21, 1
	s_delay_alu instid0(VALU_DEP_1) | instskip(NEXT) | instid1(VALU_DEP_1)
	v_add_nc_u64_e32 v[12:13], v[10:11], v[64:65]
	v_add_nc_u64_e32 v[12:13], -1, v[12:13]
; %bb.1394:                             ;   in Loop: Header=BB4_129 Depth=2
	s_or_b32 exec_lo, exec_lo, s28
	v_add_nc_u32_e32 v11, 0xffffff81, v16
	v_lshrrev_b32_e32 v13, 23, v10
	s_mov_b32 s10, exec_lo
	s_delay_alu instid0(VALU_DEP_2) | instskip(NEXT) | instid1(VALU_DEP_1)
	v_cndmask_b32_e64 v11, v11, 0xffffff82, vcc_lo
	v_add3_u32 v13, v17, v11, v13
	v_and_b32_e32 v11, 0x1fffff, v12
                                        ; implicit-def: $vgpr12
	s_delay_alu instid0(VALU_DEP_1) | instskip(NEXT) | instid1(VALU_DEP_1)
	v_dual_add_nc_u32 v16, 14, v13 :: v_dual_add_nc_u32 v64, v11, v10
                                        ; implicit-def: $vgpr10_vgpr11
	v_cmpx_ne_u32_e32 0, v16
	s_xor_b32 s10, exec_lo, s10
; %bb.1395:                             ;   in Loop: Header=BB4_129 Depth=2
	s_delay_alu instid0(VALU_DEP_2) | instskip(SKIP_1) | instid1(VALU_DEP_1)
	v_cmp_lt_u64_e32 vcc_lo, 0xffffff, v[64:65]
	v_add_nc_u32_e32 v10, 15, v13
	v_cndmask_b32_e32 v12, v16, v10, vcc_lo
	v_cndmask_b32_e64 v10, 0, 1, vcc_lo
	s_delay_alu instid0(VALU_DEP_1)
	v_lshrrev_b64 v[10:11], v10, v[64:65]
; %bb.1396:                             ;   in Loop: Header=BB4_129 Depth=2
	s_and_not1_saveexec_b32 s10, s10
; %bb.1397:                             ;   in Loop: Header=BB4_129 Depth=2
	v_mov_b64_e32 v[10:11], v[64:65]
	v_bfe_u32 v12, v64, 23, 1
; %bb.1398:                             ;   in Loop: Header=BB4_129 Depth=2
	s_or_b32 exec_lo, exec_lo, s10
	s_delay_alu instid0(VALU_DEP_2) | instskip(NEXT) | instid1(VALU_DEP_2)
	v_lshrrev_b64 v[10:11], 21, v[10:11]
	v_cmp_gt_i32_e32 vcc_lo, 32, v12
	v_min_i32_e32 v13, 31, v12
	v_cmp_eq_u32_e64 s10, 0, v12
	s_delay_alu instid0(VALU_DEP_2) | instskip(SKIP_1) | instid1(VALU_DEP_2)
	v_dual_cndmask_b32 v11, 0, v11, vcc_lo :: v_dual_lshlrev_b32 v13, 2, v13
	v_cndmask_b32_e32 v10, 3, v10, vcc_lo
	v_and_b32_e32 v13, 0xfc, v13
	s_delay_alu instid0(VALU_DEP_2) | instskip(NEXT) | instid1(VALU_DEP_2)
	v_cmp_eq_u64_e32 vcc_lo, 0, v[10:11]
	v_and_or_b32 v10, v10, 3, v13
	s_and_b32 s10, s10, vcc_lo
	s_delay_alu instid0(VALU_DEP_1) | instid1(SALU_CYCLE_1)
	v_cndmask_b32_e64 v10, v10, 0, s10
	s_delay_alu instid0(VALU_DEP_1)
	v_or_b32_e32 v10, v10, v15
.LBB4_1399:                             ;   in Loop: Header=BB4_129 Depth=2
	s_or_b32 exec_lo, exec_lo, s27
                                        ; implicit-def: $vgpr15
.LBB4_1400:                             ;   in Loop: Header=BB4_129 Depth=2
	s_and_not1_saveexec_b32 s10, s26
; %bb.1401:                             ;   in Loop: Header=BB4_129 Depth=2
	v_or_b32_e32 v10, 0x7b, v15
; %bb.1402:                             ;   in Loop: Header=BB4_129 Depth=2
	s_or_b32 exec_lo, exec_lo, s10
                                        ; implicit-def: $vgpr11
                                        ; implicit-def: $vgpr12
.LBB4_1403:                             ;   in Loop: Header=BB4_129 Depth=2
	s_and_not1_saveexec_b32 s10, s25
	s_cbranch_execz .LBB4_128
; %bb.1404:                             ;   in Loop: Header=BB4_129 Depth=2
	s_mov_b32 s25, exec_lo
                                        ; implicit-def: $vgpr10
	v_cmpx_ne_u64_e32 0, v[64:65]
	s_xor_b32 s25, exec_lo, s25
; %bb.1405:                             ;   in Loop: Header=BB4_129 Depth=2
	v_or_b32_e32 v10, 0x7f, v12
                                        ; implicit-def: $vgpr11
; %bb.1406:                             ;   in Loop: Header=BB4_129 Depth=2
	s_and_not1_saveexec_b32 s25, s25
	s_cbranch_execz .LBB4_127
; %bb.1407:                             ;   in Loop: Header=BB4_129 Depth=2
	v_cmp_lt_i32_e32 vcc_lo, -1, v11
	v_cndmask_b32_e32 v10, 0xfc, v68, vcc_lo
	s_branch .LBB4_127
.LBB4_1408:                             ;   in Loop: Header=BB4_49 Depth=1
	s_or_b32 exec_lo, exec_lo, s24
.LBB4_1409:                             ;   in Loop: Header=BB4_49 Depth=1
	s_delay_alu instid0(SALU_CYCLE_1) | instskip(SKIP_4) | instid1(VALU_DEP_2)
	s_or_b32 exec_lo, exec_lo, s11
	v_and_b32_e32 v11, 0x3ffffc00, v69
	v_mov_b32_e32 v30, 0
	s_mov_b32 s10, 0
	s_mov_b32 s24, exec_lo
                                        ; implicit-def: $vgpr97
                                        ; implicit-def: $vgpr0
                                        ; implicit-def: $vgpr10
	v_cmpx_ne_u32_e64 v69, v11
	s_cbranch_execz .LBB4_1993
; %bb.1410:                             ;   in Loop: Header=BB4_49 Depth=1
	v_lshlrev_b32_e32 v0, 5, v87
	v_and_b32_e32 v13, 0x3ff, v69
	v_bfe_u32 v14, v69, 9, 1
	s_mov_b32 s25, exec_lo
	s_delay_alu instid0(VALU_DEP_3) | instskip(NEXT) | instid1(VALU_DEP_1)
	v_sub_nc_u32_e32 v0, v123, v0
	v_ashrrev_i32_e32 v3, 31, v0
	s_delay_alu instid0(VALU_DEP_1) | instskip(NEXT) | instid1(VALU_DEP_1)
	v_lshrrev_b32_e32 v3, 27, v3
	v_add_nc_u32_e32 v10, v0, v3
	s_delay_alu instid0(VALU_DEP_1) | instskip(NEXT) | instid1(VALU_DEP_1)
	v_and_b32_e32 v3, 0xffffffe0, v10
	v_sub_nc_u32_e32 v3, v0, v3
	v_and_b32_e32 v0, 0x1ff, v69
	v_ashrrev_i32_e32 v12, 5, v10
	s_delay_alu instid0(VALU_DEP_2) | instskip(SKIP_1) | instid1(VALU_DEP_1)
	v_cmp_lt_u32_e32 vcc_lo, 15, v0
	v_add_co_ci_u32_e64 v14, null, 0, v14, vcc_lo
	v_dual_lshlrev_b32 v10, 4, v3 :: v_dual_sub_nc_u32 v87, v14, v12
	s_delay_alu instid0(VALU_DEP_1) | instskip(NEXT) | instid1(VALU_DEP_1)
	v_lshl_add_u32 v10, v12, 9, v10
	v_sub_nc_u32_e32 v30, v13, v10
	s_delay_alu instid0(VALU_DEP_1)
	v_cmpx_lt_i32_e32 15, v30
	s_cbranch_execz .LBB4_1990
; %bb.1411:                             ;   in Loop: Header=BB4_49 Depth=1
	s_trap 2
	ds_load_b64 v[12:13], v0
	v_add_nc_u32_e32 v10, v10, v11
	s_mov_b32 s26, 0
	s_delay_alu instid0(VALU_DEP_1) | instskip(NEXT) | instid1(VALU_DEP_1)
	v_ashrrev_i32_e32 v11, 31, v10
	v_add_nc_u64_e32 v[18:19], v[10:11], v[98:99]
	v_add_nc_u64_e32 v[22:23], v[10:11], v[100:101]
	s_wait_dscnt 0x0
	v_add_nc_u64_e32 v[20:21], v[12:13], v[10:11]
	s_branch .LBB4_1414
.LBB4_1412:                             ;   in Loop: Header=BB4_1414 Depth=2
	s_or_b32 exec_lo, exec_lo, s27
.LBB4_1413:                             ;   in Loop: Header=BB4_1414 Depth=2
	s_delay_alu instid0(SALU_CYCLE_1)
	s_or_b32 exec_lo, exec_lo, s11
	v_lshl_or_b32 v11, v113, 8, v112
	v_dual_lshlrev_b32 v12, 16, v102 :: v_dual_lshlrev_b32 v13, 24, v103
	v_lshl_or_b32 v15, v114, 8, v97
	v_dual_lshlrev_b32 v16, 16, v115 :: v_dual_lshlrev_b32 v17, 24, v116
	;; [unrolled: 2-line block ×3, first 2 shown]
	v_dual_lshlrev_b32 v97, 24, v10 :: v_dual_sub_nc_u32 v30, v30, v80
	v_lshlrev_b32_e32 v14, 16, v14
	v_lshl_or_b32 v24, v25, 8, v24
	v_or3_b32 v11, v11, v12, v13
	v_or3_b32 v10, v15, v16, v17
	;; [unrolled: 1-line block ×3, first 2 shown]
	v_add_nc_u64_e32 v[18:19], v[18:19], v[80:81]
	v_or3_b32 v13, v24, v14, v97
	v_add_nc_u64_e32 v[20:21], v[20:21], v[80:81]
	v_cmp_gt_i32_e64 s10, 16, v30
	v_sub_nc_u32_e32 v87, v87, v54
	global_store_b128 v[22:23], v[10:13], off th:TH_STORE_NT
	s_wait_xcnt 0x0
	v_add_nc_u64_e32 v[22:23], v[22:23], v[80:81]
	s_or_b32 s26, s10, s26
	s_delay_alu instid0(SALU_CYCLE_1)
	s_and_not1_b32 exec_lo, exec_lo, s26
	s_cbranch_execz .LBB4_1989
.LBB4_1414:                             ;   Parent Loop BB4_49 Depth=1
                                        ; =>  This Inner Loop Header: Depth=2
	global_load_b128 v[14:17], v[18:19], off th:TH_LOAD_NT
	global_load_b128 v[10:13], v[20:21], off th:TH_LOAD_NT
	s_wait_loadcnt 0x1
	v_and_b32_e32 v24, 0xff, v14
	s_delay_alu instid0(VALU_DEP_1)
	v_cmp_ne_u16_e64 s10, 0, v24
	v_mov_b32_e32 v24, 0
	s_wait_xcnt 0x0
	s_and_saveexec_b32 s11, s10
	s_cbranch_execz .LBB4_1424
; %bb.1415:                             ;   in Loop: Header=BB4_1414 Depth=2
	v_bfe_i32 v64, v14, 0, 8
	v_bfrev_b32_e32 v24, 1
	s_mov_b32 s27, exec_lo
	s_delay_alu instid0(VALU_DEP_2)
	v_cmpx_ne_u16_e32 0xff80, v64
	s_cbranch_execz .LBB4_1423
; %bb.1416:                             ;   in Loop: Header=BB4_1414 Depth=2
	v_and_b32_e32 v24, 0x7c, v14
	v_and_b32_e32 v25, 3, v14
	s_delay_alu instid0(VALU_DEP_2) | instskip(SKIP_1) | instid1(SALU_CYCLE_1)
	v_cmp_ne_u32_e64 s10, 0x7c, v24
                                        ; implicit-def: $vgpr24
	s_and_saveexec_b32 s28, s10
	s_xor_b32 s28, exec_lo, s28
	s_cbranch_execz .LBB4_1420
; %bb.1417:                             ;   in Loop: Header=BB4_1414 Depth=2
	v_bfe_u32 v24, v14, 2, 5
	s_mov_b32 s29, exec_lo
	s_delay_alu instid0(VALU_DEP_1)
	v_cmpx_eq_u32_e32 0, v24
; %bb.1418:                             ;   in Loop: Header=BB4_1414 Depth=2
	v_clz_i32_u32_e32 v24, v25
	s_delay_alu instid0(VALU_DEP_1) | instskip(NEXT) | instid1(VALU_DEP_1)
	v_min_u32_e32 v24, 32, v24
	v_subrev_nc_u32_e32 v25, 29, v24
	s_delay_alu instid0(VALU_DEP_1) | instskip(NEXT) | instid1(VALU_DEP_1)
	v_lshlrev_b64_e32 v[102:103], v25, v[14:15]
	v_dual_sub_nc_u32 v24, 30, v24 :: v_dual_bitop2_b32 v25, 3, v102 bitop3:0x40
; %bb.1419:                             ;   in Loop: Header=BB4_1414 Depth=2
	s_or_b32 exec_lo, exec_lo, s29
	v_lshlrev_b32_e32 v64, 24, v14
	s_delay_alu instid0(VALU_DEP_1) | instskip(NEXT) | instid1(VALU_DEP_1)
	v_and_b32_e32 v64, 0x80000000, v64
	v_lshl_add_u32 v24, v24, 23, v64
                                        ; implicit-def: $vgpr64
	s_delay_alu instid0(VALU_DEP_1) | instskip(NEXT) | instid1(VALU_DEP_1)
	v_lshl_or_b32 v24, v25, 21, v24
                                        ; implicit-def: $vgpr25
	v_add_nc_u32_e32 v24, 0x38000000, v24
.LBB4_1420:                             ;   in Loop: Header=BB4_1414 Depth=2
	s_and_not1_saveexec_b32 s28, s28
; %bb.1421:                             ;   in Loop: Header=BB4_1414 Depth=2
	v_cmp_lt_i16_e64 s10, -1, v64
	s_delay_alu instid0(VALU_DEP_1) | instskip(SKIP_1) | instid1(VALU_DEP_1)
	v_cndmask_b32_e64 v24, 0xff800000, v126, s10
	v_cmp_eq_u32_e64 s10, 0, v25
	v_cndmask_b32_e64 v24, 0x7f800001, v24, s10
; %bb.1422:                             ;   in Loop: Header=BB4_1414 Depth=2
	s_or_b32 exec_lo, exec_lo, s28
.LBB4_1423:                             ;   in Loop: Header=BB4_1414 Depth=2
	s_delay_alu instid0(SALU_CYCLE_1)
	s_or_b32 exec_lo, exec_lo, s27
.LBB4_1424:                             ;   in Loop: Header=BB4_1414 Depth=2
	s_delay_alu instid0(SALU_CYCLE_1) | instskip(SKIP_4) | instid1(VALU_DEP_1)
	s_or_b32 exec_lo, exec_lo, s11
	s_wait_loadcnt 0x0
	v_and_b32_e32 v64, 0xff, v10
	s_mov_b32 s27, 0
	s_mov_b32 s11, exec_lo
	v_cmpx_lt_i16_e32 0x7f, v64
	s_xor_b32 s11, exec_lo, s11
	s_cbranch_execz .LBB4_1965
; %bb.1425:                             ;   in Loop: Header=BB4_1414 Depth=2
	s_mov_b32 s27, -1
	s_mov_b32 s28, exec_lo
	v_cmpx_eq_u16_e32 0x80, v64
; %bb.1426:                             ;   in Loop: Header=BB4_1414 Depth=2
	s_xor_b32 s27, exec_lo, -1
; %bb.1427:                             ;   in Loop: Header=BB4_1414 Depth=2
	s_or_b32 exec_lo, exec_lo, s28
	s_delay_alu instid0(SALU_CYCLE_1)
	s_and_b32 s27, s27, exec_lo
                                        ; implicit-def: $vgpr64
	s_or_saveexec_b32 s11, s11
	v_bfrev_b32_e32 v25, 1
	s_xor_b32 exec_lo, exec_lo, s11
	s_cbranch_execnz .LBB4_1966
.LBB4_1428:                             ;   in Loop: Header=BB4_1414 Depth=2
	s_or_b32 exec_lo, exec_lo, s11
	s_and_saveexec_b32 s11, s27
	s_cbranch_execz .LBB4_1430
.LBB4_1429:                             ;   in Loop: Header=BB4_1414 Depth=2
	v_and_b32_e32 v25, 3, v10
	v_bfe_u32 v83, v10, 2, 5
	s_delay_alu instid0(VALU_DEP_2) | instskip(NEXT) | instid1(VALU_DEP_2)
	v_clz_i32_u32_e32 v64, v25
	v_cmp_eq_u32_e64 s10, 0, v83
	s_delay_alu instid0(VALU_DEP_2) | instskip(NEXT) | instid1(VALU_DEP_1)
	v_min_u32_e32 v64, 32, v64
	v_subrev_nc_u32_e32 v82, 29, v64
	s_delay_alu instid0(VALU_DEP_1) | instskip(SKIP_1) | instid1(VALU_DEP_1)
	v_lshlrev_b64_e32 v[102:103], v82, v[10:11]
	v_dual_lshlrev_b32 v82, 24, v10 :: v_dual_sub_nc_u32 v64, 30, v64
	v_and_b32_e32 v82, 0x80000000, v82
	s_delay_alu instid0(VALU_DEP_2) | instskip(SKIP_1) | instid1(VALU_DEP_2)
	v_dual_cndmask_b32 v64, v83, v64, s10 :: v_dual_bitop2_b32 v97, 3, v102 bitop3:0x40
	v_bfe_i32 v83, v10, 0, 8
	v_cndmask_b32_e64 v97, v25, v97, s10
	s_delay_alu instid0(VALU_DEP_3) | instskip(NEXT) | instid1(VALU_DEP_3)
	v_lshl_add_u32 v64, v64, 23, v82
	v_cmp_lt_i16_e64 s10, -1, v83
	v_and_b32_e32 v83, 0x7c, v10
	s_delay_alu instid0(VALU_DEP_3) | instskip(NEXT) | instid1(VALU_DEP_3)
	v_lshl_or_b32 v64, v97, 21, v64
	v_cndmask_b32_e64 v82, 0xff800000, v126, s10
	v_cmp_eq_u32_e64 s10, 0, v25
	s_delay_alu instid0(VALU_DEP_3) | instskip(NEXT) | instid1(VALU_DEP_2)
	v_add_nc_u32_e32 v64, 0x38000000, v64
	v_cndmask_b32_e64 v25, 0x7f800001, v82, s10
	v_cmp_eq_u32_e64 s10, 0x7c, v83
	s_delay_alu instid0(VALU_DEP_1)
	v_cndmask_b32_e64 v25, v64, v25, s10
.LBB4_1430:                             ;   in Loop: Header=BB4_1414 Depth=2
	s_or_b32 exec_lo, exec_lo, s11
	s_delay_alu instid0(VALU_DEP_1) | instskip(SKIP_1) | instid1(VALU_DEP_1)
	v_dual_mul_f32 v24, v24, v25 :: v_dual_mov_b32 v103, v65
                                        ; implicit-def: $vgpr97
	s_mov_b32 s11, exec_lo
	v_and_b32_e32 v102, 0x7f800000, v24
	v_and_b32_e32 v64, 0x7fffff, v24
	v_lshrrev_b32_e32 v25, 24, v24
	s_delay_alu instid0(VALU_DEP_3)
	v_cmpx_ne_u64_e32 0x7f800000, v[102:103]
	s_xor_b32 s27, exec_lo, s11
	s_cbranch_execz .LBB4_1444
; %bb.1431:                             ;   in Loop: Header=BB4_1414 Depth=2
	v_and_b32_e32 v102, 0x7fffffff, v24
	v_mov_b32_e32 v103, v65
	v_and_b32_e32 v112, 0x80, v25
                                        ; implicit-def: $vgpr97
	s_mov_b32 s11, exec_lo
	s_delay_alu instid0(VALU_DEP_2)
	v_cmpx_gt_u64_e32 0x47600001, v[102:103]
	s_xor_b32 s28, exec_lo, s11
	s_cbranch_execz .LBB4_1441
; %bb.1432:                             ;   in Loop: Header=BB4_1414 Depth=2
	v_mov_b32_e32 v97, 0
	s_mov_b32 s29, exec_lo
	v_cmpx_ne_u32_e32 0, v24
	s_cbranch_execz .LBB4_1440
; %bb.1433:                             ;   in Loop: Header=BB4_1414 Depth=2
	v_bfe_u32 v97, v24, 23, 8
	v_or_b32_e32 v82, 0x800000, v64
	s_delay_alu instid0(VALU_DEP_2) | instskip(SKIP_1) | instid1(VALU_DEP_1)
	v_sub_nc_u32_e32 v24, 0x71, v97
	v_cmp_gt_u32_e64 s10, 0x72, v97
	v_cndmask_b32_e64 v24, 0, v24, s10
	v_cmp_eq_u32_e64 s10, 0, v97
	s_delay_alu instid0(VALU_DEP_1) | instskip(NEXT) | instid1(VALU_DEP_1)
	v_cndmask_b32_e64 v113, v24, 0x70, s10
	v_dual_cndmask_b32 v64, v82, v64, s10 :: v_dual_add_nc_u32 v24, 21, v113
	v_add_nc_u32_e32 v83, 20, v113
	s_delay_alu instid0(VALU_DEP_2) | instskip(NEXT) | instid1(VALU_DEP_2)
	v_lshlrev_b64_e64 v[24:25], v24, -1
	v_lshlrev_b64_e64 v[102:103], v83, 1
	s_delay_alu instid0(VALU_DEP_2) | instskip(NEXT) | instid1(VALU_DEP_3)
	v_bfi_b32 v115, v25, 0, 0
	v_bfi_b32 v114, v24, 0, v64
	v_lshrrev_b64 v[24:25], v113, v[64:65]
	s_delay_alu instid0(VALU_DEP_2) | instskip(NEXT) | instid1(VALU_DEP_2)
	v_cmp_eq_u64_e64 s11, v[114:115], v[102:103]
	v_mov_b64_e32 v[102:103], v[24:25]
	s_and_saveexec_b32 s40, s11
; %bb.1434:                             ;   in Loop: Header=BB4_1414 Depth=2
	v_bfe_u32 v64, v24, 21, 1
	s_delay_alu instid0(VALU_DEP_1) | instskip(NEXT) | instid1(VALU_DEP_1)
	v_add_nc_u64_e32 v[102:103], v[24:25], v[64:65]
	v_add_nc_u64_e32 v[102:103], -1, v[102:103]
; %bb.1435:                             ;   in Loop: Header=BB4_1414 Depth=2
	s_or_b32 exec_lo, exec_lo, s40
	v_add_nc_u32_e32 v25, 0xffffff81, v97
	v_lshrrev_b32_e32 v64, 23, v24
	s_mov_b32 s11, exec_lo
                                        ; implicit-def: $vgpr97
	s_delay_alu instid0(VALU_DEP_2) | instskip(NEXT) | instid1(VALU_DEP_1)
	v_cndmask_b32_e64 v25, v25, 0xffffff82, s10
	v_add3_u32 v103, v113, v25, v64
	v_and_b32_e32 v25, 0x1fffff, v102
	s_delay_alu instid0(VALU_DEP_1) | instskip(NEXT) | instid1(VALU_DEP_1)
	v_dual_add_nc_u32 v102, 14, v103 :: v_dual_add_nc_u32 v64, v25, v24
                                        ; implicit-def: $vgpr24_vgpr25
	v_cmpx_ne_u32_e32 0, v102
	s_xor_b32 s11, exec_lo, s11
; %bb.1436:                             ;   in Loop: Header=BB4_1414 Depth=2
	s_delay_alu instid0(VALU_DEP_2) | instskip(SKIP_1) | instid1(VALU_DEP_1)
	v_cmp_lt_u64_e64 s10, 0xffffff, v[64:65]
	v_add_nc_u32_e32 v24, 15, v103
	v_cndmask_b32_e64 v97, v102, v24, s10
	v_cndmask_b32_e64 v24, 0, 1, s10
	s_delay_alu instid0(VALU_DEP_1)
	v_lshrrev_b64 v[24:25], v24, v[64:65]
; %bb.1437:                             ;   in Loop: Header=BB4_1414 Depth=2
	s_and_not1_saveexec_b32 s10, s11
; %bb.1438:                             ;   in Loop: Header=BB4_1414 Depth=2
	v_mov_b64_e32 v[24:25], v[64:65]
	v_bfe_u32 v97, v64, 23, 1
; %bb.1439:                             ;   in Loop: Header=BB4_1414 Depth=2
	s_or_b32 exec_lo, exec_lo, s10
	s_delay_alu instid0(VALU_DEP_2) | instskip(NEXT) | instid1(VALU_DEP_2)
	v_lshrrev_b64 v[24:25], 21, v[24:25]
	v_cmp_gt_i32_e64 s10, 32, v97
	v_min_i32_e32 v64, 31, v97
	v_cmp_eq_u32_e64 s11, 0, v97
	s_delay_alu instid0(VALU_DEP_3) | instskip(NEXT) | instid1(VALU_DEP_3)
	v_cndmask_b32_e64 v24, 3, v24, s10
	v_dual_lshlrev_b32 v64, 2, v64 :: v_dual_cndmask_b32 v25, 0, v25, s10
	s_delay_alu instid0(VALU_DEP_1) | instskip(NEXT) | instid1(VALU_DEP_2)
	v_and_b32_e32 v64, 0xfc, v64
	v_cmp_eq_u64_e64 s10, 0, v[24:25]
	s_delay_alu instid0(VALU_DEP_2)
	v_and_or_b32 v24, v24, 3, v64
	s_and_b32 s10, s11, s10
	s_delay_alu instid0(VALU_DEP_1) | instid1(SALU_CYCLE_1)
	v_cndmask_b32_e64 v24, v24, 0, s10
	s_delay_alu instid0(VALU_DEP_1)
	v_or_b32_e32 v97, v24, v112
.LBB4_1440:                             ;   in Loop: Header=BB4_1414 Depth=2
	s_or_b32 exec_lo, exec_lo, s29
                                        ; implicit-def: $vgpr112
.LBB4_1441:                             ;   in Loop: Header=BB4_1414 Depth=2
	s_and_not1_saveexec_b32 s10, s28
; %bb.1442:                             ;   in Loop: Header=BB4_1414 Depth=2
	v_or_b32_e32 v97, 0x7b, v112
; %bb.1443:                             ;   in Loop: Header=BB4_1414 Depth=2
	s_or_b32 exec_lo, exec_lo, s10
                                        ; implicit-def: $vgpr24
                                        ; implicit-def: $vgpr25
.LBB4_1444:                             ;   in Loop: Header=BB4_1414 Depth=2
	s_and_not1_saveexec_b32 s11, s27
	s_cbranch_execz .LBB4_1450
; %bb.1445:                             ;   in Loop: Header=BB4_1414 Depth=2
	v_cmp_ne_u64_e64 s10, 0, v[64:65]
                                        ; implicit-def: $vgpr97
	s_and_saveexec_b32 s27, s10
	s_delay_alu instid0(SALU_CYCLE_1)
	s_xor_b32 s10, exec_lo, s27
; %bb.1446:                             ;   in Loop: Header=BB4_1414 Depth=2
	v_or_b32_e32 v97, 0x7f, v25
                                        ; implicit-def: $vgpr24
; %bb.1447:                             ;   in Loop: Header=BB4_1414 Depth=2
	s_and_not1_saveexec_b32 s27, s10
; %bb.1448:                             ;   in Loop: Header=BB4_1414 Depth=2
	v_cmp_lt_i32_e64 s10, -1, v24
	s_delay_alu instid0(VALU_DEP_1)
	v_cndmask_b32_e64 v97, 0xfc, v68, s10
; %bb.1449:                             ;   in Loop: Header=BB4_1414 Depth=2
	s_or_b32 exec_lo, exec_lo, s27
.LBB4_1450:                             ;   in Loop: Header=BB4_1414 Depth=2
	s_delay_alu instid0(SALU_CYCLE_1) | instskip(SKIP_3) | instid1(VALU_DEP_2)
	s_or_b32 exec_lo, exec_lo, s11
	v_lshrrev_b16 v64, 8, v14
	v_mov_b32_e32 v24, 0
	s_mov_b32 s11, exec_lo
	v_cmpx_ne_u16_e32 0, v64
	s_cbranch_execz .LBB4_1460
; %bb.1451:                             ;   in Loop: Header=BB4_1414 Depth=2
	v_bfrev_b32_e32 v24, 1
	s_mov_b32 s27, exec_lo
	v_cmpx_ne_u16_e32 0x80, v64
	s_cbranch_execz .LBB4_1459
; %bb.1452:                             ;   in Loop: Header=BB4_1414 Depth=2
	v_and_b32_e32 v102, 0xffff, v64
	s_delay_alu instid0(VALU_DEP_1) | instskip(SKIP_1) | instid1(VALU_DEP_2)
	v_and_b32_e32 v24, 0x7c, v102
	v_and_b32_e32 v25, 3, v102
	v_cmp_ne_u32_e64 s10, 0x7c, v24
                                        ; implicit-def: $vgpr24
	s_and_saveexec_b32 s28, s10
	s_delay_alu instid0(SALU_CYCLE_1)
	s_xor_b32 s28, exec_lo, s28
	s_cbranch_execz .LBB4_1456
; %bb.1453:                             ;   in Loop: Header=BB4_1414 Depth=2
	v_bfe_u32 v24, v102, 2, 5
	s_mov_b32 s29, exec_lo
	s_delay_alu instid0(VALU_DEP_1)
	v_cmpx_eq_u32_e32 0, v24
; %bb.1454:                             ;   in Loop: Header=BB4_1414 Depth=2
	v_clz_i32_u32_e32 v24, v25
	s_delay_alu instid0(VALU_DEP_1) | instskip(NEXT) | instid1(VALU_DEP_1)
	v_min_u32_e32 v24, 32, v24
	v_subrev_nc_u32_e32 v25, 29, v24
	s_delay_alu instid0(VALU_DEP_1) | instskip(NEXT) | instid1(VALU_DEP_1)
	v_lshlrev_b64_e32 v[102:103], v25, v[64:65]
	v_dual_sub_nc_u32 v24, 30, v24 :: v_dual_bitop2_b32 v25, 3, v102 bitop3:0x40
; %bb.1455:                             ;   in Loop: Header=BB4_1414 Depth=2
	s_or_b32 exec_lo, exec_lo, s29
	v_lshlrev_b32_e32 v64, 16, v14
	s_delay_alu instid0(VALU_DEP_1) | instskip(NEXT) | instid1(VALU_DEP_1)
	v_and_b32_e32 v64, 0x80000000, v64
	v_lshl_add_u32 v24, v24, 23, v64
	s_delay_alu instid0(VALU_DEP_1) | instskip(NEXT) | instid1(VALU_DEP_1)
	v_lshl_or_b32 v24, v25, 21, v24
                                        ; implicit-def: $vgpr25
	v_add_nc_u32_e32 v24, 0x38000000, v24
.LBB4_1456:                             ;   in Loop: Header=BB4_1414 Depth=2
	s_and_not1_saveexec_b32 s28, s28
; %bb.1457:                             ;   in Loop: Header=BB4_1414 Depth=2
	v_cmp_lt_i16_e64 s10, -1, v14
	s_delay_alu instid0(VALU_DEP_1) | instskip(SKIP_1) | instid1(VALU_DEP_1)
	v_cndmask_b32_e64 v24, 0xff800000, v126, s10
	v_cmp_eq_u32_e64 s10, 0, v25
	v_cndmask_b32_e64 v24, 0x7f800001, v24, s10
; %bb.1458:                             ;   in Loop: Header=BB4_1414 Depth=2
	s_or_b32 exec_lo, exec_lo, s28
.LBB4_1459:                             ;   in Loop: Header=BB4_1414 Depth=2
	s_delay_alu instid0(SALU_CYCLE_1)
	s_or_b32 exec_lo, exec_lo, s27
.LBB4_1460:                             ;   in Loop: Header=BB4_1414 Depth=2
	s_delay_alu instid0(SALU_CYCLE_1) | instskip(SKIP_3) | instid1(VALU_DEP_1)
	s_or_b32 exec_lo, exec_lo, s11
	v_lshrrev_b16 v64, 8, v10
	s_mov_b32 s27, 0
	s_mov_b32 s11, exec_lo
	v_cmpx_lt_i16_e32 0x7f, v64
	s_xor_b32 s11, exec_lo, s11
	s_cbranch_execz .LBB4_1967
; %bb.1461:                             ;   in Loop: Header=BB4_1414 Depth=2
	s_mov_b32 s27, -1
	s_mov_b32 s28, exec_lo
	v_cmpx_eq_u16_e32 0x80, v64
; %bb.1462:                             ;   in Loop: Header=BB4_1414 Depth=2
	s_xor_b32 s27, exec_lo, -1
; %bb.1463:                             ;   in Loop: Header=BB4_1414 Depth=2
	s_or_b32 exec_lo, exec_lo, s28
	s_delay_alu instid0(SALU_CYCLE_1)
	s_and_b32 s27, s27, exec_lo
	s_or_saveexec_b32 s11, s11
	v_bfrev_b32_e32 v25, 1
	s_xor_b32 exec_lo, exec_lo, s11
	s_cbranch_execnz .LBB4_1968
.LBB4_1464:                             ;   in Loop: Header=BB4_1414 Depth=2
	s_or_b32 exec_lo, exec_lo, s11
	s_and_saveexec_b32 s11, s27
	s_cbranch_execz .LBB4_1466
.LBB4_1465:                             ;   in Loop: Header=BB4_1414 Depth=2
	v_and_b32_e32 v25, 0xffff, v64
	s_delay_alu instid0(VALU_DEP_1) | instskip(NEXT) | instid1(VALU_DEP_1)
	v_and_b32_e32 v82, 3, v25
	v_clz_i32_u32_e32 v83, v82
	s_delay_alu instid0(VALU_DEP_1) | instskip(NEXT) | instid1(VALU_DEP_1)
	v_min_u32_e32 v83, 32, v83
	v_subrev_nc_u32_e32 v102, 29, v83
	s_delay_alu instid0(VALU_DEP_1) | instskip(SKIP_3) | instid1(VALU_DEP_3)
	v_lshlrev_b64_e32 v[102:103], v102, v[64:65]
	v_bfe_u32 v103, v25, 2, 5
	v_dual_lshlrev_b32 v64, 24, v64 :: v_dual_sub_nc_u32 v83, 30, v83
	v_and_b32_e32 v25, 0x7c, v25
	v_cmp_eq_u32_e64 s10, 0, v103
	s_delay_alu instid0(VALU_DEP_3) | instskip(NEXT) | instid1(VALU_DEP_2)
	v_and_b32_e32 v64, 0x80000000, v64
	v_dual_cndmask_b32 v83, v103, v83, s10 :: v_dual_bitop2_b32 v102, 3, v102 bitop3:0x40
	s_delay_alu instid0(VALU_DEP_1) | instskip(SKIP_1) | instid1(VALU_DEP_3)
	v_cndmask_b32_e64 v102, v82, v102, s10
	v_cmp_lt_i16_e64 s10, -1, v10
	v_lshl_add_u32 v64, v83, 23, v64
	s_delay_alu instid0(VALU_DEP_2) | instskip(SKIP_1) | instid1(VALU_DEP_3)
	v_cndmask_b32_e64 v83, 0xff800000, v126, s10
	v_cmp_eq_u32_e64 s10, 0, v82
	v_lshl_or_b32 v64, v102, 21, v64
	s_delay_alu instid0(VALU_DEP_2) | instskip(NEXT) | instid1(VALU_DEP_2)
	v_cndmask_b32_e64 v82, 0x7f800001, v83, s10
	v_add_nc_u32_e32 v64, 0x38000000, v64
	v_cmp_eq_u32_e64 s10, 0x7c, v25
	s_delay_alu instid0(VALU_DEP_1)
	v_cndmask_b32_e64 v25, v64, v82, s10
.LBB4_1466:                             ;   in Loop: Header=BB4_1414 Depth=2
	s_or_b32 exec_lo, exec_lo, s11
	s_delay_alu instid0(VALU_DEP_1) | instskip(SKIP_1) | instid1(VALU_DEP_1)
	v_dual_mul_f32 v24, v24, v25 :: v_dual_mov_b32 v103, v65
                                        ; implicit-def: $vgpr114
	s_mov_b32 s11, exec_lo
	v_and_b32_e32 v102, 0x7f800000, v24
	v_and_b32_e32 v64, 0x7fffff, v24
	v_lshrrev_b32_e32 v25, 24, v24
	s_delay_alu instid0(VALU_DEP_3)
	v_cmpx_ne_u64_e32 0x7f800000, v[102:103]
	s_xor_b32 s27, exec_lo, s11
	s_cbranch_execz .LBB4_1480
; %bb.1467:                             ;   in Loop: Header=BB4_1414 Depth=2
	v_and_b32_e32 v102, 0x7fffffff, v24
	v_mov_b32_e32 v103, v65
	v_and_b32_e32 v112, 0x80, v25
                                        ; implicit-def: $vgpr114
	s_mov_b32 s11, exec_lo
	s_delay_alu instid0(VALU_DEP_2)
	v_cmpx_gt_u64_e32 0x47600001, v[102:103]
	s_xor_b32 s28, exec_lo, s11
	s_cbranch_execz .LBB4_1477
; %bb.1468:                             ;   in Loop: Header=BB4_1414 Depth=2
	v_mov_b32_e32 v114, 0
	s_mov_b32 s29, exec_lo
	v_cmpx_ne_u32_e32 0, v24
	s_cbranch_execz .LBB4_1476
; %bb.1469:                             ;   in Loop: Header=BB4_1414 Depth=2
	v_bfe_u32 v113, v24, 23, 8
	v_or_b32_e32 v82, 0x800000, v64
	s_delay_alu instid0(VALU_DEP_2) | instskip(SKIP_1) | instid1(VALU_DEP_1)
	v_sub_nc_u32_e32 v24, 0x71, v113
	v_cmp_gt_u32_e64 s10, 0x72, v113
	v_cndmask_b32_e64 v24, 0, v24, s10
	v_cmp_eq_u32_e64 s10, 0, v113
	s_delay_alu instid0(VALU_DEP_1) | instskip(NEXT) | instid1(VALU_DEP_1)
	v_cndmask_b32_e64 v114, v24, 0x70, s10
	v_dual_cndmask_b32 v64, v82, v64, s10 :: v_dual_add_nc_u32 v24, 21, v114
	v_add_nc_u32_e32 v83, 20, v114
	s_delay_alu instid0(VALU_DEP_2) | instskip(NEXT) | instid1(VALU_DEP_2)
	v_lshlrev_b64_e64 v[24:25], v24, -1
	v_lshlrev_b64_e64 v[102:103], v83, 1
	s_delay_alu instid0(VALU_DEP_2) | instskip(NEXT) | instid1(VALU_DEP_3)
	v_bfi_b32 v117, v25, 0, 0
	v_bfi_b32 v116, v24, 0, v64
	v_lshrrev_b64 v[24:25], v114, v[64:65]
	s_delay_alu instid0(VALU_DEP_2) | instskip(NEXT) | instid1(VALU_DEP_2)
	v_cmp_eq_u64_e64 s11, v[116:117], v[102:103]
	v_mov_b64_e32 v[102:103], v[24:25]
	s_and_saveexec_b32 s40, s11
; %bb.1470:                             ;   in Loop: Header=BB4_1414 Depth=2
	v_bfe_u32 v64, v24, 21, 1
	s_delay_alu instid0(VALU_DEP_1) | instskip(NEXT) | instid1(VALU_DEP_1)
	v_add_nc_u64_e32 v[102:103], v[24:25], v[64:65]
	v_add_nc_u64_e32 v[102:103], -1, v[102:103]
; %bb.1471:                             ;   in Loop: Header=BB4_1414 Depth=2
	s_or_b32 exec_lo, exec_lo, s40
	v_add_nc_u32_e32 v25, 0xffffff81, v113
	v_lshrrev_b32_e32 v64, 23, v24
	s_mov_b32 s11, exec_lo
	s_delay_alu instid0(VALU_DEP_2) | instskip(NEXT) | instid1(VALU_DEP_1)
	v_cndmask_b32_e64 v25, v25, 0xffffff82, s10
	v_add3_u32 v103, v114, v25, v64
	v_and_b32_e32 v25, 0x1fffff, v102
                                        ; implicit-def: $vgpr102
	s_delay_alu instid0(VALU_DEP_1) | instskip(NEXT) | instid1(VALU_DEP_1)
	v_dual_add_nc_u32 v113, 14, v103 :: v_dual_add_nc_u32 v64, v25, v24
                                        ; implicit-def: $vgpr24_vgpr25
	v_cmpx_ne_u32_e32 0, v113
	s_xor_b32 s11, exec_lo, s11
; %bb.1472:                             ;   in Loop: Header=BB4_1414 Depth=2
	s_delay_alu instid0(VALU_DEP_2) | instskip(SKIP_1) | instid1(VALU_DEP_1)
	v_cmp_lt_u64_e64 s10, 0xffffff, v[64:65]
	v_add_nc_u32_e32 v24, 15, v103
	v_cndmask_b32_e64 v102, v113, v24, s10
	v_cndmask_b32_e64 v24, 0, 1, s10
	s_delay_alu instid0(VALU_DEP_1)
	v_lshrrev_b64 v[24:25], v24, v[64:65]
; %bb.1473:                             ;   in Loop: Header=BB4_1414 Depth=2
	s_and_not1_saveexec_b32 s10, s11
; %bb.1474:                             ;   in Loop: Header=BB4_1414 Depth=2
	v_mov_b64_e32 v[24:25], v[64:65]
	v_bfe_u32 v102, v64, 23, 1
; %bb.1475:                             ;   in Loop: Header=BB4_1414 Depth=2
	s_or_b32 exec_lo, exec_lo, s10
	s_delay_alu instid0(VALU_DEP_2) | instskip(NEXT) | instid1(VALU_DEP_2)
	v_lshrrev_b64 v[24:25], 21, v[24:25]
	v_cmp_gt_i32_e64 s10, 32, v102
	v_min_i32_e32 v64, 31, v102
	v_cmp_eq_u32_e64 s11, 0, v102
	s_delay_alu instid0(VALU_DEP_2) | instskip(SKIP_1) | instid1(VALU_DEP_2)
	v_dual_cndmask_b32 v25, 0, v25, s10 :: v_dual_lshlrev_b32 v64, 2, v64
	v_cndmask_b32_e64 v24, 3, v24, s10
	v_and_b32_e32 v64, 0xfc, v64
	s_delay_alu instid0(VALU_DEP_2) | instskip(NEXT) | instid1(VALU_DEP_2)
	v_cmp_eq_u64_e64 s10, 0, v[24:25]
	v_and_or_b32 v24, v24, 3, v64
	s_and_b32 s10, s11, s10
	s_delay_alu instid0(VALU_DEP_1) | instid1(SALU_CYCLE_1)
	v_cndmask_b32_e64 v24, v24, 0, s10
	s_delay_alu instid0(VALU_DEP_1)
	v_or_b32_e32 v114, v24, v112
.LBB4_1476:                             ;   in Loop: Header=BB4_1414 Depth=2
	s_or_b32 exec_lo, exec_lo, s29
                                        ; implicit-def: $vgpr112
.LBB4_1477:                             ;   in Loop: Header=BB4_1414 Depth=2
	s_and_not1_saveexec_b32 s10, s28
; %bb.1478:                             ;   in Loop: Header=BB4_1414 Depth=2
	v_or_b32_e32 v114, 0x7b, v112
; %bb.1479:                             ;   in Loop: Header=BB4_1414 Depth=2
	s_or_b32 exec_lo, exec_lo, s10
                                        ; implicit-def: $vgpr24
                                        ; implicit-def: $vgpr25
.LBB4_1480:                             ;   in Loop: Header=BB4_1414 Depth=2
	s_and_not1_saveexec_b32 s11, s27
	s_cbranch_execz .LBB4_1486
; %bb.1481:                             ;   in Loop: Header=BB4_1414 Depth=2
	v_cmp_ne_u64_e64 s10, 0, v[64:65]
                                        ; implicit-def: $vgpr114
	s_and_saveexec_b32 s27, s10
	s_delay_alu instid0(SALU_CYCLE_1)
	s_xor_b32 s10, exec_lo, s27
; %bb.1482:                             ;   in Loop: Header=BB4_1414 Depth=2
	v_or_b32_e32 v114, 0x7f, v25
                                        ; implicit-def: $vgpr24
; %bb.1483:                             ;   in Loop: Header=BB4_1414 Depth=2
	s_and_not1_saveexec_b32 s27, s10
; %bb.1484:                             ;   in Loop: Header=BB4_1414 Depth=2
	v_cmp_lt_i32_e64 s10, -1, v24
	s_delay_alu instid0(VALU_DEP_1)
	v_cndmask_b32_e64 v114, 0xfc, v68, s10
; %bb.1485:                             ;   in Loop: Header=BB4_1414 Depth=2
	s_or_b32 exec_lo, exec_lo, s27
.LBB4_1486:                             ;   in Loop: Header=BB4_1414 Depth=2
	s_delay_alu instid0(SALU_CYCLE_1) | instskip(SKIP_2) | instid1(VALU_DEP_1)
	s_or_b32 exec_lo, exec_lo, s11
	v_dual_mov_b32 v25, 0 :: v_dual_lshrrev_b32 v24, 16, v14
	s_mov_b32 s11, exec_lo
	v_and_b32_e32 v64, 0xff, v24
	s_delay_alu instid0(VALU_DEP_1)
	v_cmpx_ne_u16_e32 0, v64
	s_cbranch_execz .LBB4_1496
; %bb.1487:                             ;   in Loop: Header=BB4_1414 Depth=2
	v_bfrev_b32_e32 v25, 1
	s_mov_b32 s27, exec_lo
	v_cmpx_ne_u16_e32 0x80, v64
	s_cbranch_execz .LBB4_1495
; %bb.1488:                             ;   in Loop: Header=BB4_1414 Depth=2
	v_and_b32_e32 v25, 0x7c0000, v14
	v_bfe_u32 v64, v14, 16, 2
	s_delay_alu instid0(VALU_DEP_2) | instskip(SKIP_1) | instid1(SALU_CYCLE_1)
	v_cmp_ne_u32_e64 s10, 0x7c0000, v25
                                        ; implicit-def: $vgpr25
	s_and_saveexec_b32 s28, s10
	s_xor_b32 s28, exec_lo, s28
	s_cbranch_execz .LBB4_1492
; %bb.1489:                             ;   in Loop: Header=BB4_1414 Depth=2
	v_bfe_u32 v25, v14, 18, 5
	s_mov_b32 s29, exec_lo
	s_delay_alu instid0(VALU_DEP_1)
	v_cmpx_eq_u32_e32 0, v25
; %bb.1490:                             ;   in Loop: Header=BB4_1414 Depth=2
	v_clz_i32_u32_e32 v25, v64
	s_delay_alu instid0(VALU_DEP_1) | instskip(NEXT) | instid1(VALU_DEP_1)
	v_min_u32_e32 v25, 32, v25
	v_subrev_nc_u32_e32 v64, 29, v25
	s_delay_alu instid0(VALU_DEP_1) | instskip(NEXT) | instid1(VALU_DEP_1)
	v_lshlrev_b64_e32 v[102:103], v64, v[24:25]
	v_dual_sub_nc_u32 v25, 30, v25 :: v_dual_bitop2_b32 v64, 3, v102 bitop3:0x40
; %bb.1491:                             ;   in Loop: Header=BB4_1414 Depth=2
	s_or_b32 exec_lo, exec_lo, s29
	v_lshlrev_b32_e32 v24, 24, v24
	s_delay_alu instid0(VALU_DEP_1) | instskip(NEXT) | instid1(VALU_DEP_1)
	v_and_b32_e32 v24, 0x80000000, v24
	v_lshl_add_u32 v24, v25, 23, v24
	s_delay_alu instid0(VALU_DEP_1) | instskip(NEXT) | instid1(VALU_DEP_1)
	v_lshl_or_b32 v24, v64, 21, v24
                                        ; implicit-def: $vgpr64
	v_add_nc_u32_e32 v25, 0x38000000, v24
                                        ; implicit-def: $vgpr24
.LBB4_1492:                             ;   in Loop: Header=BB4_1414 Depth=2
	s_and_not1_saveexec_b32 s28, s28
; %bb.1493:                             ;   in Loop: Header=BB4_1414 Depth=2
	v_bfe_i32 v24, v24, 0, 8
	s_delay_alu instid0(VALU_DEP_1) | instskip(NEXT) | instid1(VALU_DEP_1)
	v_cmp_lt_i16_e64 s10, -1, v24
	v_cndmask_b32_e64 v24, 0xff800000, v126, s10
	v_cmp_eq_u32_e64 s10, 0, v64
	s_delay_alu instid0(VALU_DEP_1)
	v_cndmask_b32_e64 v25, 0x7f800001, v24, s10
; %bb.1494:                             ;   in Loop: Header=BB4_1414 Depth=2
	s_or_b32 exec_lo, exec_lo, s28
.LBB4_1495:                             ;   in Loop: Header=BB4_1414 Depth=2
	s_delay_alu instid0(SALU_CYCLE_1)
	s_or_b32 exec_lo, exec_lo, s27
.LBB4_1496:                             ;   in Loop: Header=BB4_1414 Depth=2
	s_delay_alu instid0(SALU_CYCLE_1) | instskip(SKIP_3) | instid1(VALU_DEP_1)
	s_or_b32 exec_lo, exec_lo, s11
	v_lshrrev_b32_e32 v24, 16, v10
	s_mov_b32 s27, 0
	s_mov_b32 s11, exec_lo
	v_and_b32_e32 v102, 0xff, v24
	s_delay_alu instid0(VALU_DEP_1)
	v_cmpx_lt_i16_e32 0x7f, v102
	s_xor_b32 s11, exec_lo, s11
	s_cbranch_execz .LBB4_1969
; %bb.1497:                             ;   in Loop: Header=BB4_1414 Depth=2
	s_mov_b32 s27, -1
	s_mov_b32 s28, exec_lo
	v_cmpx_eq_u16_e32 0x80, v102
; %bb.1498:                             ;   in Loop: Header=BB4_1414 Depth=2
	s_xor_b32 s27, exec_lo, -1
; %bb.1499:                             ;   in Loop: Header=BB4_1414 Depth=2
	s_or_b32 exec_lo, exec_lo, s28
	s_delay_alu instid0(SALU_CYCLE_1)
	s_and_b32 s27, s27, exec_lo
                                        ; implicit-def: $vgpr102
	s_or_saveexec_b32 s11, s11
	v_bfrev_b32_e32 v64, 1
	s_xor_b32 exec_lo, exec_lo, s11
	s_cbranch_execnz .LBB4_1970
.LBB4_1500:                             ;   in Loop: Header=BB4_1414 Depth=2
	s_or_b32 exec_lo, exec_lo, s11
	s_and_saveexec_b32 s11, s27
	s_cbranch_execz .LBB4_1502
.LBB4_1501:                             ;   in Loop: Header=BB4_1414 Depth=2
	v_and_b32_e32 v64, 3, v24
	s_delay_alu instid0(VALU_DEP_1) | instskip(NEXT) | instid1(VALU_DEP_1)
	v_clz_i32_u32_e32 v82, v64
	v_min_u32_e32 v82, 32, v82
	s_delay_alu instid0(VALU_DEP_1) | instskip(SKIP_1) | instid1(VALU_DEP_2)
	v_subrev_nc_u32_e32 v83, 29, v82
	v_sub_nc_u32_e32 v82, 30, v82
	v_lshlrev_b64_e32 v[102:103], v83, v[24:25]
	v_bfe_u32 v103, v10, 18, 5
	v_lshlrev_b32_e32 v83, 24, v24
	v_bfe_i32 v24, v24, 0, 8
	s_delay_alu instid0(VALU_DEP_3) | instskip(NEXT) | instid1(VALU_DEP_3)
	v_cmp_eq_u32_e64 s10, 0, v103
	v_and_b32_e32 v83, 0x80000000, v83
	v_and_b32_e32 v102, 3, v102
	s_delay_alu instid0(VALU_DEP_3) | instskip(NEXT) | instid1(VALU_DEP_2)
	v_cndmask_b32_e64 v82, v103, v82, s10
	v_cndmask_b32_e64 v102, v64, v102, s10
	v_cmp_lt_i16_e64 s10, -1, v24
	s_delay_alu instid0(VALU_DEP_3) | instskip(SKIP_1) | instid1(VALU_DEP_3)
	v_lshl_add_u32 v82, v82, 23, v83
	v_and_b32_e32 v83, 0x7c0000, v10
	v_cndmask_b32_e64 v24, 0xff800000, v126, s10
	v_cmp_eq_u32_e64 s10, 0, v64
	s_delay_alu instid0(VALU_DEP_4) | instskip(NEXT) | instid1(VALU_DEP_2)
	v_lshl_or_b32 v82, v102, 21, v82
	v_cndmask_b32_e64 v24, 0x7f800001, v24, s10
	s_delay_alu instid0(VALU_DEP_2) | instskip(SKIP_1) | instid1(VALU_DEP_1)
	v_add_nc_u32_e32 v64, 0x38000000, v82
	v_cmp_eq_u32_e64 s10, 0x7c0000, v83
	v_cndmask_b32_e64 v64, v64, v24, s10
.LBB4_1502:                             ;   in Loop: Header=BB4_1414 Depth=2
	s_or_b32 exec_lo, exec_lo, s11
	s_delay_alu instid0(VALU_DEP_1) | instskip(SKIP_2) | instid1(VALU_DEP_2)
	v_mul_f32_e32 v24, v25, v64
	v_mov_b32_e32 v103, v65
                                        ; implicit-def: $vgpr115
	s_mov_b32 s11, exec_lo
	v_and_b32_e32 v102, 0x7f800000, v24
	v_and_b32_e32 v64, 0x7fffff, v24
	v_lshrrev_b32_e32 v25, 24, v24
	s_delay_alu instid0(VALU_DEP_3)
	v_cmpx_ne_u64_e32 0x7f800000, v[102:103]
	s_xor_b32 s27, exec_lo, s11
	s_cbranch_execz .LBB4_1516
; %bb.1503:                             ;   in Loop: Header=BB4_1414 Depth=2
	v_and_b32_e32 v102, 0x7fffffff, v24
	v_mov_b32_e32 v103, v65
	v_and_b32_e32 v112, 0x80, v25
                                        ; implicit-def: $vgpr115
	s_mov_b32 s11, exec_lo
	s_delay_alu instid0(VALU_DEP_2)
	v_cmpx_gt_u64_e32 0x47600001, v[102:103]
	s_xor_b32 s28, exec_lo, s11
	s_cbranch_execz .LBB4_1513
; %bb.1504:                             ;   in Loop: Header=BB4_1414 Depth=2
	v_mov_b32_e32 v115, 0
	s_mov_b32 s29, exec_lo
	v_cmpx_ne_u32_e32 0, v24
	s_cbranch_execz .LBB4_1512
; %bb.1505:                             ;   in Loop: Header=BB4_1414 Depth=2
	v_bfe_u32 v113, v24, 23, 8
	v_or_b32_e32 v82, 0x800000, v64
	s_delay_alu instid0(VALU_DEP_2) | instskip(SKIP_1) | instid1(VALU_DEP_1)
	v_sub_nc_u32_e32 v24, 0x71, v113
	v_cmp_gt_u32_e64 s10, 0x72, v113
	v_cndmask_b32_e64 v24, 0, v24, s10
	v_cmp_eq_u32_e64 s10, 0, v113
	s_delay_alu instid0(VALU_DEP_1) | instskip(NEXT) | instid1(VALU_DEP_1)
	v_cndmask_b32_e64 v115, v24, 0x70, s10
	v_dual_cndmask_b32 v64, v82, v64, s10 :: v_dual_add_nc_u32 v24, 21, v115
	v_add_nc_u32_e32 v83, 20, v115
	s_delay_alu instid0(VALU_DEP_2) | instskip(NEXT) | instid1(VALU_DEP_2)
	v_lshlrev_b64_e64 v[24:25], v24, -1
	v_lshlrev_b64_e64 v[102:103], v83, 1
	s_delay_alu instid0(VALU_DEP_2) | instskip(NEXT) | instid1(VALU_DEP_3)
	v_bfi_b32 v117, v25, 0, 0
	v_bfi_b32 v116, v24, 0, v64
	v_lshrrev_b64 v[24:25], v115, v[64:65]
	s_delay_alu instid0(VALU_DEP_2) | instskip(NEXT) | instid1(VALU_DEP_2)
	v_cmp_eq_u64_e64 s11, v[116:117], v[102:103]
	v_mov_b64_e32 v[102:103], v[24:25]
	s_and_saveexec_b32 s40, s11
; %bb.1506:                             ;   in Loop: Header=BB4_1414 Depth=2
	v_bfe_u32 v64, v24, 21, 1
	s_delay_alu instid0(VALU_DEP_1) | instskip(NEXT) | instid1(VALU_DEP_1)
	v_add_nc_u64_e32 v[102:103], v[24:25], v[64:65]
	v_add_nc_u64_e32 v[102:103], -1, v[102:103]
; %bb.1507:                             ;   in Loop: Header=BB4_1414 Depth=2
	s_or_b32 exec_lo, exec_lo, s40
	v_add_nc_u32_e32 v25, 0xffffff81, v113
	v_lshrrev_b32_e32 v64, 23, v24
	s_mov_b32 s11, exec_lo
	s_delay_alu instid0(VALU_DEP_2) | instskip(NEXT) | instid1(VALU_DEP_1)
	v_cndmask_b32_e64 v25, v25, 0xffffff82, s10
	v_add3_u32 v103, v115, v25, v64
	v_and_b32_e32 v25, 0x1fffff, v102
                                        ; implicit-def: $vgpr102
	s_delay_alu instid0(VALU_DEP_1) | instskip(NEXT) | instid1(VALU_DEP_1)
	v_dual_add_nc_u32 v113, 14, v103 :: v_dual_add_nc_u32 v64, v25, v24
                                        ; implicit-def: $vgpr24_vgpr25
	v_cmpx_ne_u32_e32 0, v113
	s_xor_b32 s11, exec_lo, s11
; %bb.1508:                             ;   in Loop: Header=BB4_1414 Depth=2
	s_delay_alu instid0(VALU_DEP_2) | instskip(SKIP_1) | instid1(VALU_DEP_1)
	v_cmp_lt_u64_e64 s10, 0xffffff, v[64:65]
	v_add_nc_u32_e32 v24, 15, v103
	v_cndmask_b32_e64 v102, v113, v24, s10
	v_cndmask_b32_e64 v24, 0, 1, s10
	s_delay_alu instid0(VALU_DEP_1)
	v_lshrrev_b64 v[24:25], v24, v[64:65]
; %bb.1509:                             ;   in Loop: Header=BB4_1414 Depth=2
	s_and_not1_saveexec_b32 s10, s11
; %bb.1510:                             ;   in Loop: Header=BB4_1414 Depth=2
	v_mov_b64_e32 v[24:25], v[64:65]
	v_bfe_u32 v102, v64, 23, 1
; %bb.1511:                             ;   in Loop: Header=BB4_1414 Depth=2
	s_or_b32 exec_lo, exec_lo, s10
	s_delay_alu instid0(VALU_DEP_2) | instskip(NEXT) | instid1(VALU_DEP_2)
	v_lshrrev_b64 v[24:25], 21, v[24:25]
	v_cmp_gt_i32_e64 s10, 32, v102
	v_min_i32_e32 v64, 31, v102
	v_cmp_eq_u32_e64 s11, 0, v102
	s_delay_alu instid0(VALU_DEP_2) | instskip(SKIP_1) | instid1(VALU_DEP_2)
	v_dual_cndmask_b32 v25, 0, v25, s10 :: v_dual_lshlrev_b32 v64, 2, v64
	v_cndmask_b32_e64 v24, 3, v24, s10
	v_and_b32_e32 v64, 0xfc, v64
	s_delay_alu instid0(VALU_DEP_2) | instskip(NEXT) | instid1(VALU_DEP_2)
	v_cmp_eq_u64_e64 s10, 0, v[24:25]
	v_and_or_b32 v24, v24, 3, v64
	s_and_b32 s10, s11, s10
	s_delay_alu instid0(VALU_DEP_1) | instid1(SALU_CYCLE_1)
	v_cndmask_b32_e64 v24, v24, 0, s10
	s_delay_alu instid0(VALU_DEP_1)
	v_or_b32_e32 v115, v24, v112
.LBB4_1512:                             ;   in Loop: Header=BB4_1414 Depth=2
	s_or_b32 exec_lo, exec_lo, s29
                                        ; implicit-def: $vgpr112
.LBB4_1513:                             ;   in Loop: Header=BB4_1414 Depth=2
	s_and_not1_saveexec_b32 s10, s28
; %bb.1514:                             ;   in Loop: Header=BB4_1414 Depth=2
	v_or_b32_e32 v115, 0x7b, v112
; %bb.1515:                             ;   in Loop: Header=BB4_1414 Depth=2
	s_or_b32 exec_lo, exec_lo, s10
                                        ; implicit-def: $vgpr24
                                        ; implicit-def: $vgpr25
.LBB4_1516:                             ;   in Loop: Header=BB4_1414 Depth=2
	s_and_not1_saveexec_b32 s11, s27
	s_cbranch_execz .LBB4_1522
; %bb.1517:                             ;   in Loop: Header=BB4_1414 Depth=2
	v_cmp_ne_u64_e64 s10, 0, v[64:65]
                                        ; implicit-def: $vgpr115
	s_and_saveexec_b32 s27, s10
	s_delay_alu instid0(SALU_CYCLE_1)
	s_xor_b32 s10, exec_lo, s27
; %bb.1518:                             ;   in Loop: Header=BB4_1414 Depth=2
	v_or_b32_e32 v115, 0x7f, v25
                                        ; implicit-def: $vgpr24
; %bb.1519:                             ;   in Loop: Header=BB4_1414 Depth=2
	s_and_not1_saveexec_b32 s27, s10
; %bb.1520:                             ;   in Loop: Header=BB4_1414 Depth=2
	v_cmp_lt_i32_e64 s10, -1, v24
	s_delay_alu instid0(VALU_DEP_1)
	v_cndmask_b32_e64 v115, 0xfc, v68, s10
; %bb.1521:                             ;   in Loop: Header=BB4_1414 Depth=2
	s_or_b32 exec_lo, exec_lo, s27
.LBB4_1522:                             ;   in Loop: Header=BB4_1414 Depth=2
	s_delay_alu instid0(SALU_CYCLE_1)
	s_or_b32 exec_lo, exec_lo, s11
	v_mov_b32_e32 v25, 0
	s_mov_b32 s11, exec_lo
	v_cmpx_lt_u32_e32 0xffffff, v14
	s_cbranch_execz .LBB4_1532
; %bb.1523:                             ;   in Loop: Header=BB4_1414 Depth=2
	v_lshrrev_b32_e32 v24, 24, v14
	v_bfrev_b32_e32 v25, 1
	s_mov_b32 s27, exec_lo
	s_delay_alu instid0(VALU_DEP_2)
	v_cmpx_ne_u32_e32 0x80, v24
	s_cbranch_execz .LBB4_1531
; %bb.1524:                             ;   in Loop: Header=BB4_1414 Depth=2
	v_and_b32_e32 v25, 0x7c000000, v14
	v_bfe_u32 v64, v14, 24, 2
	s_delay_alu instid0(VALU_DEP_2) | instskip(SKIP_1) | instid1(SALU_CYCLE_1)
	v_cmp_ne_u32_e64 s10, 0x7c000000, v25
                                        ; implicit-def: $vgpr25
	s_and_saveexec_b32 s28, s10
	s_xor_b32 s28, exec_lo, s28
	s_cbranch_execz .LBB4_1528
; %bb.1525:                             ;   in Loop: Header=BB4_1414 Depth=2
	v_bfe_u32 v25, v14, 26, 5
	s_mov_b32 s29, exec_lo
	s_delay_alu instid0(VALU_DEP_1)
	v_cmpx_eq_u32_e32 0, v25
; %bb.1526:                             ;   in Loop: Header=BB4_1414 Depth=2
	v_clz_i32_u32_e32 v25, v64
	s_delay_alu instid0(VALU_DEP_1) | instskip(NEXT) | instid1(VALU_DEP_1)
	v_min_u32_e32 v64, 32, v25
	v_subrev_nc_u32_e32 v25, 29, v64
	s_delay_alu instid0(VALU_DEP_1) | instskip(SKIP_1) | instid1(VALU_DEP_2)
	v_lshlrev_b64_e32 v[24:25], v25, v[24:25]
	v_sub_nc_u32_e32 v25, 30, v64
	v_and_b32_e32 v64, 3, v24
; %bb.1527:                             ;   in Loop: Header=BB4_1414 Depth=2
	s_or_b32 exec_lo, exec_lo, s29
	v_and_b32_e32 v24, 0x80000000, v14
	s_delay_alu instid0(VALU_DEP_1) | instskip(NEXT) | instid1(VALU_DEP_1)
	v_lshl_add_u32 v24, v25, 23, v24
	v_lshl_or_b32 v24, v64, 21, v24
                                        ; implicit-def: $vgpr64
	s_delay_alu instid0(VALU_DEP_1)
	v_add_nc_u32_e32 v25, 0x38000000, v24
.LBB4_1528:                             ;   in Loop: Header=BB4_1414 Depth=2
	s_and_not1_saveexec_b32 s28, s28
; %bb.1529:                             ;   in Loop: Header=BB4_1414 Depth=2
	v_cmp_lt_i32_e64 s10, -1, v14
	s_delay_alu instid0(VALU_DEP_1) | instskip(SKIP_1) | instid1(VALU_DEP_1)
	v_cndmask_b32_e64 v24, 0xff800000, v126, s10
	v_cmp_eq_u32_e64 s10, 0, v64
	v_cndmask_b32_e64 v25, 0x7f800001, v24, s10
; %bb.1530:                             ;   in Loop: Header=BB4_1414 Depth=2
	s_or_b32 exec_lo, exec_lo, s28
.LBB4_1531:                             ;   in Loop: Header=BB4_1414 Depth=2
	s_delay_alu instid0(SALU_CYCLE_1)
	s_or_b32 exec_lo, exec_lo, s27
.LBB4_1532:                             ;   in Loop: Header=BB4_1414 Depth=2
	s_delay_alu instid0(SALU_CYCLE_1) | instskip(SKIP_3) | instid1(VALU_DEP_2)
	s_or_b32 exec_lo, exec_lo, s11
	v_bfe_u32 v64, v10, 24, 2
	v_bfe_u32 v112, v10, 26, 5
                                        ; implicit-def: $vgpr116
	s_mov_b32 s11, exec_lo
	v_clz_i32_u32_e32 v24, v64
	s_delay_alu instid0(VALU_DEP_2) | instskip(NEXT) | instid1(VALU_DEP_2)
	v_cmp_eq_u32_e64 s10, 0, v112
	v_min_u32_e32 v82, 32, v24
	v_lshrrev_b32_e32 v24, 24, v10
	s_delay_alu instid0(VALU_DEP_2) | instskip(SKIP_1) | instid1(VALU_DEP_2)
	v_subrev_nc_u32_e32 v83, 29, v82
	v_sub_nc_u32_e32 v82, 30, v82
	v_lshlrev_b64_e32 v[102:103], v83, v[24:25]
	v_and_b32_e32 v83, 0x80000000, v10
	s_delay_alu instid0(VALU_DEP_3) | instskip(NEXT) | instid1(VALU_DEP_1)
	v_dual_cndmask_b32 v82, v112, v82, s10 :: v_dual_mov_b32 v103, v65
	v_lshl_add_u32 v82, v82, 23, v83
	s_delay_alu instid0(VALU_DEP_4) | instskip(NEXT) | instid1(VALU_DEP_1)
	v_and_b32_e32 v102, 3, v102
	v_cndmask_b32_e64 v83, v64, v102, s10
	v_cmp_lt_i32_e64 s10, -1, v10
	s_delay_alu instid0(VALU_DEP_2) | instskip(NEXT) | instid1(VALU_DEP_2)
	v_lshl_or_b32 v82, v83, 21, v82
	v_cndmask_b32_e64 v102, 0xff800000, v126, s10
	v_and_b32_e32 v83, 0x7c000000, v10
	v_cmp_eq_u32_e64 s10, 0, v64
	s_delay_alu instid0(VALU_DEP_4) | instskip(NEXT) | instid1(VALU_DEP_2)
	v_add_nc_u32_e32 v82, 0x38000000, v82
	v_cndmask_b32_e64 v64, 0x7f800001, v102, s10
	s_delay_alu instid0(VALU_DEP_4) | instskip(NEXT) | instid1(VALU_DEP_1)
	v_cmp_eq_u32_e64 s10, 0x7c000000, v83
	v_cndmask_b32_e64 v64, v82, v64, s10
	v_cmp_ne_u32_e64 s10, 0x80, v24
	s_delay_alu instid0(VALU_DEP_1) | instskip(SKIP_1) | instid1(VALU_DEP_1)
	v_cndmask_b32_e64 v24, 0x80000000, v64, s10
	v_cmp_lt_u32_e64 s10, 0xffffff, v10
	v_cndmask_b32_e64 v24, 0, v24, s10
	s_delay_alu instid0(VALU_DEP_1) | instskip(NEXT) | instid1(VALU_DEP_1)
	v_mul_f32_e32 v24, v24, v25
	v_and_b32_e32 v102, 0x7f800000, v24
	v_and_b32_e32 v64, 0x7fffff, v24
	v_lshrrev_b32_e32 v25, 24, v24
	s_delay_alu instid0(VALU_DEP_3)
	v_cmpx_ne_u64_e32 0x7f800000, v[102:103]
	s_xor_b32 s27, exec_lo, s11
	s_cbranch_execz .LBB4_1546
; %bb.1533:                             ;   in Loop: Header=BB4_1414 Depth=2
	v_and_b32_e32 v102, 0x7fffffff, v24
	v_mov_b32_e32 v103, v65
	v_and_b32_e32 v112, 0x80, v25
                                        ; implicit-def: $vgpr116
	s_mov_b32 s11, exec_lo
	s_delay_alu instid0(VALU_DEP_2)
	v_cmpx_gt_u64_e32 0x47600001, v[102:103]
	s_xor_b32 s28, exec_lo, s11
	s_cbranch_execz .LBB4_1543
; %bb.1534:                             ;   in Loop: Header=BB4_1414 Depth=2
	v_mov_b32_e32 v116, 0
	s_mov_b32 s29, exec_lo
	v_cmpx_ne_u32_e32 0, v24
	s_cbranch_execz .LBB4_1542
; %bb.1535:                             ;   in Loop: Header=BB4_1414 Depth=2
	v_bfe_u32 v113, v24, 23, 8
	v_or_b32_e32 v82, 0x800000, v64
	s_delay_alu instid0(VALU_DEP_2) | instskip(SKIP_1) | instid1(VALU_DEP_1)
	v_sub_nc_u32_e32 v24, 0x71, v113
	v_cmp_gt_u32_e64 s10, 0x72, v113
	v_cndmask_b32_e64 v24, 0, v24, s10
	v_cmp_eq_u32_e64 s10, 0, v113
	s_delay_alu instid0(VALU_DEP_1) | instskip(SKIP_1) | instid1(VALU_DEP_2)
	v_cndmask_b32_e64 v116, v24, 0x70, s10
	v_cndmask_b32_e64 v64, v82, v64, s10
	v_dual_add_nc_u32 v24, 21, v116 :: v_dual_add_nc_u32 v83, 20, v116
	s_delay_alu instid0(VALU_DEP_1) | instskip(NEXT) | instid1(VALU_DEP_2)
	v_lshlrev_b64_e64 v[24:25], v24, -1
	v_lshlrev_b64_e64 v[102:103], v83, 1
	s_delay_alu instid0(VALU_DEP_2) | instskip(NEXT) | instid1(VALU_DEP_3)
	v_bfi_b32 v119, v25, 0, 0
	v_bfi_b32 v118, v24, 0, v64
	v_lshrrev_b64 v[24:25], v116, v[64:65]
	s_delay_alu instid0(VALU_DEP_2) | instskip(NEXT) | instid1(VALU_DEP_2)
	v_cmp_eq_u64_e64 s11, v[118:119], v[102:103]
	v_mov_b64_e32 v[102:103], v[24:25]
	s_and_saveexec_b32 s40, s11
; %bb.1536:                             ;   in Loop: Header=BB4_1414 Depth=2
	v_bfe_u32 v64, v24, 21, 1
	s_delay_alu instid0(VALU_DEP_1) | instskip(NEXT) | instid1(VALU_DEP_1)
	v_add_nc_u64_e32 v[102:103], v[24:25], v[64:65]
	v_add_nc_u64_e32 v[102:103], -1, v[102:103]
; %bb.1537:                             ;   in Loop: Header=BB4_1414 Depth=2
	s_or_b32 exec_lo, exec_lo, s40
	v_add_nc_u32_e32 v25, 0xffffff81, v113
	v_lshrrev_b32_e32 v64, 23, v24
	s_mov_b32 s11, exec_lo
	s_delay_alu instid0(VALU_DEP_2) | instskip(NEXT) | instid1(VALU_DEP_1)
	v_cndmask_b32_e64 v25, v25, 0xffffff82, s10
	v_add3_u32 v103, v116, v25, v64
	v_and_b32_e32 v25, 0x1fffff, v102
                                        ; implicit-def: $vgpr102
	s_delay_alu instid0(VALU_DEP_1) | instskip(NEXT) | instid1(VALU_DEP_1)
	v_dual_add_nc_u32 v113, 14, v103 :: v_dual_add_nc_u32 v64, v25, v24
                                        ; implicit-def: $vgpr24_vgpr25
	v_cmpx_ne_u32_e32 0, v113
	s_xor_b32 s11, exec_lo, s11
; %bb.1538:                             ;   in Loop: Header=BB4_1414 Depth=2
	s_delay_alu instid0(VALU_DEP_2) | instskip(SKIP_1) | instid1(VALU_DEP_1)
	v_cmp_lt_u64_e64 s10, 0xffffff, v[64:65]
	v_add_nc_u32_e32 v24, 15, v103
	v_cndmask_b32_e64 v102, v113, v24, s10
	v_cndmask_b32_e64 v24, 0, 1, s10
	s_delay_alu instid0(VALU_DEP_1)
	v_lshrrev_b64 v[24:25], v24, v[64:65]
; %bb.1539:                             ;   in Loop: Header=BB4_1414 Depth=2
	s_and_not1_saveexec_b32 s10, s11
; %bb.1540:                             ;   in Loop: Header=BB4_1414 Depth=2
	v_mov_b64_e32 v[24:25], v[64:65]
	v_bfe_u32 v102, v64, 23, 1
; %bb.1541:                             ;   in Loop: Header=BB4_1414 Depth=2
	s_or_b32 exec_lo, exec_lo, s10
	s_delay_alu instid0(VALU_DEP_2) | instskip(NEXT) | instid1(VALU_DEP_2)
	v_lshrrev_b64 v[24:25], 21, v[24:25]
	v_cmp_gt_i32_e64 s10, 32, v102
	v_min_i32_e32 v64, 31, v102
	v_cmp_eq_u32_e64 s11, 0, v102
	s_delay_alu instid0(VALU_DEP_2) | instskip(SKIP_1) | instid1(VALU_DEP_2)
	v_dual_cndmask_b32 v25, 0, v25, s10 :: v_dual_lshlrev_b32 v64, 2, v64
	v_cndmask_b32_e64 v24, 3, v24, s10
	v_and_b32_e32 v64, 0xfc, v64
	s_delay_alu instid0(VALU_DEP_2) | instskip(NEXT) | instid1(VALU_DEP_2)
	v_cmp_eq_u64_e64 s10, 0, v[24:25]
	v_and_or_b32 v24, v24, 3, v64
	s_and_b32 s10, s11, s10
	s_delay_alu instid0(VALU_DEP_1) | instid1(SALU_CYCLE_1)
	v_cndmask_b32_e64 v24, v24, 0, s10
	s_delay_alu instid0(VALU_DEP_1)
	v_or_b32_e32 v116, v24, v112
.LBB4_1542:                             ;   in Loop: Header=BB4_1414 Depth=2
	s_or_b32 exec_lo, exec_lo, s29
                                        ; implicit-def: $vgpr112
.LBB4_1543:                             ;   in Loop: Header=BB4_1414 Depth=2
	s_and_not1_saveexec_b32 s10, s28
; %bb.1544:                             ;   in Loop: Header=BB4_1414 Depth=2
	v_or_b32_e32 v116, 0x7b, v112
; %bb.1545:                             ;   in Loop: Header=BB4_1414 Depth=2
	s_or_b32 exec_lo, exec_lo, s10
                                        ; implicit-def: $vgpr24
                                        ; implicit-def: $vgpr25
.LBB4_1546:                             ;   in Loop: Header=BB4_1414 Depth=2
	s_and_not1_saveexec_b32 s11, s27
	s_cbranch_execz .LBB4_1552
; %bb.1547:                             ;   in Loop: Header=BB4_1414 Depth=2
	v_cmp_ne_u64_e64 s10, 0, v[64:65]
                                        ; implicit-def: $vgpr116
	s_and_saveexec_b32 s27, s10
	s_delay_alu instid0(SALU_CYCLE_1)
	s_xor_b32 s10, exec_lo, s27
; %bb.1548:                             ;   in Loop: Header=BB4_1414 Depth=2
	v_or_b32_e32 v116, 0x7f, v25
                                        ; implicit-def: $vgpr24
; %bb.1549:                             ;   in Loop: Header=BB4_1414 Depth=2
	s_and_not1_saveexec_b32 s27, s10
; %bb.1550:                             ;   in Loop: Header=BB4_1414 Depth=2
	v_cmp_lt_i32_e64 s10, -1, v24
	s_delay_alu instid0(VALU_DEP_1)
	v_cndmask_b32_e64 v116, 0xfc, v68, s10
; %bb.1551:                             ;   in Loop: Header=BB4_1414 Depth=2
	s_or_b32 exec_lo, exec_lo, s27
.LBB4_1552:                             ;   in Loop: Header=BB4_1414 Depth=2
	s_delay_alu instid0(SALU_CYCLE_1) | instskip(SKIP_3) | instid1(VALU_DEP_2)
	s_or_b32 exec_lo, exec_lo, s11
	v_and_b32_e32 v24, 0xff, v15
	v_dual_mov_b32 v64, v15 :: v_dual_mov_b32 v102, 0
	s_mov_b32 s11, exec_lo
	v_cmpx_ne_u16_e32 0, v24
	s_cbranch_execz .LBB4_1562
; %bb.1553:                             ;   in Loop: Header=BB4_1414 Depth=2
	v_bfrev_b32_e32 v102, 1
	s_mov_b32 s27, exec_lo
	v_cmpx_ne_u16_e32 0x80, v24
	s_cbranch_execz .LBB4_1561
; %bb.1554:                             ;   in Loop: Header=BB4_1414 Depth=2
	v_and_b32_e32 v25, 0x7c, v15
	v_and_b32_e32 v24, 3, v15
	s_mov_b32 s28, exec_lo
                                        ; implicit-def: $vgpr102
	s_delay_alu instid0(VALU_DEP_2)
	v_cmpx_ne_u32_e32 0x7c, v25
	s_xor_b32 s28, exec_lo, s28
	s_cbranch_execz .LBB4_1558
; %bb.1555:                             ;   in Loop: Header=BB4_1414 Depth=2
	v_bfe_u32 v25, v15, 2, 5
	s_mov_b32 s29, exec_lo
	s_delay_alu instid0(VALU_DEP_1)
	v_cmpx_eq_u32_e32 0, v25
; %bb.1556:                             ;   in Loop: Header=BB4_1414 Depth=2
	v_clz_i32_u32_e32 v24, v24
	s_delay_alu instid0(VALU_DEP_1) | instskip(NEXT) | instid1(VALU_DEP_1)
	v_min_u32_e32 v82, 32, v24
	v_subrev_nc_u32_e32 v24, 29, v82
	s_delay_alu instid0(VALU_DEP_1) | instskip(NEXT) | instid1(VALU_DEP_1)
	v_lshlrev_b64_e32 v[24:25], v24, v[64:65]
	v_dual_sub_nc_u32 v25, 30, v82 :: v_dual_bitop2_b32 v24, 3, v24 bitop3:0x40
; %bb.1557:                             ;   in Loop: Header=BB4_1414 Depth=2
	s_or_b32 exec_lo, exec_lo, s29
	v_lshlrev_b32_e32 v82, 24, v15
	s_delay_alu instid0(VALU_DEP_1) | instskip(NEXT) | instid1(VALU_DEP_1)
	v_and_b32_e32 v82, 0x80000000, v82
	v_lshl_add_u32 v25, v25, 23, v82
	s_delay_alu instid0(VALU_DEP_1) | instskip(NEXT) | instid1(VALU_DEP_1)
	v_lshl_or_b32 v24, v24, 21, v25
	v_add_nc_u32_e32 v102, 0x38000000, v24
                                        ; implicit-def: $vgpr24
.LBB4_1558:                             ;   in Loop: Header=BB4_1414 Depth=2
	s_and_not1_saveexec_b32 s28, s28
; %bb.1559:                             ;   in Loop: Header=BB4_1414 Depth=2
	v_bfe_i32 v25, v15, 0, 8
	s_delay_alu instid0(VALU_DEP_1) | instskip(NEXT) | instid1(VALU_DEP_1)
	v_cmp_lt_i16_e64 s10, -1, v25
	v_cndmask_b32_e64 v25, 0xff800000, v126, s10
	v_cmp_eq_u32_e64 s10, 0, v24
	s_delay_alu instid0(VALU_DEP_1)
	v_cndmask_b32_e64 v102, 0x7f800001, v25, s10
; %bb.1560:                             ;   in Loop: Header=BB4_1414 Depth=2
	s_or_b32 exec_lo, exec_lo, s28
.LBB4_1561:                             ;   in Loop: Header=BB4_1414 Depth=2
	s_delay_alu instid0(SALU_CYCLE_1)
	s_or_b32 exec_lo, exec_lo, s27
.LBB4_1562:                             ;   in Loop: Header=BB4_1414 Depth=2
	s_delay_alu instid0(SALU_CYCLE_1) | instskip(SKIP_4) | instid1(VALU_DEP_2)
	s_or_b32 exec_lo, exec_lo, s11
	v_and_b32_e32 v25, 0xff, v11
	v_mov_b32_e32 v24, v11
	s_mov_b32 s27, 0
	s_mov_b32 s11, exec_lo
	v_cmpx_lt_i16_e32 0x7f, v25
	s_xor_b32 s11, exec_lo, s11
	s_cbranch_execz .LBB4_1971
; %bb.1563:                             ;   in Loop: Header=BB4_1414 Depth=2
	s_mov_b32 s27, -1
	s_mov_b32 s28, exec_lo
	v_cmpx_eq_u16_e32 0x80, v25
; %bb.1564:                             ;   in Loop: Header=BB4_1414 Depth=2
	s_xor_b32 s27, exec_lo, -1
; %bb.1565:                             ;   in Loop: Header=BB4_1414 Depth=2
	s_or_b32 exec_lo, exec_lo, s28
	s_delay_alu instid0(SALU_CYCLE_1)
	s_and_b32 s27, s27, exec_lo
                                        ; implicit-def: $vgpr25
	s_or_saveexec_b32 s11, s11
	v_bfrev_b32_e32 v103, 1
	s_xor_b32 exec_lo, exec_lo, s11
	s_cbranch_execnz .LBB4_1972
.LBB4_1566:                             ;   in Loop: Header=BB4_1414 Depth=2
	s_or_b32 exec_lo, exec_lo, s11
	v_mov_b32_e32 v25, v65
	s_and_saveexec_b32 s11, s27
	s_cbranch_execz .LBB4_1568
.LBB4_1567:                             ;   in Loop: Header=BB4_1414 Depth=2
	v_and_b32_e32 v82, 3, v11
	s_delay_alu instid0(VALU_DEP_1) | instskip(NEXT) | instid1(VALU_DEP_1)
	v_clz_i32_u32_e32 v83, v82
	v_min_u32_e32 v83, 32, v83
	s_delay_alu instid0(VALU_DEP_1) | instskip(NEXT) | instid1(VALU_DEP_1)
	v_subrev_nc_u32_e32 v103, 29, v83
	v_lshlrev_b64_e32 v[112:113], v103, v[24:25]
	v_bfe_u32 v103, v11, 2, 5
	v_lshlrev_b32_e32 v25, 24, v11
	v_sub_nc_u32_e32 v83, 30, v83
	s_delay_alu instid0(VALU_DEP_3) | instskip(NEXT) | instid1(VALU_DEP_3)
	v_cmp_eq_u32_e64 s10, 0, v103
	v_and_b32_e32 v25, 0x80000000, v25
	s_delay_alu instid0(VALU_DEP_2) | instskip(SKIP_1) | instid1(VALU_DEP_2)
	v_dual_cndmask_b32 v83, v103, v83, s10 :: v_dual_bitop2_b32 v112, 3, v112 bitop3:0x40
	v_bfe_i32 v103, v11, 0, 8
	v_cndmask_b32_e64 v112, v82, v112, s10
	s_delay_alu instid0(VALU_DEP_3) | instskip(NEXT) | instid1(VALU_DEP_3)
	v_lshl_add_u32 v25, v83, 23, v25
	v_cmp_lt_i16_e64 s10, -1, v103
	v_and_b32_e32 v103, 0x7c, v11
	s_delay_alu instid0(VALU_DEP_3) | instskip(NEXT) | instid1(VALU_DEP_3)
	v_lshl_or_b32 v25, v112, 21, v25
	v_cndmask_b32_e64 v83, 0xff800000, v126, s10
	v_cmp_eq_u32_e64 s10, 0, v82
	s_delay_alu instid0(VALU_DEP_3) | instskip(NEXT) | instid1(VALU_DEP_2)
	v_add_nc_u32_e32 v25, 0x38000000, v25
	v_cndmask_b32_e64 v82, 0x7f800001, v83, s10
	v_cmp_eq_u32_e64 s10, 0x7c, v103
	s_delay_alu instid0(VALU_DEP_1)
	v_cndmask_b32_e64 v103, v25, v82, s10
.LBB4_1568:                             ;   in Loop: Header=BB4_1414 Depth=2
	s_or_b32 exec_lo, exec_lo, s11
	s_delay_alu instid0(VALU_DEP_1) | instskip(SKIP_2) | instid1(VALU_DEP_2)
	v_dual_mul_f32 v113, v102, v103 :: v_dual_mov_b32 v119, v65
	v_mov_b32_e32 v103, v65
                                        ; implicit-def: $vgpr112
	s_mov_b32 s11, exec_lo
	v_and_b32_e32 v118, 0x7f800000, v113
	v_and_b32_e32 v102, 0x7fffff, v113
	v_lshrrev_b32_e32 v25, 24, v113
	s_delay_alu instid0(VALU_DEP_3)
	v_cmpx_ne_u64_e32 0x7f800000, v[118:119]
	s_xor_b32 s27, exec_lo, s11
	s_cbranch_execz .LBB4_1582
; %bb.1569:                             ;   in Loop: Header=BB4_1414 Depth=2
	v_and_b32_e32 v118, 0x7fffffff, v113
	v_mov_b32_e32 v119, v65
	v_and_b32_e32 v25, 0x80, v25
                                        ; implicit-def: $vgpr112
	s_mov_b32 s11, exec_lo
	s_delay_alu instid0(VALU_DEP_2)
	v_cmpx_gt_u64_e32 0x47600001, v[118:119]
	s_xor_b32 s28, exec_lo, s11
	s_cbranch_execz .LBB4_1579
; %bb.1570:                             ;   in Loop: Header=BB4_1414 Depth=2
	v_mov_b32_e32 v112, 0
	s_mov_b32 s29, exec_lo
	v_cmpx_ne_u32_e32 0, v113
	s_cbranch_execz .LBB4_1578
; %bb.1571:                             ;   in Loop: Header=BB4_1414 Depth=2
	v_bfe_u32 v117, v113, 23, 8
	v_or_b32_e32 v83, 0x800000, v102
	s_delay_alu instid0(VALU_DEP_2) | instskip(SKIP_1) | instid1(VALU_DEP_1)
	v_sub_nc_u32_e32 v82, 0x71, v117
	v_cmp_gt_u32_e64 s10, 0x72, v117
	v_cndmask_b32_e64 v82, 0, v82, s10
	v_cmp_eq_u32_e64 s10, 0, v117
	s_delay_alu instid0(VALU_DEP_1) | instskip(SKIP_1) | instid1(VALU_DEP_2)
	v_cndmask_b32_e64 v118, v82, 0x70, s10
	v_cndmask_b32_e64 v102, v83, v102, s10
	v_add_nc_u32_e32 v82, 21, v118
	s_delay_alu instid0(VALU_DEP_1) | instskip(SKIP_1) | instid1(VALU_DEP_1)
	v_lshlrev_b64_e64 v[112:113], v82, -1
	v_add_nc_u32_e32 v82, 20, v118
	v_lshlrev_b64_e64 v[40:41], v82, 1
	s_delay_alu instid0(VALU_DEP_3) | instskip(SKIP_2) | instid1(VALU_DEP_1)
	v_bfi_b32 v112, v112, 0, v102
	v_lshrrev_b64 v[102:103], v118, v[102:103]
	v_bfi_b32 v113, v113, 0, 0
	v_cmp_eq_u64_e64 s11, v[112:113], v[40:41]
	s_delay_alu instid0(VALU_DEP_3)
	v_mov_b64_e32 v[112:113], v[102:103]
	s_and_saveexec_b32 s40, s11
; %bb.1572:                             ;   in Loop: Header=BB4_1414 Depth=2
	v_bfe_u32 v112, v102, 21, 1
	v_mov_b32_e32 v113, v65
	s_delay_alu instid0(VALU_DEP_1) | instskip(NEXT) | instid1(VALU_DEP_1)
	v_add_nc_u64_e32 v[112:113], v[102:103], v[112:113]
	v_add_nc_u64_e32 v[112:113], -1, v[112:113]
; %bb.1573:                             ;   in Loop: Header=BB4_1414 Depth=2
	s_or_b32 exec_lo, exec_lo, s40
	v_dual_mov_b32 v103, v65 :: v_dual_add_nc_u32 v82, 0xffffff81, v117
	v_lshrrev_b32_e32 v83, 23, v102
	s_mov_b32 s11, exec_lo
	s_delay_alu instid0(VALU_DEP_2) | instskip(NEXT) | instid1(VALU_DEP_1)
	v_cndmask_b32_e64 v82, v82, 0xffffff82, s10
	v_add3_u32 v113, v118, v82, v83
	v_and_b32_e32 v82, 0x1fffff, v112
                                        ; implicit-def: $vgpr112
	s_delay_alu instid0(VALU_DEP_1) | instskip(NEXT) | instid1(VALU_DEP_1)
	v_dual_add_nc_u32 v117, 14, v113 :: v_dual_add_nc_u32 v102, v82, v102
	v_cmpx_ne_u32_e32 0, v117
	s_xor_b32 s11, exec_lo, s11
; %bb.1574:                             ;   in Loop: Header=BB4_1414 Depth=2
	s_delay_alu instid0(VALU_DEP_2) | instskip(SKIP_1) | instid1(VALU_DEP_1)
	v_cmp_lt_u64_e64 s10, 0xffffff, v[102:103]
	v_add_nc_u32_e32 v82, 15, v113
	v_cndmask_b32_e64 v112, v117, v82, s10
	v_cndmask_b32_e64 v82, 0, 1, s10
	s_delay_alu instid0(VALU_DEP_1)
	v_lshrrev_b64 v[102:103], v82, v[102:103]
; %bb.1575:                             ;   in Loop: Header=BB4_1414 Depth=2
	s_and_not1_saveexec_b32 s10, s11
; %bb.1576:                             ;   in Loop: Header=BB4_1414 Depth=2
	s_delay_alu instid0(VALU_DEP_1)
	v_bfe_u32 v112, v102, 23, 1
; %bb.1577:                             ;   in Loop: Header=BB4_1414 Depth=2
	s_or_b32 exec_lo, exec_lo, s10
	s_delay_alu instid0(VALU_DEP_2) | instskip(NEXT) | instid1(VALU_DEP_2)
	v_lshrrev_b64 v[102:103], 21, v[102:103]
	v_cmp_gt_i32_e64 s10, 32, v112
	v_min_i32_e32 v82, 31, v112
	v_cmp_eq_u32_e64 s11, 0, v112
	s_delay_alu instid0(VALU_DEP_2) | instskip(SKIP_1) | instid1(VALU_DEP_2)
	v_dual_cndmask_b32 v103, 0, v103, s10 :: v_dual_lshlrev_b32 v82, 2, v82
	v_cndmask_b32_e64 v102, 3, v102, s10
	v_and_b32_e32 v82, 0xfc, v82
	s_delay_alu instid0(VALU_DEP_2) | instskip(NEXT) | instid1(VALU_DEP_2)
	v_cmp_eq_u64_e64 s10, 0, v[102:103]
	v_and_or_b32 v82, v102, 3, v82
	s_and_b32 s10, s11, s10
	s_delay_alu instid0(VALU_DEP_1) | instid1(SALU_CYCLE_1)
	v_cndmask_b32_e64 v82, v82, 0, s10
	s_delay_alu instid0(VALU_DEP_1)
	v_or_b32_e32 v112, v82, v25
.LBB4_1578:                             ;   in Loop: Header=BB4_1414 Depth=2
	s_or_b32 exec_lo, exec_lo, s29
                                        ; implicit-def: $vgpr25
.LBB4_1579:                             ;   in Loop: Header=BB4_1414 Depth=2
	s_and_not1_saveexec_b32 s10, s28
; %bb.1580:                             ;   in Loop: Header=BB4_1414 Depth=2
	v_or_b32_e32 v112, 0x7b, v25
; %bb.1581:                             ;   in Loop: Header=BB4_1414 Depth=2
	s_or_b32 exec_lo, exec_lo, s10
                                        ; implicit-def: $vgpr113
                                        ; implicit-def: $vgpr102_vgpr103
                                        ; implicit-def: $vgpr25
.LBB4_1582:                             ;   in Loop: Header=BB4_1414 Depth=2
	s_and_not1_saveexec_b32 s11, s27
	s_cbranch_execz .LBB4_1588
; %bb.1583:                             ;   in Loop: Header=BB4_1414 Depth=2
	v_cmp_ne_u64_e64 s10, 0, v[102:103]
                                        ; implicit-def: $vgpr112
	s_and_saveexec_b32 s27, s10
	s_delay_alu instid0(SALU_CYCLE_1)
	s_xor_b32 s10, exec_lo, s27
; %bb.1584:                             ;   in Loop: Header=BB4_1414 Depth=2
	v_or_b32_e32 v112, 0x7f, v25
                                        ; implicit-def: $vgpr113
; %bb.1585:                             ;   in Loop: Header=BB4_1414 Depth=2
	s_and_not1_saveexec_b32 s27, s10
; %bb.1586:                             ;   in Loop: Header=BB4_1414 Depth=2
	v_cmp_lt_i32_e64 s10, -1, v113
	s_delay_alu instid0(VALU_DEP_1)
	v_cndmask_b32_e64 v112, 0xfc, v68, s10
; %bb.1587:                             ;   in Loop: Header=BB4_1414 Depth=2
	s_or_b32 exec_lo, exec_lo, s27
.LBB4_1588:                             ;   in Loop: Header=BB4_1414 Depth=2
	s_delay_alu instid0(SALU_CYCLE_1) | instskip(SKIP_3) | instid1(VALU_DEP_2)
	s_or_b32 exec_lo, exec_lo, s11
	v_lshrrev_b16 v102, 8, v64
	v_mov_b32_e32 v25, 0
	s_mov_b32 s11, exec_lo
	v_cmpx_ne_u16_e32 0, v102
	s_cbranch_execz .LBB4_1598
; %bb.1589:                             ;   in Loop: Header=BB4_1414 Depth=2
	v_bfrev_b32_e32 v25, 1
	s_mov_b32 s27, exec_lo
	v_cmpx_ne_u16_e32 0x80, v102
	s_cbranch_execz .LBB4_1597
; %bb.1590:                             ;   in Loop: Header=BB4_1414 Depth=2
	v_and_b32_e32 v113, 0xffff, v102
	s_delay_alu instid0(VALU_DEP_1) | instskip(SKIP_1) | instid1(VALU_DEP_2)
	v_and_b32_e32 v25, 0x7c, v113
	v_and_b32_e32 v103, 3, v113
	v_cmp_ne_u32_e64 s10, 0x7c, v25
                                        ; implicit-def: $vgpr25
	s_and_saveexec_b32 s28, s10
	s_delay_alu instid0(SALU_CYCLE_1)
	s_xor_b32 s28, exec_lo, s28
	s_cbranch_execz .LBB4_1594
; %bb.1591:                             ;   in Loop: Header=BB4_1414 Depth=2
	v_bfe_u32 v25, v113, 2, 5
	s_mov_b32 s29, exec_lo
	s_delay_alu instid0(VALU_DEP_1)
	v_cmpx_eq_u32_e32 0, v25
	s_cbranch_execz .LBB4_1593
; %bb.1592:                             ;   in Loop: Header=BB4_1414 Depth=2
	v_clz_i32_u32_e32 v25, v103
	s_delay_alu instid0(VALU_DEP_1) | instskip(SKIP_1) | instid1(VALU_DEP_2)
	v_min_u32_e32 v25, 32, v25
	v_mov_b32_e32 v103, v65
	v_subrev_nc_u32_e32 v82, 29, v25
	v_sub_nc_u32_e32 v25, 30, v25
	s_delay_alu instid0(VALU_DEP_2) | instskip(NEXT) | instid1(VALU_DEP_1)
	v_lshlrev_b64_e32 v[102:103], v82, v[102:103]
	v_and_b32_e32 v103, 3, v102
.LBB4_1593:                             ;   in Loop: Header=BB4_1414 Depth=2
	s_or_b32 exec_lo, exec_lo, s29
	v_lshlrev_b32_e32 v64, 16, v64
	s_delay_alu instid0(VALU_DEP_1) | instskip(NEXT) | instid1(VALU_DEP_1)
	v_and_b32_e32 v64, 0x80000000, v64
	v_lshl_add_u32 v25, v25, 23, v64
	s_delay_alu instid0(VALU_DEP_1) | instskip(NEXT) | instid1(VALU_DEP_1)
	v_lshl_or_b32 v25, v103, 21, v25
                                        ; implicit-def: $vgpr103
	v_add_nc_u32_e32 v25, 0x38000000, v25
.LBB4_1594:                             ;   in Loop: Header=BB4_1414 Depth=2
	s_and_not1_saveexec_b32 s28, s28
; %bb.1595:                             ;   in Loop: Header=BB4_1414 Depth=2
	v_cmp_lt_i16_e64 s10, -1, v64
	s_delay_alu instid0(VALU_DEP_1) | instskip(SKIP_1) | instid1(VALU_DEP_1)
	v_cndmask_b32_e64 v25, 0xff800000, v126, s10
	v_cmp_eq_u32_e64 s10, 0, v103
	v_cndmask_b32_e64 v25, 0x7f800001, v25, s10
; %bb.1596:                             ;   in Loop: Header=BB4_1414 Depth=2
	s_or_b32 exec_lo, exec_lo, s28
.LBB4_1597:                             ;   in Loop: Header=BB4_1414 Depth=2
	s_delay_alu instid0(SALU_CYCLE_1)
	s_or_b32 exec_lo, exec_lo, s27
.LBB4_1598:                             ;   in Loop: Header=BB4_1414 Depth=2
	s_delay_alu instid0(SALU_CYCLE_1) | instskip(SKIP_3) | instid1(VALU_DEP_1)
	s_or_b32 exec_lo, exec_lo, s11
	v_lshrrev_b16 v64, 8, v24
	s_mov_b32 s27, 0
	s_mov_b32 s11, exec_lo
	v_cmpx_lt_i16_e32 0x7f, v64
	s_xor_b32 s11, exec_lo, s11
	s_cbranch_execz .LBB4_1973
; %bb.1599:                             ;   in Loop: Header=BB4_1414 Depth=2
	s_mov_b32 s27, -1
	s_mov_b32 s28, exec_lo
	v_cmpx_eq_u16_e32 0x80, v64
; %bb.1600:                             ;   in Loop: Header=BB4_1414 Depth=2
	s_xor_b32 s27, exec_lo, -1
; %bb.1601:                             ;   in Loop: Header=BB4_1414 Depth=2
	s_or_b32 exec_lo, exec_lo, s28
	s_delay_alu instid0(SALU_CYCLE_1)
	s_and_b32 s27, s27, exec_lo
	s_or_saveexec_b32 s11, s11
	v_bfrev_b32_e32 v102, 1
	s_xor_b32 exec_lo, exec_lo, s11
	s_cbranch_execnz .LBB4_1974
.LBB4_1602:                             ;   in Loop: Header=BB4_1414 Depth=2
	s_or_b32 exec_lo, exec_lo, s11
	s_and_saveexec_b32 s11, s27
	s_cbranch_execz .LBB4_1604
.LBB4_1603:                             ;   in Loop: Header=BB4_1414 Depth=2
	v_and_b32_e32 v82, 0xffff, v64
	s_delay_alu instid0(VALU_DEP_1) | instskip(NEXT) | instid1(VALU_DEP_1)
	v_and_b32_e32 v83, 3, v82
	v_clz_i32_u32_e32 v102, v83
	s_delay_alu instid0(VALU_DEP_1) | instskip(NEXT) | instid1(VALU_DEP_1)
	v_min_u32_e32 v113, 32, v102
	v_subrev_nc_u32_e32 v102, 29, v113
	s_delay_alu instid0(VALU_DEP_1) | instskip(SKIP_3) | instid1(VALU_DEP_3)
	v_lshlrev_b64_e32 v[102:103], v102, v[64:65]
	v_bfe_u32 v103, v82, 2, 5
	v_dual_lshlrev_b32 v64, 24, v64 :: v_dual_sub_nc_u32 v113, 30, v113
	v_and_b32_e32 v82, 0x7c, v82
	v_cmp_eq_u32_e64 s10, 0, v103
	s_delay_alu instid0(VALU_DEP_3) | instskip(NEXT) | instid1(VALU_DEP_2)
	v_and_b32_e32 v64, 0x80000000, v64
	v_dual_cndmask_b32 v103, v103, v113, s10 :: v_dual_bitop2_b32 v102, 3, v102 bitop3:0x40
	s_delay_alu instid0(VALU_DEP_1) | instskip(SKIP_1) | instid1(VALU_DEP_3)
	v_cndmask_b32_e64 v102, v83, v102, s10
	v_cmp_lt_i16_e64 s10, -1, v24
	v_lshl_add_u32 v64, v103, 23, v64
	s_delay_alu instid0(VALU_DEP_2) | instskip(SKIP_1) | instid1(VALU_DEP_3)
	v_cndmask_b32_e64 v24, 0xff800000, v126, s10
	v_cmp_eq_u32_e64 s10, 0, v83
	v_lshl_or_b32 v64, v102, 21, v64
	s_delay_alu instid0(VALU_DEP_2) | instskip(NEXT) | instid1(VALU_DEP_2)
	v_cndmask_b32_e64 v24, 0x7f800001, v24, s10
	v_add_nc_u32_e32 v64, 0x38000000, v64
	v_cmp_eq_u32_e64 s10, 0x7c, v82
	s_delay_alu instid0(VALU_DEP_1)
	v_cndmask_b32_e64 v102, v64, v24, s10
.LBB4_1604:                             ;   in Loop: Header=BB4_1414 Depth=2
	s_or_b32 exec_lo, exec_lo, s11
	s_delay_alu instid0(VALU_DEP_1) | instskip(SKIP_2) | instid1(VALU_DEP_2)
	v_mul_f32_e32 v24, v25, v102
	v_mov_b32_e32 v103, v65
                                        ; implicit-def: $vgpr113
	s_mov_b32 s11, exec_lo
	v_and_b32_e32 v102, 0x7f800000, v24
	v_and_b32_e32 v64, 0x7fffff, v24
	v_lshrrev_b32_e32 v25, 24, v24
	s_delay_alu instid0(VALU_DEP_3)
	v_cmpx_ne_u64_e32 0x7f800000, v[102:103]
	s_xor_b32 s27, exec_lo, s11
	s_cbranch_execz .LBB4_1618
; %bb.1605:                             ;   in Loop: Header=BB4_1414 Depth=2
	v_and_b32_e32 v102, 0x7fffffff, v24
	v_mov_b32_e32 v103, v65
	v_and_b32_e32 v117, 0x80, v25
                                        ; implicit-def: $vgpr113
	s_mov_b32 s11, exec_lo
	s_delay_alu instid0(VALU_DEP_2)
	v_cmpx_gt_u64_e32 0x47600001, v[102:103]
	s_xor_b32 s28, exec_lo, s11
	s_cbranch_execz .LBB4_1615
; %bb.1606:                             ;   in Loop: Header=BB4_1414 Depth=2
	v_mov_b32_e32 v113, 0
	s_mov_b32 s29, exec_lo
	v_cmpx_ne_u32_e32 0, v24
	s_cbranch_execz .LBB4_1614
; %bb.1607:                             ;   in Loop: Header=BB4_1414 Depth=2
	v_bfe_u32 v113, v24, 23, 8
	v_or_b32_e32 v82, 0x800000, v64
	s_delay_alu instid0(VALU_DEP_2) | instskip(SKIP_1) | instid1(VALU_DEP_1)
	v_sub_nc_u32_e32 v24, 0x71, v113
	v_cmp_gt_u32_e64 s10, 0x72, v113
	v_cndmask_b32_e64 v24, 0, v24, s10
	v_cmp_eq_u32_e64 s10, 0, v113
	s_delay_alu instid0(VALU_DEP_1) | instskip(NEXT) | instid1(VALU_DEP_1)
	v_cndmask_b32_e64 v118, v24, 0x70, s10
	v_dual_cndmask_b32 v64, v82, v64, s10 :: v_dual_add_nc_u32 v24, 21, v118
	v_add_nc_u32_e32 v83, 20, v118
	s_delay_alu instid0(VALU_DEP_2) | instskip(NEXT) | instid1(VALU_DEP_2)
	v_lshlrev_b64_e64 v[24:25], v24, -1
	v_lshlrev_b64_e64 v[102:103], v83, 1
	s_delay_alu instid0(VALU_DEP_2) | instskip(NEXT) | instid1(VALU_DEP_3)
	v_bfi_b32 v41, v25, 0, 0
	v_bfi_b32 v40, v24, 0, v64
	v_lshrrev_b64 v[24:25], v118, v[64:65]
	s_delay_alu instid0(VALU_DEP_2) | instskip(NEXT) | instid1(VALU_DEP_2)
	v_cmp_eq_u64_e64 s11, v[40:41], v[102:103]
	v_mov_b64_e32 v[102:103], v[24:25]
	s_and_saveexec_b32 s40, s11
; %bb.1608:                             ;   in Loop: Header=BB4_1414 Depth=2
	v_bfe_u32 v64, v24, 21, 1
	s_delay_alu instid0(VALU_DEP_1) | instskip(NEXT) | instid1(VALU_DEP_1)
	v_add_nc_u64_e32 v[102:103], v[24:25], v[64:65]
	v_add_nc_u64_e32 v[102:103], -1, v[102:103]
; %bb.1609:                             ;   in Loop: Header=BB4_1414 Depth=2
	s_or_b32 exec_lo, exec_lo, s40
	v_add_nc_u32_e32 v25, 0xffffff81, v113
	v_lshrrev_b32_e32 v64, 23, v24
	s_mov_b32 s11, exec_lo
	s_delay_alu instid0(VALU_DEP_2) | instskip(NEXT) | instid1(VALU_DEP_1)
	v_cndmask_b32_e64 v25, v25, 0xffffff82, s10
	v_add3_u32 v103, v118, v25, v64
	v_and_b32_e32 v25, 0x1fffff, v102
                                        ; implicit-def: $vgpr102
	s_delay_alu instid0(VALU_DEP_1) | instskip(NEXT) | instid1(VALU_DEP_1)
	v_dual_add_nc_u32 v113, 14, v103 :: v_dual_add_nc_u32 v64, v25, v24
                                        ; implicit-def: $vgpr24_vgpr25
	v_cmpx_ne_u32_e32 0, v113
	s_xor_b32 s11, exec_lo, s11
; %bb.1610:                             ;   in Loop: Header=BB4_1414 Depth=2
	s_delay_alu instid0(VALU_DEP_2) | instskip(SKIP_1) | instid1(VALU_DEP_1)
	v_cmp_lt_u64_e64 s10, 0xffffff, v[64:65]
	v_add_nc_u32_e32 v24, 15, v103
	v_cndmask_b32_e64 v102, v113, v24, s10
	v_cndmask_b32_e64 v24, 0, 1, s10
	s_delay_alu instid0(VALU_DEP_1)
	v_lshrrev_b64 v[24:25], v24, v[64:65]
; %bb.1611:                             ;   in Loop: Header=BB4_1414 Depth=2
	s_and_not1_saveexec_b32 s10, s11
; %bb.1612:                             ;   in Loop: Header=BB4_1414 Depth=2
	v_mov_b64_e32 v[24:25], v[64:65]
	v_bfe_u32 v102, v64, 23, 1
; %bb.1613:                             ;   in Loop: Header=BB4_1414 Depth=2
	s_or_b32 exec_lo, exec_lo, s10
	s_delay_alu instid0(VALU_DEP_2) | instskip(NEXT) | instid1(VALU_DEP_2)
	v_lshrrev_b64 v[24:25], 21, v[24:25]
	v_cmp_gt_i32_e64 s10, 32, v102
	v_min_i32_e32 v64, 31, v102
	v_cmp_eq_u32_e64 s11, 0, v102
	s_delay_alu instid0(VALU_DEP_2) | instskip(SKIP_1) | instid1(VALU_DEP_2)
	v_dual_cndmask_b32 v25, 0, v25, s10 :: v_dual_lshlrev_b32 v64, 2, v64
	v_cndmask_b32_e64 v24, 3, v24, s10
	v_and_b32_e32 v64, 0xfc, v64
	s_delay_alu instid0(VALU_DEP_2) | instskip(NEXT) | instid1(VALU_DEP_2)
	v_cmp_eq_u64_e64 s10, 0, v[24:25]
	v_and_or_b32 v24, v24, 3, v64
	s_and_b32 s10, s11, s10
	s_delay_alu instid0(VALU_DEP_1) | instid1(SALU_CYCLE_1)
	v_cndmask_b32_e64 v24, v24, 0, s10
	s_delay_alu instid0(VALU_DEP_1)
	v_or_b32_e32 v113, v24, v117
.LBB4_1614:                             ;   in Loop: Header=BB4_1414 Depth=2
	s_or_b32 exec_lo, exec_lo, s29
                                        ; implicit-def: $vgpr117
.LBB4_1615:                             ;   in Loop: Header=BB4_1414 Depth=2
	s_and_not1_saveexec_b32 s10, s28
; %bb.1616:                             ;   in Loop: Header=BB4_1414 Depth=2
	v_or_b32_e32 v113, 0x7b, v117
; %bb.1617:                             ;   in Loop: Header=BB4_1414 Depth=2
	s_or_b32 exec_lo, exec_lo, s10
                                        ; implicit-def: $vgpr24
                                        ; implicit-def: $vgpr25
.LBB4_1618:                             ;   in Loop: Header=BB4_1414 Depth=2
	s_and_not1_saveexec_b32 s11, s27
	s_cbranch_execz .LBB4_1624
; %bb.1619:                             ;   in Loop: Header=BB4_1414 Depth=2
	v_cmp_ne_u64_e64 s10, 0, v[64:65]
                                        ; implicit-def: $vgpr113
	s_and_saveexec_b32 s27, s10
	s_delay_alu instid0(SALU_CYCLE_1)
	s_xor_b32 s10, exec_lo, s27
; %bb.1620:                             ;   in Loop: Header=BB4_1414 Depth=2
	v_or_b32_e32 v113, 0x7f, v25
                                        ; implicit-def: $vgpr24
; %bb.1621:                             ;   in Loop: Header=BB4_1414 Depth=2
	s_and_not1_saveexec_b32 s27, s10
; %bb.1622:                             ;   in Loop: Header=BB4_1414 Depth=2
	v_cmp_lt_i32_e64 s10, -1, v24
	s_delay_alu instid0(VALU_DEP_1)
	v_cndmask_b32_e64 v113, 0xfc, v68, s10
; %bb.1623:                             ;   in Loop: Header=BB4_1414 Depth=2
	s_or_b32 exec_lo, exec_lo, s27
.LBB4_1624:                             ;   in Loop: Header=BB4_1414 Depth=2
	s_delay_alu instid0(SALU_CYCLE_1) | instskip(SKIP_2) | instid1(VALU_DEP_1)
	s_or_b32 exec_lo, exec_lo, s11
	v_dual_mov_b32 v25, 0 :: v_dual_lshrrev_b32 v24, 16, v15
	s_mov_b32 s11, exec_lo
	v_and_b32_e32 v64, 0xff, v24
	s_delay_alu instid0(VALU_DEP_1)
	v_cmpx_ne_u16_e32 0, v64
	s_cbranch_execz .LBB4_1634
; %bb.1625:                             ;   in Loop: Header=BB4_1414 Depth=2
	v_bfrev_b32_e32 v25, 1
	s_mov_b32 s27, exec_lo
	v_cmpx_ne_u16_e32 0x80, v64
	s_cbranch_execz .LBB4_1633
; %bb.1626:                             ;   in Loop: Header=BB4_1414 Depth=2
	v_and_b32_e32 v25, 0x7c0000, v15
	v_bfe_u32 v64, v15, 16, 2
	s_delay_alu instid0(VALU_DEP_2) | instskip(SKIP_1) | instid1(SALU_CYCLE_1)
	v_cmp_ne_u32_e64 s10, 0x7c0000, v25
                                        ; implicit-def: $vgpr25
	s_and_saveexec_b32 s28, s10
	s_xor_b32 s28, exec_lo, s28
	s_cbranch_execz .LBB4_1630
; %bb.1627:                             ;   in Loop: Header=BB4_1414 Depth=2
	v_bfe_u32 v25, v15, 18, 5
	s_mov_b32 s29, exec_lo
	s_delay_alu instid0(VALU_DEP_1)
	v_cmpx_eq_u32_e32 0, v25
; %bb.1628:                             ;   in Loop: Header=BB4_1414 Depth=2
	v_clz_i32_u32_e32 v25, v64
	s_delay_alu instid0(VALU_DEP_1) | instskip(NEXT) | instid1(VALU_DEP_1)
	v_min_u32_e32 v25, 32, v25
	v_subrev_nc_u32_e32 v64, 29, v25
	s_delay_alu instid0(VALU_DEP_1) | instskip(NEXT) | instid1(VALU_DEP_1)
	v_lshlrev_b64_e32 v[102:103], v64, v[24:25]
	v_dual_sub_nc_u32 v25, 30, v25 :: v_dual_bitop2_b32 v64, 3, v102 bitop3:0x40
; %bb.1629:                             ;   in Loop: Header=BB4_1414 Depth=2
	s_or_b32 exec_lo, exec_lo, s29
	v_lshlrev_b32_e32 v24, 24, v24
	s_delay_alu instid0(VALU_DEP_1) | instskip(NEXT) | instid1(VALU_DEP_1)
	v_and_b32_e32 v24, 0x80000000, v24
	v_lshl_add_u32 v24, v25, 23, v24
	s_delay_alu instid0(VALU_DEP_1) | instskip(NEXT) | instid1(VALU_DEP_1)
	v_lshl_or_b32 v24, v64, 21, v24
                                        ; implicit-def: $vgpr64
	v_add_nc_u32_e32 v25, 0x38000000, v24
                                        ; implicit-def: $vgpr24
.LBB4_1630:                             ;   in Loop: Header=BB4_1414 Depth=2
	s_and_not1_saveexec_b32 s28, s28
; %bb.1631:                             ;   in Loop: Header=BB4_1414 Depth=2
	v_bfe_i32 v24, v24, 0, 8
	s_delay_alu instid0(VALU_DEP_1) | instskip(NEXT) | instid1(VALU_DEP_1)
	v_cmp_lt_i16_e64 s10, -1, v24
	v_cndmask_b32_e64 v24, 0xff800000, v126, s10
	v_cmp_eq_u32_e64 s10, 0, v64
	s_delay_alu instid0(VALU_DEP_1)
	v_cndmask_b32_e64 v25, 0x7f800001, v24, s10
; %bb.1632:                             ;   in Loop: Header=BB4_1414 Depth=2
	s_or_b32 exec_lo, exec_lo, s28
.LBB4_1633:                             ;   in Loop: Header=BB4_1414 Depth=2
	s_delay_alu instid0(SALU_CYCLE_1)
	s_or_b32 exec_lo, exec_lo, s27
.LBB4_1634:                             ;   in Loop: Header=BB4_1414 Depth=2
	s_delay_alu instid0(SALU_CYCLE_1) | instskip(SKIP_3) | instid1(VALU_DEP_1)
	s_or_b32 exec_lo, exec_lo, s11
	v_lshrrev_b32_e32 v24, 16, v11
	s_mov_b32 s27, 0
	s_mov_b32 s11, exec_lo
	v_and_b32_e32 v102, 0xff, v24
	s_delay_alu instid0(VALU_DEP_1)
	v_cmpx_lt_i16_e32 0x7f, v102
	s_xor_b32 s11, exec_lo, s11
	s_cbranch_execz .LBB4_1975
; %bb.1635:                             ;   in Loop: Header=BB4_1414 Depth=2
	s_mov_b32 s27, -1
	s_mov_b32 s28, exec_lo
	v_cmpx_eq_u16_e32 0x80, v102
; %bb.1636:                             ;   in Loop: Header=BB4_1414 Depth=2
	s_xor_b32 s27, exec_lo, -1
; %bb.1637:                             ;   in Loop: Header=BB4_1414 Depth=2
	s_or_b32 exec_lo, exec_lo, s28
	s_delay_alu instid0(SALU_CYCLE_1)
	s_and_b32 s27, s27, exec_lo
                                        ; implicit-def: $vgpr102
	s_or_saveexec_b32 s11, s11
	v_bfrev_b32_e32 v64, 1
	s_xor_b32 exec_lo, exec_lo, s11
	s_cbranch_execnz .LBB4_1976
.LBB4_1638:                             ;   in Loop: Header=BB4_1414 Depth=2
	s_or_b32 exec_lo, exec_lo, s11
	s_and_saveexec_b32 s11, s27
	s_cbranch_execz .LBB4_1640
.LBB4_1639:                             ;   in Loop: Header=BB4_1414 Depth=2
	v_and_b32_e32 v64, 3, v24
	s_delay_alu instid0(VALU_DEP_1) | instskip(NEXT) | instid1(VALU_DEP_1)
	v_clz_i32_u32_e32 v82, v64
	v_min_u32_e32 v82, 32, v82
	s_delay_alu instid0(VALU_DEP_1) | instskip(SKIP_1) | instid1(VALU_DEP_2)
	v_subrev_nc_u32_e32 v83, 29, v82
	v_sub_nc_u32_e32 v82, 30, v82
	v_lshlrev_b64_e32 v[102:103], v83, v[24:25]
	v_bfe_u32 v103, v11, 18, 5
	v_lshlrev_b32_e32 v83, 24, v24
	v_bfe_i32 v24, v24, 0, 8
	s_delay_alu instid0(VALU_DEP_3) | instskip(NEXT) | instid1(VALU_DEP_3)
	v_cmp_eq_u32_e64 s10, 0, v103
	v_and_b32_e32 v83, 0x80000000, v83
	v_and_b32_e32 v102, 3, v102
	s_delay_alu instid0(VALU_DEP_3) | instskip(NEXT) | instid1(VALU_DEP_2)
	v_cndmask_b32_e64 v82, v103, v82, s10
	v_cndmask_b32_e64 v102, v64, v102, s10
	v_cmp_lt_i16_e64 s10, -1, v24
	s_delay_alu instid0(VALU_DEP_3) | instskip(SKIP_1) | instid1(VALU_DEP_3)
	v_lshl_add_u32 v82, v82, 23, v83
	v_and_b32_e32 v83, 0x7c0000, v11
	v_cndmask_b32_e64 v24, 0xff800000, v126, s10
	v_cmp_eq_u32_e64 s10, 0, v64
	s_delay_alu instid0(VALU_DEP_4) | instskip(NEXT) | instid1(VALU_DEP_2)
	v_lshl_or_b32 v82, v102, 21, v82
	v_cndmask_b32_e64 v24, 0x7f800001, v24, s10
	s_delay_alu instid0(VALU_DEP_2) | instskip(SKIP_1) | instid1(VALU_DEP_1)
	v_add_nc_u32_e32 v64, 0x38000000, v82
	v_cmp_eq_u32_e64 s10, 0x7c0000, v83
	v_cndmask_b32_e64 v64, v64, v24, s10
.LBB4_1640:                             ;   in Loop: Header=BB4_1414 Depth=2
	s_or_b32 exec_lo, exec_lo, s11
	s_delay_alu instid0(VALU_DEP_1) | instskip(NEXT) | instid1(VALU_DEP_1)
	v_mul_f32_e32 v24, v25, v64
	v_dual_mov_b32 v103, v65 :: v_dual_lshrrev_b32 v25, 24, v24
	v_and_b32_e32 v102, 0x7f800000, v24
	v_and_b32_e32 v64, 0x7fffff, v24
	s_delay_alu instid0(VALU_DEP_2) | instskip(SKIP_1) | instid1(SALU_CYCLE_1)
	v_cmp_ne_u64_e64 s10, 0x7f800000, v[102:103]
                                        ; implicit-def: $vgpr102
	s_and_saveexec_b32 s11, s10
	s_xor_b32 s27, exec_lo, s11
	s_cbranch_execz .LBB4_1654
; %bb.1641:                             ;   in Loop: Header=BB4_1414 Depth=2
	v_and_b32_e32 v102, 0x7fffffff, v24
	v_mov_b32_e32 v103, v65
	v_and_b32_e32 v117, 0x80, v25
	s_delay_alu instid0(VALU_DEP_2) | instskip(SKIP_1) | instid1(SALU_CYCLE_1)
	v_cmp_gt_u64_e64 s10, 0x47600001, v[102:103]
                                        ; implicit-def: $vgpr102
	s_and_saveexec_b32 s11, s10
	s_xor_b32 s28, exec_lo, s11
	s_cbranch_execz .LBB4_1651
; %bb.1642:                             ;   in Loop: Header=BB4_1414 Depth=2
	v_mov_b32_e32 v102, 0
	s_mov_b32 s29, exec_lo
	v_cmpx_ne_u32_e32 0, v24
	s_cbranch_execz .LBB4_1650
; %bb.1643:                             ;   in Loop: Header=BB4_1414 Depth=2
	v_bfe_u32 v118, v24, 23, 8
	v_or_b32_e32 v82, 0x800000, v64
	s_delay_alu instid0(VALU_DEP_2) | instskip(SKIP_1) | instid1(VALU_DEP_1)
	v_sub_nc_u32_e32 v24, 0x71, v118
	v_cmp_gt_u32_e64 s10, 0x72, v118
	v_cndmask_b32_e64 v24, 0, v24, s10
	v_cmp_eq_u32_e64 s10, 0, v118
	s_delay_alu instid0(VALU_DEP_1) | instskip(NEXT) | instid1(VALU_DEP_1)
	v_cndmask_b32_e64 v119, v24, 0x70, s10
	v_dual_cndmask_b32 v64, v82, v64, s10 :: v_dual_add_nc_u32 v24, 21, v119
	v_add_nc_u32_e32 v83, 20, v119
	s_delay_alu instid0(VALU_DEP_2) | instskip(NEXT) | instid1(VALU_DEP_2)
	v_lshlrev_b64_e64 v[24:25], v24, -1
	v_lshlrev_b64_e64 v[102:103], v83, 1
	s_delay_alu instid0(VALU_DEP_2) | instskip(NEXT) | instid1(VALU_DEP_3)
	v_bfi_b32 v41, v25, 0, 0
	v_bfi_b32 v40, v24, 0, v64
	v_lshrrev_b64 v[24:25], v119, v[64:65]
	s_delay_alu instid0(VALU_DEP_2) | instskip(NEXT) | instid1(VALU_DEP_2)
	v_cmp_eq_u64_e64 s11, v[40:41], v[102:103]
	v_mov_b64_e32 v[102:103], v[24:25]
	s_and_saveexec_b32 s40, s11
; %bb.1644:                             ;   in Loop: Header=BB4_1414 Depth=2
	v_bfe_u32 v64, v24, 21, 1
	s_delay_alu instid0(VALU_DEP_1) | instskip(NEXT) | instid1(VALU_DEP_1)
	v_add_nc_u64_e32 v[102:103], v[24:25], v[64:65]
	v_add_nc_u64_e32 v[102:103], -1, v[102:103]
; %bb.1645:                             ;   in Loop: Header=BB4_1414 Depth=2
	s_or_b32 exec_lo, exec_lo, s40
	v_add_nc_u32_e32 v25, 0xffffff81, v118
	v_lshrrev_b32_e32 v64, 23, v24
	s_mov_b32 s11, exec_lo
	s_delay_alu instid0(VALU_DEP_2) | instskip(NEXT) | instid1(VALU_DEP_1)
	v_cndmask_b32_e64 v25, v25, 0xffffff82, s10
	v_add3_u32 v103, v119, v25, v64
	v_and_b32_e32 v25, 0x1fffff, v102
                                        ; implicit-def: $vgpr102
	s_delay_alu instid0(VALU_DEP_1) | instskip(NEXT) | instid1(VALU_DEP_1)
	v_dual_add_nc_u32 v118, 14, v103 :: v_dual_add_nc_u32 v64, v25, v24
                                        ; implicit-def: $vgpr24_vgpr25
	v_cmpx_ne_u32_e32 0, v118
	s_xor_b32 s11, exec_lo, s11
; %bb.1646:                             ;   in Loop: Header=BB4_1414 Depth=2
	s_delay_alu instid0(VALU_DEP_2) | instskip(SKIP_1) | instid1(VALU_DEP_1)
	v_cmp_lt_u64_e64 s10, 0xffffff, v[64:65]
	v_add_nc_u32_e32 v24, 15, v103
	v_cndmask_b32_e64 v102, v118, v24, s10
	v_cndmask_b32_e64 v24, 0, 1, s10
	s_delay_alu instid0(VALU_DEP_1)
	v_lshrrev_b64 v[24:25], v24, v[64:65]
; %bb.1647:                             ;   in Loop: Header=BB4_1414 Depth=2
	s_and_not1_saveexec_b32 s10, s11
; %bb.1648:                             ;   in Loop: Header=BB4_1414 Depth=2
	v_mov_b64_e32 v[24:25], v[64:65]
	v_bfe_u32 v102, v64, 23, 1
; %bb.1649:                             ;   in Loop: Header=BB4_1414 Depth=2
	s_or_b32 exec_lo, exec_lo, s10
	s_delay_alu instid0(VALU_DEP_2) | instskip(NEXT) | instid1(VALU_DEP_2)
	v_lshrrev_b64 v[24:25], 21, v[24:25]
	v_cmp_gt_i32_e64 s10, 32, v102
	v_min_i32_e32 v64, 31, v102
	v_cmp_eq_u32_e64 s11, 0, v102
	s_delay_alu instid0(VALU_DEP_2) | instskip(SKIP_1) | instid1(VALU_DEP_2)
	v_dual_cndmask_b32 v25, 0, v25, s10 :: v_dual_lshlrev_b32 v64, 2, v64
	v_cndmask_b32_e64 v24, 3, v24, s10
	v_and_b32_e32 v64, 0xfc, v64
	s_delay_alu instid0(VALU_DEP_2) | instskip(NEXT) | instid1(VALU_DEP_2)
	v_cmp_eq_u64_e64 s10, 0, v[24:25]
	v_and_or_b32 v24, v24, 3, v64
	s_and_b32 s10, s11, s10
	s_delay_alu instid0(VALU_DEP_1) | instid1(SALU_CYCLE_1)
	v_cndmask_b32_e64 v24, v24, 0, s10
	s_delay_alu instid0(VALU_DEP_1)
	v_or_b32_e32 v102, v24, v117
.LBB4_1650:                             ;   in Loop: Header=BB4_1414 Depth=2
	s_or_b32 exec_lo, exec_lo, s29
                                        ; implicit-def: $vgpr117
.LBB4_1651:                             ;   in Loop: Header=BB4_1414 Depth=2
	s_and_not1_saveexec_b32 s10, s28
; %bb.1652:                             ;   in Loop: Header=BB4_1414 Depth=2
	v_or_b32_e32 v102, 0x7b, v117
; %bb.1653:                             ;   in Loop: Header=BB4_1414 Depth=2
	s_or_b32 exec_lo, exec_lo, s10
                                        ; implicit-def: $vgpr24
                                        ; implicit-def: $vgpr25
.LBB4_1654:                             ;   in Loop: Header=BB4_1414 Depth=2
	s_and_not1_saveexec_b32 s11, s27
	s_cbranch_execz .LBB4_1660
; %bb.1655:                             ;   in Loop: Header=BB4_1414 Depth=2
	v_cmp_ne_u64_e64 s10, 0, v[64:65]
                                        ; implicit-def: $vgpr102
	s_and_saveexec_b32 s27, s10
	s_delay_alu instid0(SALU_CYCLE_1)
	s_xor_b32 s10, exec_lo, s27
; %bb.1656:                             ;   in Loop: Header=BB4_1414 Depth=2
	v_or_b32_e32 v102, 0x7f, v25
                                        ; implicit-def: $vgpr24
; %bb.1657:                             ;   in Loop: Header=BB4_1414 Depth=2
	s_and_not1_saveexec_b32 s27, s10
; %bb.1658:                             ;   in Loop: Header=BB4_1414 Depth=2
	v_cmp_lt_i32_e64 s10, -1, v24
	s_delay_alu instid0(VALU_DEP_1)
	v_cndmask_b32_e64 v102, 0xfc, v68, s10
; %bb.1659:                             ;   in Loop: Header=BB4_1414 Depth=2
	s_or_b32 exec_lo, exec_lo, s27
.LBB4_1660:                             ;   in Loop: Header=BB4_1414 Depth=2
	s_delay_alu instid0(SALU_CYCLE_1)
	s_or_b32 exec_lo, exec_lo, s11
	v_mov_b32_e32 v25, 0
	s_mov_b32 s11, exec_lo
	v_cmpx_lt_u64_e64 s[12:13], v[14:15]
	s_cbranch_execz .LBB4_1670
; %bb.1661:                             ;   in Loop: Header=BB4_1414 Depth=2
	v_lshrrev_b32_e32 v24, 24, v15
	v_bfrev_b32_e32 v25, 1
	s_mov_b32 s27, exec_lo
	s_delay_alu instid0(VALU_DEP_2)
	v_cmpx_ne_u32_e32 0x80, v24
	s_cbranch_execz .LBB4_1669
; %bb.1662:                             ;   in Loop: Header=BB4_1414 Depth=2
	v_and_b32_e32 v25, 0x7c000000, v15
	v_bfe_u32 v64, v15, 24, 2
	s_delay_alu instid0(VALU_DEP_2) | instskip(SKIP_1) | instid1(SALU_CYCLE_1)
	v_cmp_ne_u32_e64 s10, 0x7c000000, v25
                                        ; implicit-def: $vgpr25
	s_and_saveexec_b32 s28, s10
	s_xor_b32 s28, exec_lo, s28
	s_cbranch_execz .LBB4_1666
; %bb.1663:                             ;   in Loop: Header=BB4_1414 Depth=2
	v_bfe_u32 v25, v15, 26, 5
	s_mov_b32 s29, exec_lo
	s_delay_alu instid0(VALU_DEP_1)
	v_cmpx_eq_u32_e32 0, v25
; %bb.1664:                             ;   in Loop: Header=BB4_1414 Depth=2
	v_clz_i32_u32_e32 v25, v64
	s_delay_alu instid0(VALU_DEP_1) | instskip(NEXT) | instid1(VALU_DEP_1)
	v_min_u32_e32 v64, 32, v25
	v_subrev_nc_u32_e32 v25, 29, v64
	s_delay_alu instid0(VALU_DEP_1) | instskip(SKIP_1) | instid1(VALU_DEP_2)
	v_lshlrev_b64_e32 v[24:25], v25, v[24:25]
	v_sub_nc_u32_e32 v25, 30, v64
	v_and_b32_e32 v64, 3, v24
; %bb.1665:                             ;   in Loop: Header=BB4_1414 Depth=2
	s_or_b32 exec_lo, exec_lo, s29
	v_and_b32_e32 v24, 0x80000000, v15
	s_delay_alu instid0(VALU_DEP_1) | instskip(NEXT) | instid1(VALU_DEP_1)
	v_lshl_add_u32 v24, v25, 23, v24
	v_lshl_or_b32 v24, v64, 21, v24
                                        ; implicit-def: $vgpr64
	s_delay_alu instid0(VALU_DEP_1)
	v_add_nc_u32_e32 v25, 0x38000000, v24
.LBB4_1666:                             ;   in Loop: Header=BB4_1414 Depth=2
	s_and_not1_saveexec_b32 s28, s28
; %bb.1667:                             ;   in Loop: Header=BB4_1414 Depth=2
	v_cmp_lt_i64_e64 s10, -1, v[14:15]
	s_delay_alu instid0(VALU_DEP_1) | instskip(SKIP_1) | instid1(VALU_DEP_1)
	v_cndmask_b32_e64 v14, 0xff800000, v126, s10
	v_cmp_eq_u32_e64 s10, 0, v64
	v_cndmask_b32_e64 v25, 0x7f800001, v14, s10
; %bb.1668:                             ;   in Loop: Header=BB4_1414 Depth=2
	s_or_b32 exec_lo, exec_lo, s28
.LBB4_1669:                             ;   in Loop: Header=BB4_1414 Depth=2
	s_delay_alu instid0(SALU_CYCLE_1)
	s_or_b32 exec_lo, exec_lo, s27
.LBB4_1670:                             ;   in Loop: Header=BB4_1414 Depth=2
	s_delay_alu instid0(SALU_CYCLE_1) | instskip(SKIP_3) | instid1(VALU_DEP_2)
	s_or_b32 exec_lo, exec_lo, s11
	v_bfe_u32 v15, v11, 24, 2
	v_bfe_u32 v82, v11, 26, 5
                                        ; implicit-def: $vgpr103
	s_mov_b32 s11, exec_lo
	v_clz_i32_u32_e32 v14, v15
	s_delay_alu instid0(VALU_DEP_2) | instskip(NEXT) | instid1(VALU_DEP_2)
	v_cmp_eq_u32_e64 s10, 0, v82
	v_min_u32_e32 v24, 32, v14
	v_lshrrev_b32_e32 v14, 24, v11
	s_delay_alu instid0(VALU_DEP_2) | instskip(SKIP_1) | instid1(VALU_DEP_2)
	v_subrev_nc_u32_e32 v64, 29, v24
	v_sub_nc_u32_e32 v24, 30, v24
	v_lshlrev_b64_e32 v[118:119], v64, v[14:15]
	v_and_b32_e32 v64, 0x80000000, v11
	s_delay_alu instid0(VALU_DEP_2) | instskip(NEXT) | instid1(VALU_DEP_1)
	v_dual_cndmask_b32 v24, v82, v24, s10 :: v_dual_bitop2_b32 v82, 3, v118 bitop3:0x40
	v_lshl_add_u32 v24, v24, 23, v64
	s_delay_alu instid0(VALU_DEP_2) | instskip(SKIP_1) | instid1(VALU_DEP_2)
	v_cndmask_b32_e64 v64, v15, v82, s10
	v_cmp_lt_i64_e64 s10, -1, v[10:11]
	v_lshl_or_b32 v24, v64, 21, v24
	v_and_b32_e32 v64, 0x7c000000, v11
	s_delay_alu instid0(VALU_DEP_3) | instskip(SKIP_1) | instid1(VALU_DEP_4)
	v_cndmask_b32_e64 v82, 0xff800000, v126, s10
	v_cmp_eq_u32_e64 s10, 0, v15
	v_add_nc_u32_e32 v24, 0x38000000, v24
	s_delay_alu instid0(VALU_DEP_2) | instskip(SKIP_1) | instid1(VALU_DEP_1)
	v_cndmask_b32_e64 v15, 0x7f800001, v82, s10
	v_cmp_eq_u32_e64 s10, 0x7c000000, v64
	v_cndmask_b32_e64 v15, v24, v15, s10
	v_cmp_ne_u32_e64 s10, 0x80, v14
	s_delay_alu instid0(VALU_DEP_1) | instskip(SKIP_1) | instid1(VALU_DEP_1)
	v_cndmask_b32_e64 v14, 0x80000000, v15, s10
	v_cmp_lt_u64_e64 s10, s[12:13], v[10:11]
	v_dual_mov_b32 v15, v65 :: v_dual_cndmask_b32 v10, 0, v14, s10
	s_delay_alu instid0(VALU_DEP_1) | instskip(NEXT) | instid1(VALU_DEP_1)
	v_mul_f32_e32 v10, v10, v25
	v_and_b32_e32 v14, 0x7f800000, v10
	v_and_b32_e32 v64, 0x7fffff, v10
	v_lshrrev_b32_e32 v11, 24, v10
	s_delay_alu instid0(VALU_DEP_3)
	v_cmpx_ne_u64_e32 0x7f800000, v[14:15]
	s_xor_b32 s27, exec_lo, s11
	s_cbranch_execz .LBB4_1684
; %bb.1671:                             ;   in Loop: Header=BB4_1414 Depth=2
	v_and_b32_e32 v14, 0x7fffffff, v10
	v_mov_b32_e32 v15, v65
	v_and_b32_e32 v24, 0x80, v11
                                        ; implicit-def: $vgpr103
	s_mov_b32 s11, exec_lo
	s_delay_alu instid0(VALU_DEP_2)
	v_cmpx_gt_u64_e32 0x47600001, v[14:15]
	s_xor_b32 s28, exec_lo, s11
	s_cbranch_execz .LBB4_1681
; %bb.1672:                             ;   in Loop: Header=BB4_1414 Depth=2
	v_mov_b32_e32 v103, 0
	s_mov_b32 s29, exec_lo
	v_cmpx_ne_u32_e32 0, v10
	s_cbranch_execz .LBB4_1680
; %bb.1673:                             ;   in Loop: Header=BB4_1414 Depth=2
	v_bfe_u32 v25, v10, 23, 8
	v_or_b32_e32 v14, 0x800000, v64
	s_delay_alu instid0(VALU_DEP_2) | instskip(SKIP_1) | instid1(VALU_DEP_1)
	v_sub_nc_u32_e32 v10, 0x71, v25
	v_cmp_gt_u32_e64 s10, 0x72, v25
	v_cndmask_b32_e64 v10, 0, v10, s10
	v_cmp_eq_u32_e64 s10, 0, v25
	s_delay_alu instid0(VALU_DEP_1) | instskip(NEXT) | instid1(VALU_DEP_1)
	v_cndmask_b32_e64 v103, v10, 0x70, s10
	v_dual_cndmask_b32 v64, v14, v64, s10 :: v_dual_add_nc_u32 v10, 21, v103
	v_add_nc_u32_e32 v15, 20, v103
	s_delay_alu instid0(VALU_DEP_2) | instskip(NEXT) | instid1(VALU_DEP_2)
	v_lshlrev_b64_e64 v[10:11], v10, -1
	v_lshlrev_b64_e64 v[14:15], v15, 1
	s_delay_alu instid0(VALU_DEP_2) | instskip(NEXT) | instid1(VALU_DEP_3)
	v_bfi_b32 v119, v11, 0, 0
	v_bfi_b32 v118, v10, 0, v64
	v_lshrrev_b64 v[10:11], v103, v[64:65]
	s_delay_alu instid0(VALU_DEP_2) | instskip(NEXT) | instid1(VALU_DEP_2)
	v_cmp_eq_u64_e64 s11, v[118:119], v[14:15]
	v_mov_b64_e32 v[14:15], v[10:11]
	s_and_saveexec_b32 s40, s11
; %bb.1674:                             ;   in Loop: Header=BB4_1414 Depth=2
	v_bfe_u32 v64, v10, 21, 1
	s_delay_alu instid0(VALU_DEP_1) | instskip(NEXT) | instid1(VALU_DEP_1)
	v_add_nc_u64_e32 v[14:15], v[10:11], v[64:65]
	v_add_nc_u64_e32 v[14:15], -1, v[14:15]
; %bb.1675:                             ;   in Loop: Header=BB4_1414 Depth=2
	s_or_b32 exec_lo, exec_lo, s40
	v_add_nc_u32_e32 v11, 0xffffff81, v25
	v_lshrrev_b32_e32 v15, 23, v10
	s_mov_b32 s11, exec_lo
	s_delay_alu instid0(VALU_DEP_2) | instskip(NEXT) | instid1(VALU_DEP_1)
	v_cndmask_b32_e64 v11, v11, 0xffffff82, s10
	v_add3_u32 v15, v103, v11, v15
	v_and_b32_e32 v11, 0x1fffff, v14
                                        ; implicit-def: $vgpr14
	s_delay_alu instid0(VALU_DEP_1) | instskip(NEXT) | instid1(VALU_DEP_1)
	v_dual_add_nc_u32 v25, 14, v15 :: v_dual_add_nc_u32 v64, v11, v10
                                        ; implicit-def: $vgpr10_vgpr11
	v_cmpx_ne_u32_e32 0, v25
	s_xor_b32 s11, exec_lo, s11
; %bb.1676:                             ;   in Loop: Header=BB4_1414 Depth=2
	s_delay_alu instid0(VALU_DEP_2) | instskip(SKIP_1) | instid1(VALU_DEP_1)
	v_cmp_lt_u64_e64 s10, 0xffffff, v[64:65]
	v_add_nc_u32_e32 v10, 15, v15
	v_cndmask_b32_e64 v14, v25, v10, s10
	v_cndmask_b32_e64 v10, 0, 1, s10
	s_delay_alu instid0(VALU_DEP_1)
	v_lshrrev_b64 v[10:11], v10, v[64:65]
; %bb.1677:                             ;   in Loop: Header=BB4_1414 Depth=2
	s_and_not1_saveexec_b32 s10, s11
; %bb.1678:                             ;   in Loop: Header=BB4_1414 Depth=2
	v_mov_b64_e32 v[10:11], v[64:65]
	v_bfe_u32 v14, v64, 23, 1
; %bb.1679:                             ;   in Loop: Header=BB4_1414 Depth=2
	s_or_b32 exec_lo, exec_lo, s10
	s_delay_alu instid0(VALU_DEP_2) | instskip(NEXT) | instid1(VALU_DEP_2)
	v_lshrrev_b64 v[10:11], 21, v[10:11]
	v_cmp_gt_i32_e64 s10, 32, v14
	v_min_i32_e32 v15, 31, v14
	v_cmp_eq_u32_e64 s11, 0, v14
	s_delay_alu instid0(VALU_DEP_3) | instskip(NEXT) | instid1(VALU_DEP_3)
	v_cndmask_b32_e64 v11, 0, v11, s10
	v_dual_lshlrev_b32 v15, 2, v15 :: v_dual_cndmask_b32 v10, 3, v10, s10
	s_delay_alu instid0(VALU_DEP_1) | instskip(NEXT) | instid1(VALU_DEP_2)
	v_and_b32_e32 v15, 0xfc, v15
	v_cmp_eq_u64_e64 s10, 0, v[10:11]
	s_delay_alu instid0(VALU_DEP_2)
	v_and_or_b32 v10, v10, 3, v15
	s_and_b32 s10, s11, s10
	s_delay_alu instid0(VALU_DEP_1) | instid1(SALU_CYCLE_1)
	v_cndmask_b32_e64 v10, v10, 0, s10
	s_delay_alu instid0(VALU_DEP_1)
	v_or_b32_e32 v103, v10, v24
.LBB4_1680:                             ;   in Loop: Header=BB4_1414 Depth=2
	s_or_b32 exec_lo, exec_lo, s29
                                        ; implicit-def: $vgpr24
.LBB4_1681:                             ;   in Loop: Header=BB4_1414 Depth=2
	s_and_not1_saveexec_b32 s10, s28
; %bb.1682:                             ;   in Loop: Header=BB4_1414 Depth=2
	v_or_b32_e32 v103, 0x7b, v24
; %bb.1683:                             ;   in Loop: Header=BB4_1414 Depth=2
	s_or_b32 exec_lo, exec_lo, s10
                                        ; implicit-def: $vgpr10
                                        ; implicit-def: $vgpr11
.LBB4_1684:                             ;   in Loop: Header=BB4_1414 Depth=2
	s_and_not1_saveexec_b32 s11, s27
	s_cbranch_execz .LBB4_1690
; %bb.1685:                             ;   in Loop: Header=BB4_1414 Depth=2
	v_cmp_ne_u64_e64 s10, 0, v[64:65]
                                        ; implicit-def: $vgpr103
	s_and_saveexec_b32 s27, s10
	s_delay_alu instid0(SALU_CYCLE_1)
	s_xor_b32 s10, exec_lo, s27
; %bb.1686:                             ;   in Loop: Header=BB4_1414 Depth=2
	v_or_b32_e32 v103, 0x7f, v11
                                        ; implicit-def: $vgpr10
; %bb.1687:                             ;   in Loop: Header=BB4_1414 Depth=2
	s_and_not1_saveexec_b32 s27, s10
; %bb.1688:                             ;   in Loop: Header=BB4_1414 Depth=2
	v_cmp_lt_i32_e64 s10, -1, v10
	s_delay_alu instid0(VALU_DEP_1)
	v_cndmask_b32_e64 v103, 0xfc, v68, s10
; %bb.1689:                             ;   in Loop: Header=BB4_1414 Depth=2
	s_or_b32 exec_lo, exec_lo, s27
.LBB4_1690:                             ;   in Loop: Header=BB4_1414 Depth=2
	s_delay_alu instid0(SALU_CYCLE_1) | instskip(SKIP_1) | instid1(VALU_DEP_1)
	s_or_b32 exec_lo, exec_lo, s11
	v_and_b32_e32 v10, 0xff, v16
	v_cmp_ne_u16_e64 s10, 0, v10
	v_mov_b32_e32 v10, 0
	s_and_saveexec_b32 s11, s10
	s_cbranch_execz .LBB4_1700
; %bb.1691:                             ;   in Loop: Header=BB4_1414 Depth=2
	v_bfe_i32 v14, v16, 0, 8
	v_bfrev_b32_e32 v10, 1
	s_mov_b32 s27, exec_lo
	s_delay_alu instid0(VALU_DEP_2)
	v_cmpx_ne_u16_e32 0xff80, v14
	s_cbranch_execz .LBB4_1699
; %bb.1692:                             ;   in Loop: Header=BB4_1414 Depth=2
	v_and_b32_e32 v10, 0x7c, v16
	v_and_b32_e32 v11, 3, v16
	s_delay_alu instid0(VALU_DEP_2) | instskip(SKIP_1) | instid1(SALU_CYCLE_1)
	v_cmp_ne_u32_e64 s10, 0x7c, v10
                                        ; implicit-def: $vgpr10
	s_and_saveexec_b32 s28, s10
	s_xor_b32 s28, exec_lo, s28
	s_cbranch_execz .LBB4_1696
; %bb.1693:                             ;   in Loop: Header=BB4_1414 Depth=2
	v_bfe_u32 v10, v16, 2, 5
	s_mov_b32 s29, exec_lo
	s_delay_alu instid0(VALU_DEP_1)
	v_cmpx_eq_u32_e32 0, v10
; %bb.1694:                             ;   in Loop: Header=BB4_1414 Depth=2
	v_clz_i32_u32_e32 v10, v11
	s_delay_alu instid0(VALU_DEP_1) | instskip(NEXT) | instid1(VALU_DEP_1)
	v_min_u32_e32 v10, 32, v10
	v_subrev_nc_u32_e32 v11, 29, v10
	v_sub_nc_u32_e32 v10, 30, v10
	s_delay_alu instid0(VALU_DEP_2) | instskip(NEXT) | instid1(VALU_DEP_1)
	v_lshlrev_b64_e32 v[14:15], v11, v[16:17]
	v_and_b32_e32 v11, 3, v14
; %bb.1695:                             ;   in Loop: Header=BB4_1414 Depth=2
	s_or_b32 exec_lo, exec_lo, s29
	v_lshlrev_b32_e32 v14, 24, v16
	s_delay_alu instid0(VALU_DEP_1) | instskip(NEXT) | instid1(VALU_DEP_1)
	v_and_b32_e32 v14, 0x80000000, v14
	v_lshl_add_u32 v10, v10, 23, v14
                                        ; implicit-def: $vgpr14
	s_delay_alu instid0(VALU_DEP_1) | instskip(NEXT) | instid1(VALU_DEP_1)
	v_lshl_or_b32 v10, v11, 21, v10
                                        ; implicit-def: $vgpr11
	v_add_nc_u32_e32 v10, 0x38000000, v10
.LBB4_1696:                             ;   in Loop: Header=BB4_1414 Depth=2
	s_and_not1_saveexec_b32 s28, s28
; %bb.1697:                             ;   in Loop: Header=BB4_1414 Depth=2
	v_cmp_lt_i16_e64 s10, -1, v14
	s_delay_alu instid0(VALU_DEP_1) | instskip(SKIP_1) | instid1(VALU_DEP_1)
	v_cndmask_b32_e64 v10, 0xff800000, v126, s10
	v_cmp_eq_u32_e64 s10, 0, v11
	v_cndmask_b32_e64 v10, 0x7f800001, v10, s10
; %bb.1698:                             ;   in Loop: Header=BB4_1414 Depth=2
	s_or_b32 exec_lo, exec_lo, s28
.LBB4_1699:                             ;   in Loop: Header=BB4_1414 Depth=2
	s_delay_alu instid0(SALU_CYCLE_1)
	s_or_b32 exec_lo, exec_lo, s27
.LBB4_1700:                             ;   in Loop: Header=BB4_1414 Depth=2
	s_delay_alu instid0(SALU_CYCLE_1) | instskip(SKIP_3) | instid1(VALU_DEP_1)
	s_or_b32 exec_lo, exec_lo, s11
	v_and_b32_e32 v14, 0xff, v12
	s_mov_b32 s27, 0
	s_mov_b32 s11, exec_lo
	v_cmpx_lt_i16_e32 0x7f, v14
	s_xor_b32 s11, exec_lo, s11
	s_cbranch_execz .LBB4_1977
; %bb.1701:                             ;   in Loop: Header=BB4_1414 Depth=2
	s_mov_b32 s27, -1
	s_mov_b32 s28, exec_lo
	v_cmpx_eq_u16_e32 0x80, v14
; %bb.1702:                             ;   in Loop: Header=BB4_1414 Depth=2
	s_xor_b32 s27, exec_lo, -1
; %bb.1703:                             ;   in Loop: Header=BB4_1414 Depth=2
	s_or_b32 exec_lo, exec_lo, s28
	s_delay_alu instid0(SALU_CYCLE_1)
	s_and_b32 s27, s27, exec_lo
                                        ; implicit-def: $vgpr14
	s_or_saveexec_b32 s11, s11
	v_bfrev_b32_e32 v11, 1
	s_xor_b32 exec_lo, exec_lo, s11
	s_cbranch_execnz .LBB4_1978
.LBB4_1704:                             ;   in Loop: Header=BB4_1414 Depth=2
	s_or_b32 exec_lo, exec_lo, s11
	s_and_saveexec_b32 s11, s27
	s_cbranch_execz .LBB4_1706
.LBB4_1705:                             ;   in Loop: Header=BB4_1414 Depth=2
	v_and_b32_e32 v11, 3, v12
	v_bfe_u32 v25, v12, 2, 5
	s_delay_alu instid0(VALU_DEP_2) | instskip(NEXT) | instid1(VALU_DEP_2)
	v_clz_i32_u32_e32 v14, v11
	v_cmp_eq_u32_e64 s10, 0, v25
	s_delay_alu instid0(VALU_DEP_2) | instskip(NEXT) | instid1(VALU_DEP_1)
	v_min_u32_e32 v24, 32, v14
	v_subrev_nc_u32_e32 v14, 29, v24
	s_delay_alu instid0(VALU_DEP_1) | instskip(SKIP_2) | instid1(VALU_DEP_2)
	v_lshlrev_b64_e32 v[14:15], v14, v[12:13]
	v_lshlrev_b32_e32 v15, 24, v12
	v_sub_nc_u32_e32 v24, 30, v24
	v_and_b32_e32 v15, 0x80000000, v15
	s_delay_alu instid0(VALU_DEP_2) | instskip(SKIP_1) | instid1(VALU_DEP_2)
	v_dual_cndmask_b32 v24, v25, v24, s10 :: v_dual_bitop2_b32 v14, 3, v14 bitop3:0x40
	v_bfe_i32 v25, v12, 0, 8
	v_cndmask_b32_e64 v14, v11, v14, s10
	s_delay_alu instid0(VALU_DEP_3) | instskip(NEXT) | instid1(VALU_DEP_3)
	v_lshl_add_u32 v15, v24, 23, v15
	v_cmp_lt_i16_e64 s10, -1, v25
	s_delay_alu instid0(VALU_DEP_2) | instskip(NEXT) | instid1(VALU_DEP_2)
	v_lshl_or_b32 v14, v14, 21, v15
	v_cndmask_b32_e64 v24, 0xff800000, v126, s10
	v_and_b32_e32 v15, 0x7c, v12
	v_cmp_eq_u32_e64 s10, 0, v11
	s_delay_alu instid0(VALU_DEP_4) | instskip(NEXT) | instid1(VALU_DEP_2)
	v_add_nc_u32_e32 v14, 0x38000000, v14
	v_cndmask_b32_e64 v11, 0x7f800001, v24, s10
	s_delay_alu instid0(VALU_DEP_4) | instskip(NEXT) | instid1(VALU_DEP_1)
	v_cmp_eq_u32_e64 s10, 0x7c, v15
	v_cndmask_b32_e64 v11, v14, v11, s10
.LBB4_1706:                             ;   in Loop: Header=BB4_1414 Depth=2
	s_or_b32 exec_lo, exec_lo, s11
	s_delay_alu instid0(VALU_DEP_1) | instskip(SKIP_1) | instid1(VALU_DEP_1)
	v_dual_mul_f32 v10, v10, v11 :: v_dual_mov_b32 v15, v65
                                        ; implicit-def: $vgpr117
	s_mov_b32 s11, exec_lo
	v_and_b32_e32 v14, 0x7f800000, v10
	v_and_b32_e32 v64, 0x7fffff, v10
	v_lshrrev_b32_e32 v11, 24, v10
	s_delay_alu instid0(VALU_DEP_3)
	v_cmpx_ne_u64_e32 0x7f800000, v[14:15]
	s_xor_b32 s27, exec_lo, s11
	s_cbranch_execz .LBB4_1720
; %bb.1707:                             ;   in Loop: Header=BB4_1414 Depth=2
	v_and_b32_e32 v14, 0x7fffffff, v10
	v_mov_b32_e32 v15, v65
	v_and_b32_e32 v24, 0x80, v11
                                        ; implicit-def: $vgpr117
	s_mov_b32 s11, exec_lo
	s_delay_alu instid0(VALU_DEP_2)
	v_cmpx_gt_u64_e32 0x47600001, v[14:15]
	s_xor_b32 s28, exec_lo, s11
	s_cbranch_execz .LBB4_1717
; %bb.1708:                             ;   in Loop: Header=BB4_1414 Depth=2
	v_mov_b32_e32 v117, 0
	s_mov_b32 s29, exec_lo
	v_cmpx_ne_u32_e32 0, v10
	s_cbranch_execz .LBB4_1716
; %bb.1709:                             ;   in Loop: Header=BB4_1414 Depth=2
	v_bfe_u32 v25, v10, 23, 8
	v_or_b32_e32 v14, 0x800000, v64
	s_delay_alu instid0(VALU_DEP_2) | instskip(SKIP_1) | instid1(VALU_DEP_1)
	v_sub_nc_u32_e32 v10, 0x71, v25
	v_cmp_gt_u32_e64 s10, 0x72, v25
	v_cndmask_b32_e64 v10, 0, v10, s10
	v_cmp_eq_u32_e64 s10, 0, v25
	s_delay_alu instid0(VALU_DEP_1) | instskip(NEXT) | instid1(VALU_DEP_1)
	v_cndmask_b32_e64 v117, v10, 0x70, s10
	v_dual_cndmask_b32 v64, v14, v64, s10 :: v_dual_add_nc_u32 v10, 21, v117
	v_add_nc_u32_e32 v15, 20, v117
	s_delay_alu instid0(VALU_DEP_2) | instskip(NEXT) | instid1(VALU_DEP_2)
	v_lshlrev_b64_e64 v[10:11], v10, -1
	v_lshlrev_b64_e64 v[14:15], v15, 1
	s_delay_alu instid0(VALU_DEP_2) | instskip(NEXT) | instid1(VALU_DEP_3)
	v_bfi_b32 v119, v11, 0, 0
	v_bfi_b32 v118, v10, 0, v64
	v_lshrrev_b64 v[10:11], v117, v[64:65]
	s_delay_alu instid0(VALU_DEP_2) | instskip(NEXT) | instid1(VALU_DEP_2)
	v_cmp_eq_u64_e64 s11, v[118:119], v[14:15]
	v_mov_b64_e32 v[14:15], v[10:11]
	s_and_saveexec_b32 s40, s11
; %bb.1710:                             ;   in Loop: Header=BB4_1414 Depth=2
	v_bfe_u32 v64, v10, 21, 1
	s_delay_alu instid0(VALU_DEP_1) | instskip(NEXT) | instid1(VALU_DEP_1)
	v_add_nc_u64_e32 v[14:15], v[10:11], v[64:65]
	v_add_nc_u64_e32 v[14:15], -1, v[14:15]
; %bb.1711:                             ;   in Loop: Header=BB4_1414 Depth=2
	s_or_b32 exec_lo, exec_lo, s40
	v_add_nc_u32_e32 v11, 0xffffff81, v25
	v_lshrrev_b32_e32 v15, 23, v10
	s_mov_b32 s11, exec_lo
	s_delay_alu instid0(VALU_DEP_2) | instskip(NEXT) | instid1(VALU_DEP_1)
	v_cndmask_b32_e64 v11, v11, 0xffffff82, s10
	v_add3_u32 v15, v117, v11, v15
	v_and_b32_e32 v11, 0x1fffff, v14
                                        ; implicit-def: $vgpr14
	s_delay_alu instid0(VALU_DEP_1) | instskip(NEXT) | instid1(VALU_DEP_1)
	v_dual_add_nc_u32 v25, 14, v15 :: v_dual_add_nc_u32 v64, v11, v10
                                        ; implicit-def: $vgpr10_vgpr11
	v_cmpx_ne_u32_e32 0, v25
	s_xor_b32 s11, exec_lo, s11
; %bb.1712:                             ;   in Loop: Header=BB4_1414 Depth=2
	s_delay_alu instid0(VALU_DEP_2) | instskip(SKIP_1) | instid1(VALU_DEP_1)
	v_cmp_lt_u64_e64 s10, 0xffffff, v[64:65]
	v_add_nc_u32_e32 v10, 15, v15
	v_cndmask_b32_e64 v14, v25, v10, s10
	v_cndmask_b32_e64 v10, 0, 1, s10
	s_delay_alu instid0(VALU_DEP_1)
	v_lshrrev_b64 v[10:11], v10, v[64:65]
; %bb.1713:                             ;   in Loop: Header=BB4_1414 Depth=2
	s_and_not1_saveexec_b32 s10, s11
; %bb.1714:                             ;   in Loop: Header=BB4_1414 Depth=2
	v_mov_b64_e32 v[10:11], v[64:65]
	v_bfe_u32 v14, v64, 23, 1
; %bb.1715:                             ;   in Loop: Header=BB4_1414 Depth=2
	s_or_b32 exec_lo, exec_lo, s10
	s_delay_alu instid0(VALU_DEP_2) | instskip(NEXT) | instid1(VALU_DEP_2)
	v_lshrrev_b64 v[10:11], 21, v[10:11]
	v_cmp_gt_i32_e64 s10, 32, v14
	v_min_i32_e32 v15, 31, v14
	v_cmp_eq_u32_e64 s11, 0, v14
	s_delay_alu instid0(VALU_DEP_3) | instskip(NEXT) | instid1(VALU_DEP_3)
	v_cndmask_b32_e64 v11, 0, v11, s10
	v_dual_lshlrev_b32 v15, 2, v15 :: v_dual_cndmask_b32 v10, 3, v10, s10
	s_delay_alu instid0(VALU_DEP_1) | instskip(NEXT) | instid1(VALU_DEP_2)
	v_and_b32_e32 v15, 0xfc, v15
	v_cmp_eq_u64_e64 s10, 0, v[10:11]
	s_delay_alu instid0(VALU_DEP_2)
	v_and_or_b32 v10, v10, 3, v15
	s_and_b32 s10, s11, s10
	s_delay_alu instid0(VALU_DEP_1) | instid1(SALU_CYCLE_1)
	v_cndmask_b32_e64 v10, v10, 0, s10
	s_delay_alu instid0(VALU_DEP_1)
	v_or_b32_e32 v117, v10, v24
.LBB4_1716:                             ;   in Loop: Header=BB4_1414 Depth=2
	s_or_b32 exec_lo, exec_lo, s29
                                        ; implicit-def: $vgpr24
.LBB4_1717:                             ;   in Loop: Header=BB4_1414 Depth=2
	s_and_not1_saveexec_b32 s10, s28
; %bb.1718:                             ;   in Loop: Header=BB4_1414 Depth=2
	v_or_b32_e32 v117, 0x7b, v24
; %bb.1719:                             ;   in Loop: Header=BB4_1414 Depth=2
	s_or_b32 exec_lo, exec_lo, s10
                                        ; implicit-def: $vgpr10
                                        ; implicit-def: $vgpr11
.LBB4_1720:                             ;   in Loop: Header=BB4_1414 Depth=2
	s_and_not1_saveexec_b32 s11, s27
	s_cbranch_execz .LBB4_1726
; %bb.1721:                             ;   in Loop: Header=BB4_1414 Depth=2
	v_cmp_ne_u64_e64 s10, 0, v[64:65]
                                        ; implicit-def: $vgpr117
	s_and_saveexec_b32 s27, s10
	s_delay_alu instid0(SALU_CYCLE_1)
	s_xor_b32 s10, exec_lo, s27
; %bb.1722:                             ;   in Loop: Header=BB4_1414 Depth=2
	v_or_b32_e32 v117, 0x7f, v11
                                        ; implicit-def: $vgpr10
; %bb.1723:                             ;   in Loop: Header=BB4_1414 Depth=2
	s_and_not1_saveexec_b32 s27, s10
; %bb.1724:                             ;   in Loop: Header=BB4_1414 Depth=2
	v_cmp_lt_i32_e64 s10, -1, v10
	s_delay_alu instid0(VALU_DEP_1)
	v_cndmask_b32_e64 v117, 0xfc, v68, s10
; %bb.1725:                             ;   in Loop: Header=BB4_1414 Depth=2
	s_or_b32 exec_lo, exec_lo, s27
.LBB4_1726:                             ;   in Loop: Header=BB4_1414 Depth=2
	s_delay_alu instid0(SALU_CYCLE_1) | instskip(SKIP_3) | instid1(VALU_DEP_2)
	s_or_b32 exec_lo, exec_lo, s11
	v_lshrrev_b16 v64, 8, v16
	v_mov_b32_e32 v10, 0
	s_mov_b32 s11, exec_lo
	v_cmpx_ne_u16_e32 0, v64
	s_cbranch_execz .LBB4_1736
; %bb.1727:                             ;   in Loop: Header=BB4_1414 Depth=2
	v_bfrev_b32_e32 v10, 1
	s_mov_b32 s27, exec_lo
	v_cmpx_ne_u16_e32 0x80, v64
	s_cbranch_execz .LBB4_1735
; %bb.1728:                             ;   in Loop: Header=BB4_1414 Depth=2
	v_and_b32_e32 v14, 0xffff, v64
	s_delay_alu instid0(VALU_DEP_1) | instskip(SKIP_1) | instid1(VALU_DEP_2)
	v_and_b32_e32 v10, 0x7c, v14
	v_and_b32_e32 v11, 3, v14
	v_cmp_ne_u32_e64 s10, 0x7c, v10
                                        ; implicit-def: $vgpr10
	s_and_saveexec_b32 s28, s10
	s_delay_alu instid0(SALU_CYCLE_1)
	s_xor_b32 s28, exec_lo, s28
	s_cbranch_execz .LBB4_1732
; %bb.1729:                             ;   in Loop: Header=BB4_1414 Depth=2
	v_bfe_u32 v10, v14, 2, 5
	s_mov_b32 s29, exec_lo
	s_delay_alu instid0(VALU_DEP_1)
	v_cmpx_eq_u32_e32 0, v10
; %bb.1730:                             ;   in Loop: Header=BB4_1414 Depth=2
	v_clz_i32_u32_e32 v10, v11
	s_delay_alu instid0(VALU_DEP_1) | instskip(NEXT) | instid1(VALU_DEP_1)
	v_min_u32_e32 v10, 32, v10
	v_subrev_nc_u32_e32 v11, 29, v10
	v_sub_nc_u32_e32 v10, 30, v10
	s_delay_alu instid0(VALU_DEP_2) | instskip(NEXT) | instid1(VALU_DEP_1)
	v_lshlrev_b64_e32 v[14:15], v11, v[64:65]
	v_and_b32_e32 v11, 3, v14
; %bb.1731:                             ;   in Loop: Header=BB4_1414 Depth=2
	s_or_b32 exec_lo, exec_lo, s29
	v_lshlrev_b32_e32 v14, 16, v16
	s_delay_alu instid0(VALU_DEP_1) | instskip(NEXT) | instid1(VALU_DEP_1)
	v_and_b32_e32 v14, 0x80000000, v14
	v_lshl_add_u32 v10, v10, 23, v14
	s_delay_alu instid0(VALU_DEP_1) | instskip(NEXT) | instid1(VALU_DEP_1)
	v_lshl_or_b32 v10, v11, 21, v10
                                        ; implicit-def: $vgpr11
	v_add_nc_u32_e32 v10, 0x38000000, v10
.LBB4_1732:                             ;   in Loop: Header=BB4_1414 Depth=2
	s_and_not1_saveexec_b32 s28, s28
; %bb.1733:                             ;   in Loop: Header=BB4_1414 Depth=2
	v_cmp_lt_i16_e64 s10, -1, v16
	s_delay_alu instid0(VALU_DEP_1) | instskip(SKIP_1) | instid1(VALU_DEP_1)
	v_cndmask_b32_e64 v10, 0xff800000, v126, s10
	v_cmp_eq_u32_e64 s10, 0, v11
	v_cndmask_b32_e64 v10, 0x7f800001, v10, s10
; %bb.1734:                             ;   in Loop: Header=BB4_1414 Depth=2
	s_or_b32 exec_lo, exec_lo, s28
.LBB4_1735:                             ;   in Loop: Header=BB4_1414 Depth=2
	s_delay_alu instid0(SALU_CYCLE_1)
	s_or_b32 exec_lo, exec_lo, s27
.LBB4_1736:                             ;   in Loop: Header=BB4_1414 Depth=2
	s_delay_alu instid0(SALU_CYCLE_1) | instskip(SKIP_3) | instid1(VALU_DEP_1)
	s_or_b32 exec_lo, exec_lo, s11
	v_lshrrev_b16 v64, 8, v12
	s_mov_b32 s27, 0
	s_mov_b32 s11, exec_lo
	v_cmpx_lt_i16_e32 0x7f, v64
	s_xor_b32 s11, exec_lo, s11
	s_cbranch_execz .LBB4_1979
; %bb.1737:                             ;   in Loop: Header=BB4_1414 Depth=2
	s_mov_b32 s27, -1
	s_mov_b32 s28, exec_lo
	v_cmpx_eq_u16_e32 0x80, v64
; %bb.1738:                             ;   in Loop: Header=BB4_1414 Depth=2
	s_xor_b32 s27, exec_lo, -1
; %bb.1739:                             ;   in Loop: Header=BB4_1414 Depth=2
	s_or_b32 exec_lo, exec_lo, s28
	s_delay_alu instid0(SALU_CYCLE_1)
	s_and_b32 s27, s27, exec_lo
	s_or_saveexec_b32 s11, s11
	v_bfrev_b32_e32 v11, 1
	s_xor_b32 exec_lo, exec_lo, s11
	s_cbranch_execnz .LBB4_1980
.LBB4_1740:                             ;   in Loop: Header=BB4_1414 Depth=2
	s_or_b32 exec_lo, exec_lo, s11
	s_and_saveexec_b32 s11, s27
	s_cbranch_execz .LBB4_1742
.LBB4_1741:                             ;   in Loop: Header=BB4_1414 Depth=2
	v_and_b32_e32 v11, 0xffff, v64
	s_delay_alu instid0(VALU_DEP_1) | instskip(NEXT) | instid1(VALU_DEP_1)
	v_and_b32_e32 v24, 3, v11
	v_clz_i32_u32_e32 v14, v24
	s_delay_alu instid0(VALU_DEP_1) | instskip(NEXT) | instid1(VALU_DEP_1)
	v_min_u32_e32 v25, 32, v14
	v_subrev_nc_u32_e32 v14, 29, v25
	s_delay_alu instid0(VALU_DEP_1) | instskip(SKIP_4) | instid1(VALU_DEP_4)
	v_lshlrev_b64_e32 v[14:15], v14, v[64:65]
	v_lshlrev_b32_e32 v15, 24, v64
	v_bfe_u32 v64, v11, 2, 5
	v_sub_nc_u32_e32 v25, 30, v25
	v_and_b32_e32 v11, 0x7c, v11
	v_and_b32_e32 v15, 0x80000000, v15
	s_delay_alu instid0(VALU_DEP_4) | instskip(NEXT) | instid1(VALU_DEP_1)
	v_cmp_eq_u32_e64 s10, 0, v64
	v_dual_cndmask_b32 v25, v64, v25, s10 :: v_dual_bitop2_b32 v14, 3, v14 bitop3:0x40
	s_delay_alu instid0(VALU_DEP_1) | instskip(SKIP_1) | instid1(VALU_DEP_3)
	v_cndmask_b32_e64 v14, v24, v14, s10
	v_cmp_lt_i16_e64 s10, -1, v12
	v_lshl_add_u32 v15, v25, 23, v15
	s_delay_alu instid0(VALU_DEP_2) | instskip(SKIP_1) | instid1(VALU_DEP_3)
	v_cndmask_b32_e64 v25, 0xff800000, v126, s10
	v_cmp_eq_u32_e64 s10, 0, v24
	v_lshl_or_b32 v14, v14, 21, v15
	s_delay_alu instid0(VALU_DEP_2) | instskip(SKIP_1) | instid1(VALU_DEP_3)
	v_cndmask_b32_e64 v15, 0x7f800001, v25, s10
	v_cmp_eq_u32_e64 s10, 0x7c, v11
	v_add_nc_u32_e32 v14, 0x38000000, v14
	s_delay_alu instid0(VALU_DEP_1)
	v_cndmask_b32_e64 v11, v14, v15, s10
.LBB4_1742:                             ;   in Loop: Header=BB4_1414 Depth=2
	s_or_b32 exec_lo, exec_lo, s11
	s_delay_alu instid0(VALU_DEP_1) | instskip(SKIP_1) | instid1(VALU_DEP_1)
	v_dual_mul_f32 v10, v10, v11 :: v_dual_mov_b32 v15, v65
                                        ; implicit-def: $vgpr118
	s_mov_b32 s11, exec_lo
	v_and_b32_e32 v14, 0x7f800000, v10
	v_and_b32_e32 v64, 0x7fffff, v10
	v_lshrrev_b32_e32 v11, 24, v10
	s_delay_alu instid0(VALU_DEP_3)
	v_cmpx_ne_u64_e32 0x7f800000, v[14:15]
	s_xor_b32 s27, exec_lo, s11
	s_cbranch_execz .LBB4_1756
; %bb.1743:                             ;   in Loop: Header=BB4_1414 Depth=2
	v_and_b32_e32 v14, 0x7fffffff, v10
	v_mov_b32_e32 v15, v65
	v_and_b32_e32 v24, 0x80, v11
                                        ; implicit-def: $vgpr118
	s_mov_b32 s11, exec_lo
	s_delay_alu instid0(VALU_DEP_2)
	v_cmpx_gt_u64_e32 0x47600001, v[14:15]
	s_xor_b32 s28, exec_lo, s11
	s_cbranch_execz .LBB4_1753
; %bb.1744:                             ;   in Loop: Header=BB4_1414 Depth=2
	v_mov_b32_e32 v118, 0
	s_mov_b32 s29, exec_lo
	v_cmpx_ne_u32_e32 0, v10
	s_cbranch_execz .LBB4_1752
; %bb.1745:                             ;   in Loop: Header=BB4_1414 Depth=2
	v_bfe_u32 v25, v10, 23, 8
	v_or_b32_e32 v14, 0x800000, v64
	s_delay_alu instid0(VALU_DEP_2) | instskip(SKIP_1) | instid1(VALU_DEP_1)
	v_sub_nc_u32_e32 v10, 0x71, v25
	v_cmp_gt_u32_e64 s10, 0x72, v25
	v_cndmask_b32_e64 v10, 0, v10, s10
	v_cmp_eq_u32_e64 s10, 0, v25
	s_delay_alu instid0(VALU_DEP_1) | instskip(NEXT) | instid1(VALU_DEP_3)
	v_cndmask_b32_e64 v64, v14, v64, s10
	v_cndmask_b32_e64 v118, v10, 0x70, s10
	s_delay_alu instid0(VALU_DEP_1) | instskip(NEXT) | instid1(VALU_DEP_1)
	v_dual_add_nc_u32 v10, 21, v118 :: v_dual_add_nc_u32 v15, 20, v118
	v_lshlrev_b64_e64 v[10:11], v10, -1
	s_delay_alu instid0(VALU_DEP_2) | instskip(NEXT) | instid1(VALU_DEP_2)
	v_lshlrev_b64_e64 v[14:15], v15, 1
	v_bfi_b32 v41, v11, 0, 0
	s_delay_alu instid0(VALU_DEP_3) | instskip(SKIP_1) | instid1(VALU_DEP_2)
	v_bfi_b32 v40, v10, 0, v64
	v_lshrrev_b64 v[10:11], v118, v[64:65]
	v_cmp_eq_u64_e64 s11, v[40:41], v[14:15]
	s_delay_alu instid0(VALU_DEP_2)
	v_mov_b64_e32 v[14:15], v[10:11]
	s_and_saveexec_b32 s40, s11
; %bb.1746:                             ;   in Loop: Header=BB4_1414 Depth=2
	v_bfe_u32 v64, v10, 21, 1
	s_delay_alu instid0(VALU_DEP_1) | instskip(NEXT) | instid1(VALU_DEP_1)
	v_add_nc_u64_e32 v[14:15], v[10:11], v[64:65]
	v_add_nc_u64_e32 v[14:15], -1, v[14:15]
; %bb.1747:                             ;   in Loop: Header=BB4_1414 Depth=2
	s_or_b32 exec_lo, exec_lo, s40
	v_add_nc_u32_e32 v11, 0xffffff81, v25
	v_lshrrev_b32_e32 v15, 23, v10
	s_mov_b32 s11, exec_lo
	s_delay_alu instid0(VALU_DEP_2) | instskip(NEXT) | instid1(VALU_DEP_1)
	v_cndmask_b32_e64 v11, v11, 0xffffff82, s10
	v_add3_u32 v15, v118, v11, v15
	v_and_b32_e32 v11, 0x1fffff, v14
                                        ; implicit-def: $vgpr14
	s_delay_alu instid0(VALU_DEP_1) | instskip(NEXT) | instid1(VALU_DEP_1)
	v_dual_add_nc_u32 v25, 14, v15 :: v_dual_add_nc_u32 v64, v11, v10
                                        ; implicit-def: $vgpr10_vgpr11
	v_cmpx_ne_u32_e32 0, v25
	s_xor_b32 s11, exec_lo, s11
; %bb.1748:                             ;   in Loop: Header=BB4_1414 Depth=2
	s_delay_alu instid0(VALU_DEP_2) | instskip(SKIP_1) | instid1(VALU_DEP_1)
	v_cmp_lt_u64_e64 s10, 0xffffff, v[64:65]
	v_add_nc_u32_e32 v10, 15, v15
	v_cndmask_b32_e64 v14, v25, v10, s10
	v_cndmask_b32_e64 v10, 0, 1, s10
	s_delay_alu instid0(VALU_DEP_1)
	v_lshrrev_b64 v[10:11], v10, v[64:65]
; %bb.1749:                             ;   in Loop: Header=BB4_1414 Depth=2
	s_and_not1_saveexec_b32 s10, s11
; %bb.1750:                             ;   in Loop: Header=BB4_1414 Depth=2
	v_mov_b64_e32 v[10:11], v[64:65]
	v_bfe_u32 v14, v64, 23, 1
; %bb.1751:                             ;   in Loop: Header=BB4_1414 Depth=2
	s_or_b32 exec_lo, exec_lo, s10
	s_delay_alu instid0(VALU_DEP_2) | instskip(NEXT) | instid1(VALU_DEP_2)
	v_lshrrev_b64 v[10:11], 21, v[10:11]
	v_cmp_gt_i32_e64 s10, 32, v14
	v_min_i32_e32 v15, 31, v14
	v_cmp_eq_u32_e64 s11, 0, v14
	s_delay_alu instid0(VALU_DEP_3) | instskip(NEXT) | instid1(VALU_DEP_3)
	v_cndmask_b32_e64 v11, 0, v11, s10
	v_dual_lshlrev_b32 v15, 2, v15 :: v_dual_cndmask_b32 v10, 3, v10, s10
	s_delay_alu instid0(VALU_DEP_1) | instskip(NEXT) | instid1(VALU_DEP_2)
	v_and_b32_e32 v15, 0xfc, v15
	v_cmp_eq_u64_e64 s10, 0, v[10:11]
	s_delay_alu instid0(VALU_DEP_2)
	v_and_or_b32 v10, v10, 3, v15
	s_and_b32 s10, s11, s10
	s_delay_alu instid0(VALU_DEP_1) | instid1(SALU_CYCLE_1)
	v_cndmask_b32_e64 v10, v10, 0, s10
	s_delay_alu instid0(VALU_DEP_1)
	v_or_b32_e32 v118, v10, v24
.LBB4_1752:                             ;   in Loop: Header=BB4_1414 Depth=2
	s_or_b32 exec_lo, exec_lo, s29
                                        ; implicit-def: $vgpr24
.LBB4_1753:                             ;   in Loop: Header=BB4_1414 Depth=2
	s_and_not1_saveexec_b32 s10, s28
; %bb.1754:                             ;   in Loop: Header=BB4_1414 Depth=2
	v_or_b32_e32 v118, 0x7b, v24
; %bb.1755:                             ;   in Loop: Header=BB4_1414 Depth=2
	s_or_b32 exec_lo, exec_lo, s10
                                        ; implicit-def: $vgpr10
                                        ; implicit-def: $vgpr11
.LBB4_1756:                             ;   in Loop: Header=BB4_1414 Depth=2
	s_and_not1_saveexec_b32 s11, s27
	s_cbranch_execz .LBB4_1762
; %bb.1757:                             ;   in Loop: Header=BB4_1414 Depth=2
	v_cmp_ne_u64_e64 s10, 0, v[64:65]
                                        ; implicit-def: $vgpr118
	s_and_saveexec_b32 s27, s10
	s_delay_alu instid0(SALU_CYCLE_1)
	s_xor_b32 s10, exec_lo, s27
; %bb.1758:                             ;   in Loop: Header=BB4_1414 Depth=2
	v_or_b32_e32 v118, 0x7f, v11
                                        ; implicit-def: $vgpr10
; %bb.1759:                             ;   in Loop: Header=BB4_1414 Depth=2
	s_and_not1_saveexec_b32 s27, s10
; %bb.1760:                             ;   in Loop: Header=BB4_1414 Depth=2
	v_cmp_lt_i32_e64 s10, -1, v10
	s_delay_alu instid0(VALU_DEP_1)
	v_cndmask_b32_e64 v118, 0xfc, v68, s10
; %bb.1761:                             ;   in Loop: Header=BB4_1414 Depth=2
	s_or_b32 exec_lo, exec_lo, s27
.LBB4_1762:                             ;   in Loop: Header=BB4_1414 Depth=2
	s_delay_alu instid0(SALU_CYCLE_1) | instskip(SKIP_2) | instid1(VALU_DEP_1)
	s_or_b32 exec_lo, exec_lo, s11
	v_dual_mov_b32 v11, 0 :: v_dual_lshrrev_b32 v10, 16, v16
	s_mov_b32 s11, exec_lo
	v_and_b32_e32 v14, 0xff, v10
	s_delay_alu instid0(VALU_DEP_1)
	v_cmpx_ne_u16_e32 0, v14
	s_cbranch_execz .LBB4_1772
; %bb.1763:                             ;   in Loop: Header=BB4_1414 Depth=2
	v_bfrev_b32_e32 v11, 1
	s_mov_b32 s27, exec_lo
	v_cmpx_ne_u16_e32 0x80, v14
	s_cbranch_execz .LBB4_1771
; %bb.1764:                             ;   in Loop: Header=BB4_1414 Depth=2
	v_and_b32_e32 v11, 0x7c0000, v16
	v_bfe_u32 v14, v16, 16, 2
	s_delay_alu instid0(VALU_DEP_2) | instskip(SKIP_1) | instid1(SALU_CYCLE_1)
	v_cmp_ne_u32_e64 s10, 0x7c0000, v11
                                        ; implicit-def: $vgpr11
	s_and_saveexec_b32 s28, s10
	s_xor_b32 s28, exec_lo, s28
	s_cbranch_execz .LBB4_1768
; %bb.1765:                             ;   in Loop: Header=BB4_1414 Depth=2
	v_bfe_u32 v11, v16, 18, 5
	s_mov_b32 s29, exec_lo
	s_delay_alu instid0(VALU_DEP_1)
	v_cmpx_eq_u32_e32 0, v11
; %bb.1766:                             ;   in Loop: Header=BB4_1414 Depth=2
	v_clz_i32_u32_e32 v11, v14
	s_delay_alu instid0(VALU_DEP_1) | instskip(NEXT) | instid1(VALU_DEP_1)
	v_min_u32_e32 v11, 32, v11
	v_subrev_nc_u32_e32 v14, 29, v11
	s_delay_alu instid0(VALU_DEP_1) | instskip(NEXT) | instid1(VALU_DEP_1)
	v_lshlrev_b64_e32 v[14:15], v14, v[10:11]
	v_dual_sub_nc_u32 v11, 30, v11 :: v_dual_bitop2_b32 v14, 3, v14 bitop3:0x40
; %bb.1767:                             ;   in Loop: Header=BB4_1414 Depth=2
	s_or_b32 exec_lo, exec_lo, s29
	v_lshlrev_b32_e32 v10, 24, v10
	s_delay_alu instid0(VALU_DEP_1) | instskip(NEXT) | instid1(VALU_DEP_1)
	v_and_b32_e32 v10, 0x80000000, v10
	v_lshl_add_u32 v10, v11, 23, v10
	s_delay_alu instid0(VALU_DEP_1) | instskip(NEXT) | instid1(VALU_DEP_1)
	v_lshl_or_b32 v10, v14, 21, v10
                                        ; implicit-def: $vgpr14
	v_add_nc_u32_e32 v11, 0x38000000, v10
                                        ; implicit-def: $vgpr10
.LBB4_1768:                             ;   in Loop: Header=BB4_1414 Depth=2
	s_and_not1_saveexec_b32 s28, s28
; %bb.1769:                             ;   in Loop: Header=BB4_1414 Depth=2
	v_bfe_i32 v10, v10, 0, 8
	s_delay_alu instid0(VALU_DEP_1) | instskip(NEXT) | instid1(VALU_DEP_1)
	v_cmp_lt_i16_e64 s10, -1, v10
	v_cndmask_b32_e64 v10, 0xff800000, v126, s10
	v_cmp_eq_u32_e64 s10, 0, v14
	s_delay_alu instid0(VALU_DEP_1)
	v_cndmask_b32_e64 v11, 0x7f800001, v10, s10
; %bb.1770:                             ;   in Loop: Header=BB4_1414 Depth=2
	s_or_b32 exec_lo, exec_lo, s28
.LBB4_1771:                             ;   in Loop: Header=BB4_1414 Depth=2
	s_delay_alu instid0(SALU_CYCLE_1)
	s_or_b32 exec_lo, exec_lo, s27
.LBB4_1772:                             ;   in Loop: Header=BB4_1414 Depth=2
	s_delay_alu instid0(SALU_CYCLE_1) | instskip(SKIP_3) | instid1(VALU_DEP_1)
	s_or_b32 exec_lo, exec_lo, s11
	v_lshrrev_b32_e32 v10, 16, v12
	s_mov_b32 s27, 0
	s_mov_b32 s11, exec_lo
	v_and_b32_e32 v15, 0xff, v10
	s_delay_alu instid0(VALU_DEP_1)
	v_cmpx_lt_i16_e32 0x7f, v15
	s_xor_b32 s11, exec_lo, s11
	s_cbranch_execz .LBB4_1981
; %bb.1773:                             ;   in Loop: Header=BB4_1414 Depth=2
	s_mov_b32 s27, -1
	s_mov_b32 s28, exec_lo
	v_cmpx_eq_u16_e32 0x80, v15
; %bb.1774:                             ;   in Loop: Header=BB4_1414 Depth=2
	s_xor_b32 s27, exec_lo, -1
; %bb.1775:                             ;   in Loop: Header=BB4_1414 Depth=2
	s_or_b32 exec_lo, exec_lo, s28
	s_delay_alu instid0(SALU_CYCLE_1)
	s_and_b32 s27, s27, exec_lo
                                        ; implicit-def: $vgpr15
	s_or_saveexec_b32 s11, s11
	v_bfrev_b32_e32 v14, 1
	s_xor_b32 exec_lo, exec_lo, s11
	s_cbranch_execnz .LBB4_1982
.LBB4_1776:                             ;   in Loop: Header=BB4_1414 Depth=2
	s_or_b32 exec_lo, exec_lo, s11
	s_and_saveexec_b32 s11, s27
	s_cbranch_execz .LBB4_1778
.LBB4_1777:                             ;   in Loop: Header=BB4_1414 Depth=2
	v_and_b32_e32 v24, 3, v10
	v_bfe_u32 v64, v12, 18, 5
	s_delay_alu instid0(VALU_DEP_2) | instskip(NEXT) | instid1(VALU_DEP_2)
	v_clz_i32_u32_e32 v14, v24
	v_cmp_eq_u32_e64 s10, 0, v64
	s_delay_alu instid0(VALU_DEP_2) | instskip(NEXT) | instid1(VALU_DEP_1)
	v_min_u32_e32 v25, 32, v14
	v_subrev_nc_u32_e32 v14, 29, v25
	s_delay_alu instid0(VALU_DEP_1) | instskip(SKIP_2) | instid1(VALU_DEP_2)
	v_lshlrev_b64_e32 v[14:15], v14, v[10:11]
	v_dual_lshlrev_b32 v15, 24, v10 :: v_dual_sub_nc_u32 v25, 30, v25
	v_bfe_i32 v10, v10, 0, 8
	v_and_b32_e32 v15, 0x80000000, v15
	s_delay_alu instid0(VALU_DEP_3) | instskip(NEXT) | instid1(VALU_DEP_1)
	v_dual_cndmask_b32 v25, v64, v25, s10 :: v_dual_bitop2_b32 v14, 3, v14 bitop3:0x40
	v_cndmask_b32_e64 v14, v24, v14, s10
	s_delay_alu instid0(VALU_DEP_2) | instskip(SKIP_1) | instid1(VALU_DEP_2)
	v_lshl_add_u32 v15, v25, 23, v15
	v_cmp_lt_i16_e64 s10, -1, v10
	v_lshl_or_b32 v14, v14, 21, v15
	s_delay_alu instid0(VALU_DEP_2) | instskip(SKIP_2) | instid1(VALU_DEP_4)
	v_cndmask_b32_e64 v10, 0xff800000, v126, s10
	v_and_b32_e32 v15, 0x7c0000, v12
	v_cmp_eq_u32_e64 s10, 0, v24
	v_add_nc_u32_e32 v14, 0x38000000, v14
	s_delay_alu instid0(VALU_DEP_2) | instskip(NEXT) | instid1(VALU_DEP_4)
	v_cndmask_b32_e64 v10, 0x7f800001, v10, s10
	v_cmp_eq_u32_e64 s10, 0x7c0000, v15
	s_delay_alu instid0(VALU_DEP_1)
	v_cndmask_b32_e64 v14, v14, v10, s10
.LBB4_1778:                             ;   in Loop: Header=BB4_1414 Depth=2
	s_or_b32 exec_lo, exec_lo, s11
	s_delay_alu instid0(VALU_DEP_1) | instskip(SKIP_1) | instid1(VALU_DEP_1)
	v_dual_mul_f32 v10, v11, v14 :: v_dual_mov_b32 v15, v65
                                        ; implicit-def: $vgpr119
	s_mov_b32 s11, exec_lo
	v_and_b32_e32 v14, 0x7f800000, v10
	v_and_b32_e32 v64, 0x7fffff, v10
	v_lshrrev_b32_e32 v11, 24, v10
	s_delay_alu instid0(VALU_DEP_3)
	v_cmpx_ne_u64_e32 0x7f800000, v[14:15]
	s_xor_b32 s27, exec_lo, s11
	s_cbranch_execz .LBB4_1792
; %bb.1779:                             ;   in Loop: Header=BB4_1414 Depth=2
	v_and_b32_e32 v14, 0x7fffffff, v10
	v_mov_b32_e32 v15, v65
	v_and_b32_e32 v24, 0x80, v11
                                        ; implicit-def: $vgpr119
	s_mov_b32 s11, exec_lo
	s_delay_alu instid0(VALU_DEP_2)
	v_cmpx_gt_u64_e32 0x47600001, v[14:15]
	s_xor_b32 s28, exec_lo, s11
	s_cbranch_execz .LBB4_1789
; %bb.1780:                             ;   in Loop: Header=BB4_1414 Depth=2
	v_mov_b32_e32 v119, 0
	s_mov_b32 s29, exec_lo
	v_cmpx_ne_u32_e32 0, v10
	s_cbranch_execz .LBB4_1788
; %bb.1781:                             ;   in Loop: Header=BB4_1414 Depth=2
	v_bfe_u32 v25, v10, 23, 8
	v_or_b32_e32 v14, 0x800000, v64
	s_delay_alu instid0(VALU_DEP_2) | instskip(SKIP_1) | instid1(VALU_DEP_1)
	v_sub_nc_u32_e32 v10, 0x71, v25
	v_cmp_gt_u32_e64 s10, 0x72, v25
	v_cndmask_b32_e64 v10, 0, v10, s10
	v_cmp_eq_u32_e64 s10, 0, v25
	s_delay_alu instid0(VALU_DEP_1) | instskip(NEXT) | instid1(VALU_DEP_1)
	v_cndmask_b32_e64 v119, v10, 0x70, s10
	v_dual_cndmask_b32 v64, v14, v64, s10 :: v_dual_add_nc_u32 v10, 21, v119
	v_add_nc_u32_e32 v15, 20, v119
	s_delay_alu instid0(VALU_DEP_2) | instskip(NEXT) | instid1(VALU_DEP_2)
	v_lshlrev_b64_e64 v[10:11], v10, -1
	v_lshlrev_b64_e64 v[14:15], v15, 1
	s_delay_alu instid0(VALU_DEP_2) | instskip(NEXT) | instid1(VALU_DEP_3)
	v_bfi_b32 v41, v11, 0, 0
	v_bfi_b32 v40, v10, 0, v64
	v_lshrrev_b64 v[10:11], v119, v[64:65]
	s_delay_alu instid0(VALU_DEP_2) | instskip(NEXT) | instid1(VALU_DEP_2)
	v_cmp_eq_u64_e64 s11, v[40:41], v[14:15]
	v_mov_b64_e32 v[14:15], v[10:11]
	s_and_saveexec_b32 s40, s11
; %bb.1782:                             ;   in Loop: Header=BB4_1414 Depth=2
	v_bfe_u32 v64, v10, 21, 1
	s_delay_alu instid0(VALU_DEP_1) | instskip(NEXT) | instid1(VALU_DEP_1)
	v_add_nc_u64_e32 v[14:15], v[10:11], v[64:65]
	v_add_nc_u64_e32 v[14:15], -1, v[14:15]
; %bb.1783:                             ;   in Loop: Header=BB4_1414 Depth=2
	s_or_b32 exec_lo, exec_lo, s40
	v_add_nc_u32_e32 v11, 0xffffff81, v25
	v_lshrrev_b32_e32 v15, 23, v10
	s_mov_b32 s11, exec_lo
	s_delay_alu instid0(VALU_DEP_2) | instskip(NEXT) | instid1(VALU_DEP_1)
	v_cndmask_b32_e64 v11, v11, 0xffffff82, s10
	v_add3_u32 v15, v119, v11, v15
	v_and_b32_e32 v11, 0x1fffff, v14
                                        ; implicit-def: $vgpr14
	s_delay_alu instid0(VALU_DEP_1) | instskip(NEXT) | instid1(VALU_DEP_1)
	v_dual_add_nc_u32 v25, 14, v15 :: v_dual_add_nc_u32 v64, v11, v10
                                        ; implicit-def: $vgpr10_vgpr11
	v_cmpx_ne_u32_e32 0, v25
	s_xor_b32 s11, exec_lo, s11
; %bb.1784:                             ;   in Loop: Header=BB4_1414 Depth=2
	s_delay_alu instid0(VALU_DEP_2) | instskip(SKIP_1) | instid1(VALU_DEP_1)
	v_cmp_lt_u64_e64 s10, 0xffffff, v[64:65]
	v_add_nc_u32_e32 v10, 15, v15
	v_cndmask_b32_e64 v14, v25, v10, s10
	v_cndmask_b32_e64 v10, 0, 1, s10
	s_delay_alu instid0(VALU_DEP_1)
	v_lshrrev_b64 v[10:11], v10, v[64:65]
; %bb.1785:                             ;   in Loop: Header=BB4_1414 Depth=2
	s_and_not1_saveexec_b32 s10, s11
; %bb.1786:                             ;   in Loop: Header=BB4_1414 Depth=2
	v_mov_b64_e32 v[10:11], v[64:65]
	v_bfe_u32 v14, v64, 23, 1
; %bb.1787:                             ;   in Loop: Header=BB4_1414 Depth=2
	s_or_b32 exec_lo, exec_lo, s10
	s_delay_alu instid0(VALU_DEP_2) | instskip(NEXT) | instid1(VALU_DEP_2)
	v_lshrrev_b64 v[10:11], 21, v[10:11]
	v_cmp_gt_i32_e64 s10, 32, v14
	v_min_i32_e32 v15, 31, v14
	v_cmp_eq_u32_e64 s11, 0, v14
	s_delay_alu instid0(VALU_DEP_3) | instskip(NEXT) | instid1(VALU_DEP_3)
	v_cndmask_b32_e64 v11, 0, v11, s10
	v_dual_lshlrev_b32 v15, 2, v15 :: v_dual_cndmask_b32 v10, 3, v10, s10
	s_delay_alu instid0(VALU_DEP_1) | instskip(NEXT) | instid1(VALU_DEP_2)
	v_and_b32_e32 v15, 0xfc, v15
	v_cmp_eq_u64_e64 s10, 0, v[10:11]
	s_delay_alu instid0(VALU_DEP_2)
	v_and_or_b32 v10, v10, 3, v15
	s_and_b32 s10, s11, s10
	s_delay_alu instid0(VALU_DEP_1) | instid1(SALU_CYCLE_1)
	v_cndmask_b32_e64 v10, v10, 0, s10
	s_delay_alu instid0(VALU_DEP_1)
	v_or_b32_e32 v119, v10, v24
.LBB4_1788:                             ;   in Loop: Header=BB4_1414 Depth=2
	s_or_b32 exec_lo, exec_lo, s29
                                        ; implicit-def: $vgpr24
.LBB4_1789:                             ;   in Loop: Header=BB4_1414 Depth=2
	s_and_not1_saveexec_b32 s10, s28
; %bb.1790:                             ;   in Loop: Header=BB4_1414 Depth=2
	v_or_b32_e32 v119, 0x7b, v24
; %bb.1791:                             ;   in Loop: Header=BB4_1414 Depth=2
	s_or_b32 exec_lo, exec_lo, s10
                                        ; implicit-def: $vgpr10
                                        ; implicit-def: $vgpr11
.LBB4_1792:                             ;   in Loop: Header=BB4_1414 Depth=2
	s_and_not1_saveexec_b32 s11, s27
	s_cbranch_execz .LBB4_1798
; %bb.1793:                             ;   in Loop: Header=BB4_1414 Depth=2
	v_cmp_ne_u64_e64 s10, 0, v[64:65]
                                        ; implicit-def: $vgpr119
	s_and_saveexec_b32 s27, s10
	s_delay_alu instid0(SALU_CYCLE_1)
	s_xor_b32 s10, exec_lo, s27
; %bb.1794:                             ;   in Loop: Header=BB4_1414 Depth=2
	v_or_b32_e32 v119, 0x7f, v11
                                        ; implicit-def: $vgpr10
; %bb.1795:                             ;   in Loop: Header=BB4_1414 Depth=2
	s_and_not1_saveexec_b32 s27, s10
; %bb.1796:                             ;   in Loop: Header=BB4_1414 Depth=2
	v_cmp_lt_i32_e64 s10, -1, v10
	s_delay_alu instid0(VALU_DEP_1)
	v_cndmask_b32_e64 v119, 0xfc, v68, s10
; %bb.1797:                             ;   in Loop: Header=BB4_1414 Depth=2
	s_or_b32 exec_lo, exec_lo, s27
.LBB4_1798:                             ;   in Loop: Header=BB4_1414 Depth=2
	s_delay_alu instid0(SALU_CYCLE_1)
	s_or_b32 exec_lo, exec_lo, s11
	v_mov_b32_e32 v11, 0
	s_mov_b32 s11, exec_lo
	v_cmpx_lt_u32_e32 0xffffff, v16
	s_cbranch_execz .LBB4_1808
; %bb.1799:                             ;   in Loop: Header=BB4_1414 Depth=2
	v_lshrrev_b32_e32 v10, 24, v16
	v_bfrev_b32_e32 v11, 1
	s_mov_b32 s27, exec_lo
	s_delay_alu instid0(VALU_DEP_2)
	v_cmpx_ne_u32_e32 0x80, v10
	s_cbranch_execz .LBB4_1807
; %bb.1800:                             ;   in Loop: Header=BB4_1414 Depth=2
	v_and_b32_e32 v11, 0x7c000000, v16
	v_bfe_u32 v14, v16, 24, 2
	s_delay_alu instid0(VALU_DEP_2) | instskip(SKIP_1) | instid1(SALU_CYCLE_1)
	v_cmp_ne_u32_e64 s10, 0x7c000000, v11
                                        ; implicit-def: $vgpr11
	s_and_saveexec_b32 s28, s10
	s_xor_b32 s28, exec_lo, s28
	s_cbranch_execz .LBB4_1804
; %bb.1801:                             ;   in Loop: Header=BB4_1414 Depth=2
	v_bfe_u32 v11, v16, 26, 5
	s_mov_b32 s29, exec_lo
	s_delay_alu instid0(VALU_DEP_1)
	v_cmpx_eq_u32_e32 0, v11
; %bb.1802:                             ;   in Loop: Header=BB4_1414 Depth=2
	v_clz_i32_u32_e32 v11, v14
	s_delay_alu instid0(VALU_DEP_1) | instskip(NEXT) | instid1(VALU_DEP_1)
	v_min_u32_e32 v14, 32, v11
	v_subrev_nc_u32_e32 v11, 29, v14
	s_delay_alu instid0(VALU_DEP_1) | instskip(SKIP_1) | instid1(VALU_DEP_2)
	v_lshlrev_b64_e32 v[10:11], v11, v[10:11]
	v_sub_nc_u32_e32 v11, 30, v14
	v_and_b32_e32 v14, 3, v10
; %bb.1803:                             ;   in Loop: Header=BB4_1414 Depth=2
	s_or_b32 exec_lo, exec_lo, s29
	v_and_b32_e32 v10, 0x80000000, v16
	s_delay_alu instid0(VALU_DEP_1) | instskip(NEXT) | instid1(VALU_DEP_1)
	v_lshl_add_u32 v10, v11, 23, v10
	v_lshl_or_b32 v10, v14, 21, v10
                                        ; implicit-def: $vgpr14
	s_delay_alu instid0(VALU_DEP_1)
	v_add_nc_u32_e32 v11, 0x38000000, v10
.LBB4_1804:                             ;   in Loop: Header=BB4_1414 Depth=2
	s_and_not1_saveexec_b32 s28, s28
; %bb.1805:                             ;   in Loop: Header=BB4_1414 Depth=2
	v_cmp_lt_i32_e64 s10, -1, v16
	s_delay_alu instid0(VALU_DEP_1) | instskip(SKIP_1) | instid1(VALU_DEP_1)
	v_cndmask_b32_e64 v10, 0xff800000, v126, s10
	v_cmp_eq_u32_e64 s10, 0, v14
	v_cndmask_b32_e64 v11, 0x7f800001, v10, s10
; %bb.1806:                             ;   in Loop: Header=BB4_1414 Depth=2
	s_or_b32 exec_lo, exec_lo, s28
.LBB4_1807:                             ;   in Loop: Header=BB4_1414 Depth=2
	s_delay_alu instid0(SALU_CYCLE_1)
	s_or_b32 exec_lo, exec_lo, s27
.LBB4_1808:                             ;   in Loop: Header=BB4_1414 Depth=2
	s_delay_alu instid0(SALU_CYCLE_1) | instskip(SKIP_3) | instid1(VALU_DEP_2)
	s_or_b32 exec_lo, exec_lo, s11
	v_bfe_u32 v24, v12, 24, 2
	v_bfe_u32 v64, v12, 26, 5
                                        ; implicit-def: $vgpr40
	s_mov_b32 s11, exec_lo
	v_clz_i32_u32_e32 v10, v24
	s_delay_alu instid0(VALU_DEP_2) | instskip(NEXT) | instid1(VALU_DEP_2)
	v_cmp_eq_u32_e64 s10, 0, v64
	v_min_u32_e32 v25, 32, v10
	v_lshrrev_b32_e32 v10, 24, v12
	s_delay_alu instid0(VALU_DEP_2) | instskip(NEXT) | instid1(VALU_DEP_1)
	v_subrev_nc_u32_e32 v14, 29, v25
	v_lshlrev_b64_e32 v[14:15], v14, v[10:11]
	v_sub_nc_u32_e32 v15, 30, v25
	v_and_b32_e32 v25, 0x80000000, v12
	s_delay_alu instid0(VALU_DEP_2) | instskip(NEXT) | instid1(VALU_DEP_1)
	v_dual_cndmask_b32 v15, v64, v15, s10 :: v_dual_bitop2_b32 v14, 3, v14 bitop3:0x40
	v_lshl_add_u32 v15, v15, 23, v25
	s_delay_alu instid0(VALU_DEP_2) | instskip(SKIP_1) | instid1(VALU_DEP_2)
	v_cndmask_b32_e64 v14, v24, v14, s10
	v_cmp_lt_i32_e64 s10, -1, v12
	v_lshl_or_b32 v14, v14, 21, v15
	s_delay_alu instid0(VALU_DEP_2) | instskip(SKIP_2) | instid1(VALU_DEP_4)
	v_cndmask_b32_e64 v25, 0xff800000, v126, s10
	v_and_b32_e32 v15, 0x7c000000, v12
	v_cmp_eq_u32_e64 s10, 0, v24
	v_add_nc_u32_e32 v14, 0x38000000, v14
	s_delay_alu instid0(VALU_DEP_2) | instskip(NEXT) | instid1(VALU_DEP_4)
	v_cndmask_b32_e64 v24, 0x7f800001, v25, s10
	v_cmp_eq_u32_e64 s10, 0x7c000000, v15
	s_delay_alu instid0(VALU_DEP_1) | instskip(SKIP_1) | instid1(VALU_DEP_1)
	v_dual_mov_b32 v15, v65 :: v_dual_cndmask_b32 v14, v14, v24, s10
	v_cmp_ne_u32_e64 s10, 0x80, v10
	v_cndmask_b32_e64 v10, 0x80000000, v14, s10
	v_cmp_lt_u32_e64 s10, 0xffffff, v12
	s_delay_alu instid0(VALU_DEP_1) | instskip(NEXT) | instid1(VALU_DEP_1)
	v_cndmask_b32_e64 v10, 0, v10, s10
	v_mul_f32_e32 v10, v10, v11
	s_delay_alu instid0(VALU_DEP_1) | instskip(SKIP_2) | instid1(VALU_DEP_3)
	v_and_b32_e32 v14, 0x7f800000, v10
	v_and_b32_e32 v64, 0x7fffff, v10
	v_lshrrev_b32_e32 v11, 24, v10
	v_cmpx_ne_u64_e32 0x7f800000, v[14:15]
	s_xor_b32 s27, exec_lo, s11
	s_cbranch_execz .LBB4_1822
; %bb.1809:                             ;   in Loop: Header=BB4_1414 Depth=2
	v_and_b32_e32 v14, 0x7fffffff, v10
	v_mov_b32_e32 v15, v65
	v_and_b32_e32 v24, 0x80, v11
                                        ; implicit-def: $vgpr40
	s_mov_b32 s11, exec_lo
	s_delay_alu instid0(VALU_DEP_2)
	v_cmpx_gt_u64_e32 0x47600001, v[14:15]
	s_xor_b32 s28, exec_lo, s11
	s_cbranch_execz .LBB4_1819
; %bb.1810:                             ;   in Loop: Header=BB4_1414 Depth=2
	v_mov_b32_e32 v40, 0
	s_mov_b32 s29, exec_lo
	v_cmpx_ne_u32_e32 0, v10
	s_cbranch_execz .LBB4_1818
; %bb.1811:                             ;   in Loop: Header=BB4_1414 Depth=2
	v_bfe_u32 v25, v10, 23, 8
	v_or_b32_e32 v14, 0x800000, v64
	s_delay_alu instid0(VALU_DEP_2) | instskip(SKIP_1) | instid1(VALU_DEP_1)
	v_sub_nc_u32_e32 v10, 0x71, v25
	v_cmp_gt_u32_e64 s10, 0x72, v25
	v_cndmask_b32_e64 v10, 0, v10, s10
	v_cmp_eq_u32_e64 s10, 0, v25
	s_delay_alu instid0(VALU_DEP_1) | instskip(SKIP_1) | instid1(VALU_DEP_2)
	v_cndmask_b32_e64 v40, v10, 0x70, s10
	v_cndmask_b32_e64 v64, v14, v64, s10
	v_dual_add_nc_u32 v10, 21, v40 :: v_dual_add_nc_u32 v15, 20, v40
	s_delay_alu instid0(VALU_DEP_1) | instskip(NEXT) | instid1(VALU_DEP_2)
	v_lshlrev_b64_e64 v[10:11], v10, -1
	v_lshlrev_b64_e64 v[14:15], v15, 1
	s_delay_alu instid0(VALU_DEP_2) | instskip(NEXT) | instid1(VALU_DEP_3)
	v_bfi_b32 v43, v11, 0, 0
	v_bfi_b32 v42, v10, 0, v64
	v_lshrrev_b64 v[10:11], v40, v[64:65]
	s_delay_alu instid0(VALU_DEP_2) | instskip(NEXT) | instid1(VALU_DEP_2)
	v_cmp_eq_u64_e64 s11, v[42:43], v[14:15]
	v_mov_b64_e32 v[14:15], v[10:11]
	s_and_saveexec_b32 s40, s11
; %bb.1812:                             ;   in Loop: Header=BB4_1414 Depth=2
	v_bfe_u32 v64, v10, 21, 1
	s_delay_alu instid0(VALU_DEP_1) | instskip(NEXT) | instid1(VALU_DEP_1)
	v_add_nc_u64_e32 v[14:15], v[10:11], v[64:65]
	v_add_nc_u64_e32 v[14:15], -1, v[14:15]
; %bb.1813:                             ;   in Loop: Header=BB4_1414 Depth=2
	s_or_b32 exec_lo, exec_lo, s40
	v_add_nc_u32_e32 v11, 0xffffff81, v25
	v_lshrrev_b32_e32 v15, 23, v10
	s_mov_b32 s11, exec_lo
	s_delay_alu instid0(VALU_DEP_2) | instskip(NEXT) | instid1(VALU_DEP_1)
	v_cndmask_b32_e64 v11, v11, 0xffffff82, s10
	v_add3_u32 v15, v40, v11, v15
	v_and_b32_e32 v11, 0x1fffff, v14
                                        ; implicit-def: $vgpr14
	s_delay_alu instid0(VALU_DEP_1) | instskip(NEXT) | instid1(VALU_DEP_1)
	v_dual_add_nc_u32 v25, 14, v15 :: v_dual_add_nc_u32 v64, v11, v10
                                        ; implicit-def: $vgpr10_vgpr11
	v_cmpx_ne_u32_e32 0, v25
	s_xor_b32 s11, exec_lo, s11
; %bb.1814:                             ;   in Loop: Header=BB4_1414 Depth=2
	s_delay_alu instid0(VALU_DEP_2) | instskip(SKIP_1) | instid1(VALU_DEP_1)
	v_cmp_lt_u64_e64 s10, 0xffffff, v[64:65]
	v_add_nc_u32_e32 v10, 15, v15
	v_cndmask_b32_e64 v14, v25, v10, s10
	v_cndmask_b32_e64 v10, 0, 1, s10
	s_delay_alu instid0(VALU_DEP_1)
	v_lshrrev_b64 v[10:11], v10, v[64:65]
; %bb.1815:                             ;   in Loop: Header=BB4_1414 Depth=2
	s_and_not1_saveexec_b32 s10, s11
; %bb.1816:                             ;   in Loop: Header=BB4_1414 Depth=2
	v_mov_b64_e32 v[10:11], v[64:65]
	v_bfe_u32 v14, v64, 23, 1
; %bb.1817:                             ;   in Loop: Header=BB4_1414 Depth=2
	s_or_b32 exec_lo, exec_lo, s10
	s_delay_alu instid0(VALU_DEP_2) | instskip(NEXT) | instid1(VALU_DEP_2)
	v_lshrrev_b64 v[10:11], 21, v[10:11]
	v_cmp_gt_i32_e64 s10, 32, v14
	v_min_i32_e32 v15, 31, v14
	v_cmp_eq_u32_e64 s11, 0, v14
	s_delay_alu instid0(VALU_DEP_3) | instskip(NEXT) | instid1(VALU_DEP_3)
	v_cndmask_b32_e64 v11, 0, v11, s10
	v_dual_lshlrev_b32 v15, 2, v15 :: v_dual_cndmask_b32 v10, 3, v10, s10
	s_delay_alu instid0(VALU_DEP_1) | instskip(NEXT) | instid1(VALU_DEP_2)
	v_and_b32_e32 v15, 0xfc, v15
	v_cmp_eq_u64_e64 s10, 0, v[10:11]
	s_delay_alu instid0(VALU_DEP_2)
	v_and_or_b32 v10, v10, 3, v15
	s_and_b32 s10, s11, s10
	s_delay_alu instid0(VALU_DEP_1) | instid1(SALU_CYCLE_1)
	v_cndmask_b32_e64 v10, v10, 0, s10
	s_delay_alu instid0(VALU_DEP_1)
	v_or_b32_e32 v40, v10, v24
.LBB4_1818:                             ;   in Loop: Header=BB4_1414 Depth=2
	s_or_b32 exec_lo, exec_lo, s29
                                        ; implicit-def: $vgpr24
.LBB4_1819:                             ;   in Loop: Header=BB4_1414 Depth=2
	s_and_not1_saveexec_b32 s10, s28
; %bb.1820:                             ;   in Loop: Header=BB4_1414 Depth=2
	v_or_b32_e32 v40, 0x7b, v24
; %bb.1821:                             ;   in Loop: Header=BB4_1414 Depth=2
	s_or_b32 exec_lo, exec_lo, s10
                                        ; implicit-def: $vgpr10
                                        ; implicit-def: $vgpr11
.LBB4_1822:                             ;   in Loop: Header=BB4_1414 Depth=2
	s_and_not1_saveexec_b32 s11, s27
	s_cbranch_execz .LBB4_1828
; %bb.1823:                             ;   in Loop: Header=BB4_1414 Depth=2
	v_cmp_ne_u64_e64 s10, 0, v[64:65]
                                        ; implicit-def: $vgpr40
	s_and_saveexec_b32 s27, s10
	s_delay_alu instid0(SALU_CYCLE_1)
	s_xor_b32 s10, exec_lo, s27
; %bb.1824:                             ;   in Loop: Header=BB4_1414 Depth=2
	v_or_b32_e32 v40, 0x7f, v11
                                        ; implicit-def: $vgpr10
; %bb.1825:                             ;   in Loop: Header=BB4_1414 Depth=2
	s_and_not1_saveexec_b32 s27, s10
; %bb.1826:                             ;   in Loop: Header=BB4_1414 Depth=2
	v_cmp_lt_i32_e64 s10, -1, v10
	s_delay_alu instid0(VALU_DEP_1)
	v_cndmask_b32_e64 v40, 0xfc, v68, s10
; %bb.1827:                             ;   in Loop: Header=BB4_1414 Depth=2
	s_or_b32 exec_lo, exec_lo, s27
.LBB4_1828:                             ;   in Loop: Header=BB4_1414 Depth=2
	s_delay_alu instid0(SALU_CYCLE_1) | instskip(SKIP_3) | instid1(VALU_DEP_2)
	s_or_b32 exec_lo, exec_lo, s11
	v_and_b32_e32 v10, 0xff, v17
	v_dual_mov_b32 v64, v17 :: v_dual_mov_b32 v14, 0
	s_mov_b32 s11, exec_lo
	v_cmpx_ne_u16_e32 0, v10
	s_cbranch_execz .LBB4_1838
; %bb.1829:                             ;   in Loop: Header=BB4_1414 Depth=2
	v_bfrev_b32_e32 v14, 1
	s_mov_b32 s27, exec_lo
	v_cmpx_ne_u16_e32 0x80, v10
	s_cbranch_execz .LBB4_1837
; %bb.1830:                             ;   in Loop: Header=BB4_1414 Depth=2
	v_and_b32_e32 v11, 0x7c, v17
	v_and_b32_e32 v10, 3, v17
	s_mov_b32 s28, exec_lo
                                        ; implicit-def: $vgpr14
	s_delay_alu instid0(VALU_DEP_2)
	v_cmpx_ne_u32_e32 0x7c, v11
	s_xor_b32 s28, exec_lo, s28
	s_cbranch_execz .LBB4_1834
; %bb.1831:                             ;   in Loop: Header=BB4_1414 Depth=2
	v_bfe_u32 v11, v17, 2, 5
	s_mov_b32 s29, exec_lo
	s_delay_alu instid0(VALU_DEP_1)
	v_cmpx_eq_u32_e32 0, v11
; %bb.1832:                             ;   in Loop: Header=BB4_1414 Depth=2
	v_clz_i32_u32_e32 v10, v10
	s_delay_alu instid0(VALU_DEP_1) | instskip(NEXT) | instid1(VALU_DEP_1)
	v_min_u32_e32 v14, 32, v10
	v_subrev_nc_u32_e32 v10, 29, v14
	s_delay_alu instid0(VALU_DEP_1) | instskip(SKIP_1) | instid1(VALU_DEP_2)
	v_lshlrev_b64_e32 v[10:11], v10, v[64:65]
	v_sub_nc_u32_e32 v11, 30, v14
	v_and_b32_e32 v10, 3, v10
; %bb.1833:                             ;   in Loop: Header=BB4_1414 Depth=2
	s_or_b32 exec_lo, exec_lo, s29
	v_lshlrev_b32_e32 v14, 24, v17
	s_delay_alu instid0(VALU_DEP_1) | instskip(NEXT) | instid1(VALU_DEP_1)
	v_and_b32_e32 v14, 0x80000000, v14
	v_lshl_add_u32 v11, v11, 23, v14
	s_delay_alu instid0(VALU_DEP_1) | instskip(NEXT) | instid1(VALU_DEP_1)
	v_lshl_or_b32 v10, v10, 21, v11
	v_add_nc_u32_e32 v14, 0x38000000, v10
                                        ; implicit-def: $vgpr10
.LBB4_1834:                             ;   in Loop: Header=BB4_1414 Depth=2
	s_and_not1_saveexec_b32 s28, s28
; %bb.1835:                             ;   in Loop: Header=BB4_1414 Depth=2
	v_bfe_i32 v11, v17, 0, 8
	s_delay_alu instid0(VALU_DEP_1) | instskip(NEXT) | instid1(VALU_DEP_1)
	v_cmp_lt_i16_e64 s10, -1, v11
	v_cndmask_b32_e64 v11, 0xff800000, v126, s10
	v_cmp_eq_u32_e64 s10, 0, v10
	s_delay_alu instid0(VALU_DEP_1)
	v_cndmask_b32_e64 v14, 0x7f800001, v11, s10
; %bb.1836:                             ;   in Loop: Header=BB4_1414 Depth=2
	s_or_b32 exec_lo, exec_lo, s28
.LBB4_1837:                             ;   in Loop: Header=BB4_1414 Depth=2
	s_delay_alu instid0(SALU_CYCLE_1)
	s_or_b32 exec_lo, exec_lo, s27
.LBB4_1838:                             ;   in Loop: Header=BB4_1414 Depth=2
	s_delay_alu instid0(SALU_CYCLE_1) | instskip(SKIP_4) | instid1(VALU_DEP_2)
	s_or_b32 exec_lo, exec_lo, s11
	v_and_b32_e32 v11, 0xff, v13
	v_mov_b32_e32 v10, v13
	s_mov_b32 s27, 0
	s_mov_b32 s11, exec_lo
	v_cmpx_lt_i16_e32 0x7f, v11
	s_xor_b32 s11, exec_lo, s11
	s_cbranch_execz .LBB4_1983
; %bb.1839:                             ;   in Loop: Header=BB4_1414 Depth=2
	s_mov_b32 s27, -1
	s_mov_b32 s28, exec_lo
	v_cmpx_eq_u16_e32 0x80, v11
; %bb.1840:                             ;   in Loop: Header=BB4_1414 Depth=2
	s_xor_b32 s27, exec_lo, -1
; %bb.1841:                             ;   in Loop: Header=BB4_1414 Depth=2
	s_or_b32 exec_lo, exec_lo, s28
	s_delay_alu instid0(SALU_CYCLE_1)
	s_and_b32 s27, s27, exec_lo
                                        ; implicit-def: $vgpr11
	s_or_saveexec_b32 s11, s11
	v_bfrev_b32_e32 v15, 1
	s_xor_b32 exec_lo, exec_lo, s11
	s_cbranch_execnz .LBB4_1984
.LBB4_1842:                             ;   in Loop: Header=BB4_1414 Depth=2
	s_or_b32 exec_lo, exec_lo, s11
	v_mov_b32_e32 v11, v65
	s_and_saveexec_b32 s11, s27
	s_cbranch_execz .LBB4_1844
.LBB4_1843:                             ;   in Loop: Header=BB4_1414 Depth=2
	v_and_b32_e32 v15, 3, v13
	s_delay_alu instid0(VALU_DEP_1) | instskip(NEXT) | instid1(VALU_DEP_1)
	v_clz_i32_u32_e32 v24, v15
	v_min_u32_e32 v82, 32, v24
	s_delay_alu instid0(VALU_DEP_1) | instskip(NEXT) | instid1(VALU_DEP_1)
	v_subrev_nc_u32_e32 v24, 29, v82
	v_lshlrev_b64_e32 v[24:25], v24, v[10:11]
	v_bfe_u32 v25, v13, 2, 5
	v_dual_lshlrev_b32 v11, 24, v13 :: v_dual_sub_nc_u32 v82, 30, v82
	s_delay_alu instid0(VALU_DEP_2) | instskip(NEXT) | instid1(VALU_DEP_2)
	v_cmp_eq_u32_e64 s10, 0, v25
	v_and_b32_e32 v11, 0x80000000, v11
	s_delay_alu instid0(VALU_DEP_2) | instskip(SKIP_1) | instid1(VALU_DEP_2)
	v_dual_cndmask_b32 v25, v25, v82, s10 :: v_dual_bitop2_b32 v24, 3, v24 bitop3:0x40
	v_bfe_i32 v82, v13, 0, 8
	v_cndmask_b32_e64 v24, v15, v24, s10
	s_delay_alu instid0(VALU_DEP_3) | instskip(NEXT) | instid1(VALU_DEP_3)
	v_lshl_add_u32 v11, v25, 23, v11
	v_cmp_lt_i16_e64 s10, -1, v82
	s_delay_alu instid0(VALU_DEP_2) | instskip(NEXT) | instid1(VALU_DEP_2)
	v_lshl_or_b32 v11, v24, 21, v11
	v_cndmask_b32_e64 v25, 0xff800000, v126, s10
	v_and_b32_e32 v24, 0x7c, v13
	v_cmp_eq_u32_e64 s10, 0, v15
	s_delay_alu instid0(VALU_DEP_4) | instskip(NEXT) | instid1(VALU_DEP_2)
	v_add_nc_u32_e32 v11, 0x38000000, v11
	v_cndmask_b32_e64 v15, 0x7f800001, v25, s10
	s_delay_alu instid0(VALU_DEP_4) | instskip(NEXT) | instid1(VALU_DEP_1)
	v_cmp_eq_u32_e64 s10, 0x7c, v24
	v_cndmask_b32_e64 v15, v11, v15, s10
.LBB4_1844:                             ;   in Loop: Header=BB4_1414 Depth=2
	s_or_b32 exec_lo, exec_lo, s11
	s_delay_alu instid0(VALU_DEP_1) | instskip(SKIP_2) | instid1(VALU_DEP_2)
	v_dual_mul_f32 v25, v14, v15 :: v_dual_mov_b32 v43, v65
	v_mov_b32_e32 v15, v65
                                        ; implicit-def: $vgpr24
	s_mov_b32 s11, exec_lo
	v_and_b32_e32 v42, 0x7f800000, v25
	v_and_b32_e32 v14, 0x7fffff, v25
	v_lshrrev_b32_e32 v11, 24, v25
	s_delay_alu instid0(VALU_DEP_3)
	v_cmpx_ne_u64_e32 0x7f800000, v[42:43]
	s_xor_b32 s27, exec_lo, s11
	s_cbranch_execz .LBB4_1858
; %bb.1845:                             ;   in Loop: Header=BB4_1414 Depth=2
	v_and_b32_e32 v42, 0x7fffffff, v25
	v_mov_b32_e32 v43, v65
	v_and_b32_e32 v11, 0x80, v11
                                        ; implicit-def: $vgpr24
	s_mov_b32 s11, exec_lo
	s_delay_alu instid0(VALU_DEP_2)
	v_cmpx_gt_u64_e32 0x47600001, v[42:43]
	s_xor_b32 s28, exec_lo, s11
	s_cbranch_execz .LBB4_1855
; %bb.1846:                             ;   in Loop: Header=BB4_1414 Depth=2
	v_mov_b32_e32 v24, 0
	s_mov_b32 s29, exec_lo
	v_cmpx_ne_u32_e32 0, v25
	s_cbranch_execz .LBB4_1854
; %bb.1847:                             ;   in Loop: Header=BB4_1414 Depth=2
	v_bfe_u32 v41, v25, 23, 8
	v_or_b32_e32 v82, 0x800000, v14
	s_delay_alu instid0(VALU_DEP_2) | instskip(SKIP_1) | instid1(VALU_DEP_1)
	v_sub_nc_u32_e32 v24, 0x71, v41
	v_cmp_gt_u32_e64 s10, 0x72, v41
	v_cndmask_b32_e64 v24, 0, v24, s10
	v_cmp_eq_u32_e64 s10, 0, v41
	s_delay_alu instid0(VALU_DEP_1) | instskip(SKIP_1) | instid1(VALU_DEP_2)
	v_cndmask_b32_e64 v42, v24, 0x70, s10
	v_cndmask_b32_e64 v14, v82, v14, s10
	v_dual_add_nc_u32 v24, 21, v42 :: v_dual_add_nc_u32 v83, 20, v42
	s_delay_alu instid0(VALU_DEP_1) | instskip(NEXT) | instid1(VALU_DEP_2)
	v_lshlrev_b64_e64 v[24:25], v24, -1
	v_lshlrev_b64_e64 v[44:45], v83, 1
	s_delay_alu instid0(VALU_DEP_2) | instskip(SKIP_1) | instid1(VALU_DEP_4)
	v_bfi_b32 v24, v24, 0, v14
	v_lshrrev_b64 v[14:15], v42, v[14:15]
	v_bfi_b32 v25, v25, 0, 0
	s_delay_alu instid0(VALU_DEP_1) | instskip(NEXT) | instid1(VALU_DEP_3)
	v_cmp_eq_u64_e64 s11, v[24:25], v[44:45]
	v_mov_b64_e32 v[24:25], v[14:15]
	s_and_saveexec_b32 s40, s11
; %bb.1848:                             ;   in Loop: Header=BB4_1414 Depth=2
	v_bfe_u32 v24, v14, 21, 1
	v_mov_b32_e32 v25, v65
	s_delay_alu instid0(VALU_DEP_1) | instskip(NEXT) | instid1(VALU_DEP_1)
	v_add_nc_u64_e32 v[24:25], v[14:15], v[24:25]
	v_add_nc_u64_e32 v[24:25], -1, v[24:25]
; %bb.1849:                             ;   in Loop: Header=BB4_1414 Depth=2
	s_or_b32 exec_lo, exec_lo, s40
	v_add_nc_u32_e32 v15, 0xffffff81, v41
	v_lshrrev_b32_e32 v25, 23, v14
	s_mov_b32 s11, exec_lo
	s_delay_alu instid0(VALU_DEP_2) | instskip(NEXT) | instid1(VALU_DEP_1)
	v_cndmask_b32_e64 v15, v15, 0xffffff82, s10
	v_add3_u32 v25, v42, v15, v25
	v_and_b32_e32 v15, 0x1fffff, v24
                                        ; implicit-def: $vgpr24
	s_delay_alu instid0(VALU_DEP_1) | instskip(SKIP_1) | instid1(VALU_DEP_2)
	v_dual_add_nc_u32 v41, 14, v25 :: v_dual_add_nc_u32 v14, v15, v14
	v_mov_b32_e32 v15, v65
	v_cmpx_ne_u32_e32 0, v41
	s_xor_b32 s11, exec_lo, s11
; %bb.1850:                             ;   in Loop: Header=BB4_1414 Depth=2
	s_delay_alu instid0(VALU_DEP_2) | instskip(SKIP_1) | instid1(VALU_DEP_2)
	v_cmp_lt_u64_e64 s10, 0xffffff, v[14:15]
	v_add_nc_u32_e32 v24, 15, v25
	v_cndmask_b32_e64 v25, 0, 1, s10
	s_delay_alu instid0(VALU_DEP_2) | instskip(NEXT) | instid1(VALU_DEP_2)
	v_cndmask_b32_e64 v24, v41, v24, s10
	v_lshrrev_b64 v[14:15], v25, v[14:15]
; %bb.1851:                             ;   in Loop: Header=BB4_1414 Depth=2
	s_and_not1_saveexec_b32 s10, s11
; %bb.1852:                             ;   in Loop: Header=BB4_1414 Depth=2
	s_delay_alu instid0(VALU_DEP_1)
	v_bfe_u32 v24, v14, 23, 1
; %bb.1853:                             ;   in Loop: Header=BB4_1414 Depth=2
	s_or_b32 exec_lo, exec_lo, s10
	s_delay_alu instid0(VALU_DEP_2) | instskip(NEXT) | instid1(VALU_DEP_2)
	v_lshrrev_b64 v[14:15], 21, v[14:15]
	v_cmp_gt_i32_e64 s10, 32, v24
	v_min_i32_e32 v25, 31, v24
	v_cmp_eq_u32_e64 s11, 0, v24
	s_delay_alu instid0(VALU_DEP_2) | instskip(SKIP_1) | instid1(VALU_DEP_2)
	v_dual_cndmask_b32 v15, 0, v15, s10 :: v_dual_lshlrev_b32 v25, 2, v25
	v_cndmask_b32_e64 v14, 3, v14, s10
	v_and_b32_e32 v25, 0xfc, v25
	s_delay_alu instid0(VALU_DEP_2) | instskip(NEXT) | instid1(VALU_DEP_2)
	v_cmp_eq_u64_e64 s10, 0, v[14:15]
	v_and_or_b32 v14, v14, 3, v25
	s_and_b32 s10, s11, s10
	s_delay_alu instid0(VALU_DEP_1) | instid1(SALU_CYCLE_1)
	v_cndmask_b32_e64 v14, v14, 0, s10
	s_delay_alu instid0(VALU_DEP_1)
	v_or_b32_e32 v24, v14, v11
.LBB4_1854:                             ;   in Loop: Header=BB4_1414 Depth=2
	s_or_b32 exec_lo, exec_lo, s29
                                        ; implicit-def: $vgpr11
.LBB4_1855:                             ;   in Loop: Header=BB4_1414 Depth=2
	s_and_not1_saveexec_b32 s10, s28
; %bb.1856:                             ;   in Loop: Header=BB4_1414 Depth=2
	v_or_b32_e32 v24, 0x7b, v11
; %bb.1857:                             ;   in Loop: Header=BB4_1414 Depth=2
	s_or_b32 exec_lo, exec_lo, s10
                                        ; implicit-def: $vgpr25
                                        ; implicit-def: $vgpr14_vgpr15
                                        ; implicit-def: $vgpr11
.LBB4_1858:                             ;   in Loop: Header=BB4_1414 Depth=2
	s_and_not1_saveexec_b32 s11, s27
	s_cbranch_execz .LBB4_1864
; %bb.1859:                             ;   in Loop: Header=BB4_1414 Depth=2
	v_cmp_ne_u64_e64 s10, 0, v[14:15]
                                        ; implicit-def: $vgpr24
	s_and_saveexec_b32 s27, s10
	s_delay_alu instid0(SALU_CYCLE_1)
	s_xor_b32 s10, exec_lo, s27
; %bb.1860:                             ;   in Loop: Header=BB4_1414 Depth=2
	v_or_b32_e32 v24, 0x7f, v11
                                        ; implicit-def: $vgpr25
; %bb.1861:                             ;   in Loop: Header=BB4_1414 Depth=2
	s_and_not1_saveexec_b32 s27, s10
; %bb.1862:                             ;   in Loop: Header=BB4_1414 Depth=2
	v_cmp_lt_i32_e64 s10, -1, v25
	s_delay_alu instid0(VALU_DEP_1)
	v_cndmask_b32_e64 v24, 0xfc, v68, s10
; %bb.1863:                             ;   in Loop: Header=BB4_1414 Depth=2
	s_or_b32 exec_lo, exec_lo, s27
.LBB4_1864:                             ;   in Loop: Header=BB4_1414 Depth=2
	s_delay_alu instid0(SALU_CYCLE_1) | instskip(SKIP_3) | instid1(VALU_DEP_2)
	s_or_b32 exec_lo, exec_lo, s11
	v_lshrrev_b16 v14, 8, v64
	v_mov_b32_e32 v11, 0
	s_mov_b32 s11, exec_lo
	v_cmpx_ne_u16_e32 0, v14
	s_cbranch_execz .LBB4_1874
; %bb.1865:                             ;   in Loop: Header=BB4_1414 Depth=2
	v_bfrev_b32_e32 v11, 1
	s_mov_b32 s27, exec_lo
	v_cmpx_ne_u16_e32 0x80, v14
	s_cbranch_execz .LBB4_1873
; %bb.1866:                             ;   in Loop: Header=BB4_1414 Depth=2
	v_and_b32_e32 v25, 0xffff, v14
	s_delay_alu instid0(VALU_DEP_1) | instskip(SKIP_1) | instid1(VALU_DEP_2)
	v_and_b32_e32 v11, 0x7c, v25
	v_and_b32_e32 v15, 3, v25
	v_cmp_ne_u32_e64 s10, 0x7c, v11
                                        ; implicit-def: $vgpr11
	s_and_saveexec_b32 s28, s10
	s_delay_alu instid0(SALU_CYCLE_1)
	s_xor_b32 s28, exec_lo, s28
	s_cbranch_execz .LBB4_1870
; %bb.1867:                             ;   in Loop: Header=BB4_1414 Depth=2
	v_bfe_u32 v11, v25, 2, 5
	s_mov_b32 s29, exec_lo
	s_delay_alu instid0(VALU_DEP_1)
	v_cmpx_eq_u32_e32 0, v11
	s_cbranch_execz .LBB4_1869
; %bb.1868:                             ;   in Loop: Header=BB4_1414 Depth=2
	v_clz_i32_u32_e32 v11, v15
	s_delay_alu instid0(VALU_DEP_1) | instskip(SKIP_1) | instid1(VALU_DEP_2)
	v_min_u32_e32 v11, 32, v11
	v_mov_b32_e32 v15, v65
	v_subrev_nc_u32_e32 v25, 29, v11
	v_sub_nc_u32_e32 v11, 30, v11
	s_delay_alu instid0(VALU_DEP_2) | instskip(NEXT) | instid1(VALU_DEP_1)
	v_lshlrev_b64_e32 v[14:15], v25, v[14:15]
	v_and_b32_e32 v15, 3, v14
.LBB4_1869:                             ;   in Loop: Header=BB4_1414 Depth=2
	s_or_b32 exec_lo, exec_lo, s29
	v_lshlrev_b32_e32 v14, 16, v64
	s_delay_alu instid0(VALU_DEP_1) | instskip(NEXT) | instid1(VALU_DEP_1)
	v_and_b32_e32 v14, 0x80000000, v14
	v_lshl_add_u32 v11, v11, 23, v14
	s_delay_alu instid0(VALU_DEP_1) | instskip(NEXT) | instid1(VALU_DEP_1)
	v_lshl_or_b32 v11, v15, 21, v11
                                        ; implicit-def: $vgpr15
	v_add_nc_u32_e32 v11, 0x38000000, v11
.LBB4_1870:                             ;   in Loop: Header=BB4_1414 Depth=2
	s_and_not1_saveexec_b32 s28, s28
; %bb.1871:                             ;   in Loop: Header=BB4_1414 Depth=2
	v_cmp_lt_i16_e64 s10, -1, v64
	s_delay_alu instid0(VALU_DEP_1) | instskip(SKIP_1) | instid1(VALU_DEP_1)
	v_cndmask_b32_e64 v11, 0xff800000, v126, s10
	v_cmp_eq_u32_e64 s10, 0, v15
	v_cndmask_b32_e64 v11, 0x7f800001, v11, s10
; %bb.1872:                             ;   in Loop: Header=BB4_1414 Depth=2
	s_or_b32 exec_lo, exec_lo, s28
.LBB4_1873:                             ;   in Loop: Header=BB4_1414 Depth=2
	s_delay_alu instid0(SALU_CYCLE_1)
	s_or_b32 exec_lo, exec_lo, s27
.LBB4_1874:                             ;   in Loop: Header=BB4_1414 Depth=2
	s_delay_alu instid0(SALU_CYCLE_1) | instskip(SKIP_3) | instid1(VALU_DEP_1)
	s_or_b32 exec_lo, exec_lo, s11
	v_lshrrev_b16 v64, 8, v10
	s_mov_b32 s27, 0
	s_mov_b32 s11, exec_lo
	v_cmpx_lt_i16_e32 0x7f, v64
	s_xor_b32 s11, exec_lo, s11
	s_cbranch_execz .LBB4_1985
; %bb.1875:                             ;   in Loop: Header=BB4_1414 Depth=2
	s_mov_b32 s27, -1
	s_mov_b32 s28, exec_lo
	v_cmpx_eq_u16_e32 0x80, v64
; %bb.1876:                             ;   in Loop: Header=BB4_1414 Depth=2
	s_xor_b32 s27, exec_lo, -1
; %bb.1877:                             ;   in Loop: Header=BB4_1414 Depth=2
	s_or_b32 exec_lo, exec_lo, s28
	s_delay_alu instid0(SALU_CYCLE_1)
	s_and_b32 s27, s27, exec_lo
	s_or_saveexec_b32 s11, s11
	v_bfrev_b32_e32 v14, 1
	s_xor_b32 exec_lo, exec_lo, s11
	s_cbranch_execnz .LBB4_1986
.LBB4_1878:                             ;   in Loop: Header=BB4_1414 Depth=2
	s_or_b32 exec_lo, exec_lo, s11
	s_and_saveexec_b32 s11, s27
	s_cbranch_execz .LBB4_1880
.LBB4_1879:                             ;   in Loop: Header=BB4_1414 Depth=2
	v_and_b32_e32 v25, 0xffff, v64
	s_delay_alu instid0(VALU_DEP_1) | instskip(NEXT) | instid1(VALU_DEP_1)
	v_and_b32_e32 v82, 3, v25
	v_clz_i32_u32_e32 v14, v82
	s_delay_alu instid0(VALU_DEP_1) | instskip(NEXT) | instid1(VALU_DEP_1)
	v_min_u32_e32 v83, 32, v14
	v_subrev_nc_u32_e32 v14, 29, v83
	s_delay_alu instid0(VALU_DEP_1) | instskip(SKIP_3) | instid1(VALU_DEP_3)
	v_lshlrev_b64_e32 v[14:15], v14, v[64:65]
	v_lshlrev_b32_e32 v15, 24, v64
	v_bfe_u32 v64, v25, 2, 5
	v_sub_nc_u32_e32 v83, 30, v83
	v_and_b32_e32 v15, 0x80000000, v15
	s_delay_alu instid0(VALU_DEP_3) | instskip(NEXT) | instid1(VALU_DEP_1)
	v_cmp_eq_u32_e64 s10, 0, v64
	v_dual_cndmask_b32 v64, v64, v83, s10 :: v_dual_bitop2_b32 v14, 3, v14 bitop3:0x40
	s_delay_alu instid0(VALU_DEP_1) | instskip(SKIP_1) | instid1(VALU_DEP_3)
	v_cndmask_b32_e64 v14, v82, v14, s10
	v_cmp_lt_i16_e64 s10, -1, v10
	v_lshl_add_u32 v15, v64, 23, v15
	s_delay_alu instid0(VALU_DEP_2) | instskip(SKIP_1) | instid1(VALU_DEP_3)
	v_cndmask_b32_e64 v10, 0xff800000, v126, s10
	v_cmp_eq_u32_e64 s10, 0, v82
	v_lshl_or_b32 v14, v14, 21, v15
	v_and_b32_e32 v15, 0x7c, v25
	s_delay_alu instid0(VALU_DEP_3) | instskip(NEXT) | instid1(VALU_DEP_3)
	v_cndmask_b32_e64 v10, 0x7f800001, v10, s10
	v_add_nc_u32_e32 v14, 0x38000000, v14
	s_delay_alu instid0(VALU_DEP_3) | instskip(NEXT) | instid1(VALU_DEP_1)
	v_cmp_eq_u32_e64 s10, 0x7c, v15
	v_cndmask_b32_e64 v14, v14, v10, s10
.LBB4_1880:                             ;   in Loop: Header=BB4_1414 Depth=2
	s_or_b32 exec_lo, exec_lo, s11
	s_delay_alu instid0(VALU_DEP_1) | instskip(SKIP_1) | instid1(VALU_DEP_1)
	v_dual_mul_f32 v10, v11, v14 :: v_dual_mov_b32 v15, v65
                                        ; implicit-def: $vgpr25
	s_mov_b32 s11, exec_lo
	v_and_b32_e32 v14, 0x7f800000, v10
	v_and_b32_e32 v64, 0x7fffff, v10
	v_lshrrev_b32_e32 v11, 24, v10
	s_delay_alu instid0(VALU_DEP_3)
	v_cmpx_ne_u64_e32 0x7f800000, v[14:15]
	s_xor_b32 s27, exec_lo, s11
	s_cbranch_execz .LBB4_1894
; %bb.1881:                             ;   in Loop: Header=BB4_1414 Depth=2
	v_and_b32_e32 v14, 0x7fffffff, v10
	v_mov_b32_e32 v15, v65
	v_and_b32_e32 v41, 0x80, v11
                                        ; implicit-def: $vgpr25
	s_mov_b32 s11, exec_lo
	s_delay_alu instid0(VALU_DEP_2)
	v_cmpx_gt_u64_e32 0x47600001, v[14:15]
	s_xor_b32 s28, exec_lo, s11
	s_cbranch_execz .LBB4_1891
; %bb.1882:                             ;   in Loop: Header=BB4_1414 Depth=2
	v_mov_b32_e32 v25, 0
	s_mov_b32 s29, exec_lo
	v_cmpx_ne_u32_e32 0, v10
	s_cbranch_execz .LBB4_1890
; %bb.1883:                             ;   in Loop: Header=BB4_1414 Depth=2
	v_bfe_u32 v25, v10, 23, 8
	v_or_b32_e32 v14, 0x800000, v64
	s_delay_alu instid0(VALU_DEP_2) | instskip(SKIP_1) | instid1(VALU_DEP_1)
	v_sub_nc_u32_e32 v10, 0x71, v25
	v_cmp_gt_u32_e64 s10, 0x72, v25
	v_cndmask_b32_e64 v10, 0, v10, s10
	v_cmp_eq_u32_e64 s10, 0, v25
	s_delay_alu instid0(VALU_DEP_1) | instskip(NEXT) | instid1(VALU_DEP_3)
	v_cndmask_b32_e64 v64, v14, v64, s10
	v_cndmask_b32_e64 v42, v10, 0x70, s10
	s_delay_alu instid0(VALU_DEP_1) | instskip(NEXT) | instid1(VALU_DEP_1)
	v_dual_add_nc_u32 v10, 21, v42 :: v_dual_add_nc_u32 v15, 20, v42
	v_lshlrev_b64_e64 v[10:11], v10, -1
	s_delay_alu instid0(VALU_DEP_2) | instskip(NEXT) | instid1(VALU_DEP_2)
	v_lshlrev_b64_e64 v[14:15], v15, 1
	v_bfi_b32 v45, v11, 0, 0
	s_delay_alu instid0(VALU_DEP_3) | instskip(SKIP_1) | instid1(VALU_DEP_2)
	v_bfi_b32 v44, v10, 0, v64
	v_lshrrev_b64 v[10:11], v42, v[64:65]
	v_cmp_eq_u64_e64 s11, v[44:45], v[14:15]
	s_delay_alu instid0(VALU_DEP_2)
	v_mov_b64_e32 v[14:15], v[10:11]
	s_and_saveexec_b32 s40, s11
; %bb.1884:                             ;   in Loop: Header=BB4_1414 Depth=2
	v_bfe_u32 v64, v10, 21, 1
	s_delay_alu instid0(VALU_DEP_1) | instskip(NEXT) | instid1(VALU_DEP_1)
	v_add_nc_u64_e32 v[14:15], v[10:11], v[64:65]
	v_add_nc_u64_e32 v[14:15], -1, v[14:15]
; %bb.1885:                             ;   in Loop: Header=BB4_1414 Depth=2
	s_or_b32 exec_lo, exec_lo, s40
	v_add_nc_u32_e32 v11, 0xffffff81, v25
	v_lshrrev_b32_e32 v15, 23, v10
	s_mov_b32 s11, exec_lo
	s_delay_alu instid0(VALU_DEP_2) | instskip(NEXT) | instid1(VALU_DEP_1)
	v_cndmask_b32_e64 v11, v11, 0xffffff82, s10
	v_add3_u32 v15, v42, v11, v15
	v_and_b32_e32 v11, 0x1fffff, v14
                                        ; implicit-def: $vgpr14
	s_delay_alu instid0(VALU_DEP_1) | instskip(NEXT) | instid1(VALU_DEP_1)
	v_dual_add_nc_u32 v25, 14, v15 :: v_dual_add_nc_u32 v64, v11, v10
                                        ; implicit-def: $vgpr10_vgpr11
	v_cmpx_ne_u32_e32 0, v25
	s_xor_b32 s11, exec_lo, s11
; %bb.1886:                             ;   in Loop: Header=BB4_1414 Depth=2
	s_delay_alu instid0(VALU_DEP_2) | instskip(SKIP_1) | instid1(VALU_DEP_1)
	v_cmp_lt_u64_e64 s10, 0xffffff, v[64:65]
	v_add_nc_u32_e32 v10, 15, v15
	v_cndmask_b32_e64 v14, v25, v10, s10
	v_cndmask_b32_e64 v10, 0, 1, s10
	s_delay_alu instid0(VALU_DEP_1)
	v_lshrrev_b64 v[10:11], v10, v[64:65]
; %bb.1887:                             ;   in Loop: Header=BB4_1414 Depth=2
	s_and_not1_saveexec_b32 s10, s11
; %bb.1888:                             ;   in Loop: Header=BB4_1414 Depth=2
	v_mov_b64_e32 v[10:11], v[64:65]
	v_bfe_u32 v14, v64, 23, 1
; %bb.1889:                             ;   in Loop: Header=BB4_1414 Depth=2
	s_or_b32 exec_lo, exec_lo, s10
	s_delay_alu instid0(VALU_DEP_2) | instskip(NEXT) | instid1(VALU_DEP_2)
	v_lshrrev_b64 v[10:11], 21, v[10:11]
	v_cmp_gt_i32_e64 s10, 32, v14
	v_min_i32_e32 v15, 31, v14
	v_cmp_eq_u32_e64 s11, 0, v14
	s_delay_alu instid0(VALU_DEP_3) | instskip(NEXT) | instid1(VALU_DEP_3)
	v_cndmask_b32_e64 v11, 0, v11, s10
	v_dual_lshlrev_b32 v15, 2, v15 :: v_dual_cndmask_b32 v10, 3, v10, s10
	s_delay_alu instid0(VALU_DEP_1) | instskip(NEXT) | instid1(VALU_DEP_2)
	v_and_b32_e32 v15, 0xfc, v15
	v_cmp_eq_u64_e64 s10, 0, v[10:11]
	s_delay_alu instid0(VALU_DEP_2)
	v_and_or_b32 v10, v10, 3, v15
	s_and_b32 s10, s11, s10
	s_delay_alu instid0(VALU_DEP_1) | instid1(SALU_CYCLE_1)
	v_cndmask_b32_e64 v10, v10, 0, s10
	s_delay_alu instid0(VALU_DEP_1)
	v_or_b32_e32 v25, v10, v41
.LBB4_1890:                             ;   in Loop: Header=BB4_1414 Depth=2
	s_or_b32 exec_lo, exec_lo, s29
                                        ; implicit-def: $vgpr41
.LBB4_1891:                             ;   in Loop: Header=BB4_1414 Depth=2
	s_and_not1_saveexec_b32 s10, s28
; %bb.1892:                             ;   in Loop: Header=BB4_1414 Depth=2
	v_or_b32_e32 v25, 0x7b, v41
; %bb.1893:                             ;   in Loop: Header=BB4_1414 Depth=2
	s_or_b32 exec_lo, exec_lo, s10
                                        ; implicit-def: $vgpr10
                                        ; implicit-def: $vgpr11
.LBB4_1894:                             ;   in Loop: Header=BB4_1414 Depth=2
	s_and_not1_saveexec_b32 s11, s27
	s_cbranch_execz .LBB4_1900
; %bb.1895:                             ;   in Loop: Header=BB4_1414 Depth=2
	v_cmp_ne_u64_e64 s10, 0, v[64:65]
                                        ; implicit-def: $vgpr25
	s_and_saveexec_b32 s27, s10
	s_delay_alu instid0(SALU_CYCLE_1)
	s_xor_b32 s10, exec_lo, s27
; %bb.1896:                             ;   in Loop: Header=BB4_1414 Depth=2
	v_or_b32_e32 v25, 0x7f, v11
                                        ; implicit-def: $vgpr10
; %bb.1897:                             ;   in Loop: Header=BB4_1414 Depth=2
	s_and_not1_saveexec_b32 s27, s10
; %bb.1898:                             ;   in Loop: Header=BB4_1414 Depth=2
	v_cmp_lt_i32_e64 s10, -1, v10
	s_delay_alu instid0(VALU_DEP_1)
	v_cndmask_b32_e64 v25, 0xfc, v68, s10
; %bb.1899:                             ;   in Loop: Header=BB4_1414 Depth=2
	s_or_b32 exec_lo, exec_lo, s27
.LBB4_1900:                             ;   in Loop: Header=BB4_1414 Depth=2
	s_delay_alu instid0(SALU_CYCLE_1) | instskip(SKIP_2) | instid1(VALU_DEP_1)
	s_or_b32 exec_lo, exec_lo, s11
	v_dual_mov_b32 v11, 0 :: v_dual_lshrrev_b32 v10, 16, v17
	s_mov_b32 s11, exec_lo
	v_and_b32_e32 v14, 0xff, v10
	s_delay_alu instid0(VALU_DEP_1)
	v_cmpx_ne_u16_e32 0, v14
	s_cbranch_execz .LBB4_1910
; %bb.1901:                             ;   in Loop: Header=BB4_1414 Depth=2
	v_bfrev_b32_e32 v11, 1
	s_mov_b32 s27, exec_lo
	v_cmpx_ne_u16_e32 0x80, v14
	s_cbranch_execz .LBB4_1909
; %bb.1902:                             ;   in Loop: Header=BB4_1414 Depth=2
	v_and_b32_e32 v11, 0x7c0000, v17
	v_bfe_u32 v14, v17, 16, 2
	s_delay_alu instid0(VALU_DEP_2) | instskip(SKIP_1) | instid1(SALU_CYCLE_1)
	v_cmp_ne_u32_e64 s10, 0x7c0000, v11
                                        ; implicit-def: $vgpr11
	s_and_saveexec_b32 s28, s10
	s_xor_b32 s28, exec_lo, s28
	s_cbranch_execz .LBB4_1906
; %bb.1903:                             ;   in Loop: Header=BB4_1414 Depth=2
	v_bfe_u32 v11, v17, 18, 5
	s_mov_b32 s29, exec_lo
	s_delay_alu instid0(VALU_DEP_1)
	v_cmpx_eq_u32_e32 0, v11
; %bb.1904:                             ;   in Loop: Header=BB4_1414 Depth=2
	v_clz_i32_u32_e32 v11, v14
	s_delay_alu instid0(VALU_DEP_1) | instskip(NEXT) | instid1(VALU_DEP_1)
	v_min_u32_e32 v11, 32, v11
	v_subrev_nc_u32_e32 v14, 29, v11
	s_delay_alu instid0(VALU_DEP_1) | instskip(NEXT) | instid1(VALU_DEP_1)
	v_lshlrev_b64_e32 v[14:15], v14, v[10:11]
	v_dual_sub_nc_u32 v11, 30, v11 :: v_dual_bitop2_b32 v14, 3, v14 bitop3:0x40
; %bb.1905:                             ;   in Loop: Header=BB4_1414 Depth=2
	s_or_b32 exec_lo, exec_lo, s29
	v_lshlrev_b32_e32 v10, 24, v10
	s_delay_alu instid0(VALU_DEP_1) | instskip(NEXT) | instid1(VALU_DEP_1)
	v_and_b32_e32 v10, 0x80000000, v10
	v_lshl_add_u32 v10, v11, 23, v10
	s_delay_alu instid0(VALU_DEP_1) | instskip(NEXT) | instid1(VALU_DEP_1)
	v_lshl_or_b32 v10, v14, 21, v10
                                        ; implicit-def: $vgpr14
	v_add_nc_u32_e32 v11, 0x38000000, v10
                                        ; implicit-def: $vgpr10
.LBB4_1906:                             ;   in Loop: Header=BB4_1414 Depth=2
	s_and_not1_saveexec_b32 s28, s28
; %bb.1907:                             ;   in Loop: Header=BB4_1414 Depth=2
	v_bfe_i32 v10, v10, 0, 8
	s_delay_alu instid0(VALU_DEP_1) | instskip(NEXT) | instid1(VALU_DEP_1)
	v_cmp_lt_i16_e64 s10, -1, v10
	v_cndmask_b32_e64 v10, 0xff800000, v126, s10
	v_cmp_eq_u32_e64 s10, 0, v14
	s_delay_alu instid0(VALU_DEP_1)
	v_cndmask_b32_e64 v11, 0x7f800001, v10, s10
; %bb.1908:                             ;   in Loop: Header=BB4_1414 Depth=2
	s_or_b32 exec_lo, exec_lo, s28
.LBB4_1909:                             ;   in Loop: Header=BB4_1414 Depth=2
	s_delay_alu instid0(SALU_CYCLE_1)
	s_or_b32 exec_lo, exec_lo, s27
.LBB4_1910:                             ;   in Loop: Header=BB4_1414 Depth=2
	s_delay_alu instid0(SALU_CYCLE_1) | instskip(SKIP_3) | instid1(VALU_DEP_1)
	s_or_b32 exec_lo, exec_lo, s11
	v_lshrrev_b32_e32 v10, 16, v13
	s_mov_b32 s27, 0
	s_mov_b32 s11, exec_lo
	v_and_b32_e32 v15, 0xff, v10
	s_delay_alu instid0(VALU_DEP_1)
	v_cmpx_lt_i16_e32 0x7f, v15
	s_xor_b32 s11, exec_lo, s11
	s_cbranch_execz .LBB4_1987
; %bb.1911:                             ;   in Loop: Header=BB4_1414 Depth=2
	s_mov_b32 s27, -1
	s_mov_b32 s28, exec_lo
	v_cmpx_eq_u16_e32 0x80, v15
; %bb.1912:                             ;   in Loop: Header=BB4_1414 Depth=2
	s_xor_b32 s27, exec_lo, -1
; %bb.1913:                             ;   in Loop: Header=BB4_1414 Depth=2
	s_or_b32 exec_lo, exec_lo, s28
	s_delay_alu instid0(SALU_CYCLE_1)
	s_and_b32 s27, s27, exec_lo
                                        ; implicit-def: $vgpr15
	s_or_saveexec_b32 s11, s11
	v_bfrev_b32_e32 v14, 1
	s_xor_b32 exec_lo, exec_lo, s11
	s_cbranch_execnz .LBB4_1988
.LBB4_1914:                             ;   in Loop: Header=BB4_1414 Depth=2
	s_or_b32 exec_lo, exec_lo, s11
	s_and_saveexec_b32 s11, s27
	s_cbranch_execz .LBB4_1916
.LBB4_1915:                             ;   in Loop: Header=BB4_1414 Depth=2
	v_and_b32_e32 v64, 3, v10
	v_bfe_u32 v83, v13, 18, 5
	s_delay_alu instid0(VALU_DEP_2) | instskip(NEXT) | instid1(VALU_DEP_2)
	v_clz_i32_u32_e32 v14, v64
	v_cmp_eq_u32_e64 s10, 0, v83
	s_delay_alu instid0(VALU_DEP_2) | instskip(NEXT) | instid1(VALU_DEP_1)
	v_min_u32_e32 v82, 32, v14
	v_subrev_nc_u32_e32 v14, 29, v82
	v_sub_nc_u32_e32 v82, 30, v82
	s_delay_alu instid0(VALU_DEP_2) | instskip(SKIP_1) | instid1(VALU_DEP_3)
	v_lshlrev_b64_e32 v[14:15], v14, v[10:11]
	v_lshlrev_b32_e32 v15, 24, v10
	v_cndmask_b32_e64 v82, v83, v82, s10
	v_bfe_i32 v10, v10, 0, 8
	s_delay_alu instid0(VALU_DEP_3) | instskip(SKIP_1) | instid1(VALU_DEP_2)
	v_and_b32_e32 v15, 0x80000000, v15
	v_and_b32_e32 v14, 3, v14
	v_lshl_add_u32 v15, v82, 23, v15
	s_delay_alu instid0(VALU_DEP_2) | instskip(SKIP_1) | instid1(VALU_DEP_2)
	v_cndmask_b32_e64 v14, v64, v14, s10
	v_cmp_lt_i16_e64 s10, -1, v10
	v_lshl_or_b32 v14, v14, 21, v15
	s_delay_alu instid0(VALU_DEP_2) | instskip(SKIP_2) | instid1(VALU_DEP_4)
	v_cndmask_b32_e64 v10, 0xff800000, v126, s10
	v_and_b32_e32 v15, 0x7c0000, v13
	v_cmp_eq_u32_e64 s10, 0, v64
	v_add_nc_u32_e32 v14, 0x38000000, v14
	s_delay_alu instid0(VALU_DEP_2) | instskip(NEXT) | instid1(VALU_DEP_4)
	v_cndmask_b32_e64 v10, 0x7f800001, v10, s10
	v_cmp_eq_u32_e64 s10, 0x7c0000, v15
	s_delay_alu instid0(VALU_DEP_1)
	v_cndmask_b32_e64 v14, v14, v10, s10
.LBB4_1916:                             ;   in Loop: Header=BB4_1414 Depth=2
	s_or_b32 exec_lo, exec_lo, s11
	s_delay_alu instid0(VALU_DEP_1) | instskip(NEXT) | instid1(VALU_DEP_1)
	v_dual_mul_f32 v10, v11, v14 :: v_dual_mov_b32 v15, v65
	v_and_b32_e32 v14, 0x7f800000, v10
	v_and_b32_e32 v64, 0x7fffff, v10
	v_lshrrev_b32_e32 v11, 24, v10
	s_delay_alu instid0(VALU_DEP_3) | instskip(SKIP_1) | instid1(SALU_CYCLE_1)
	v_cmp_ne_u64_e64 s10, 0x7f800000, v[14:15]
                                        ; implicit-def: $vgpr14
	s_and_saveexec_b32 s11, s10
	s_xor_b32 s27, exec_lo, s11
	s_cbranch_execz .LBB4_1930
; %bb.1917:                             ;   in Loop: Header=BB4_1414 Depth=2
	v_and_b32_e32 v14, 0x7fffffff, v10
	v_mov_b32_e32 v15, v65
	v_and_b32_e32 v41, 0x80, v11
	s_delay_alu instid0(VALU_DEP_2) | instskip(SKIP_1) | instid1(SALU_CYCLE_1)
	v_cmp_gt_u64_e64 s10, 0x47600001, v[14:15]
                                        ; implicit-def: $vgpr14
	s_and_saveexec_b32 s11, s10
	s_xor_b32 s28, exec_lo, s11
	s_cbranch_execz .LBB4_1927
; %bb.1918:                             ;   in Loop: Header=BB4_1414 Depth=2
	v_mov_b32_e32 v14, 0
	s_mov_b32 s29, exec_lo
	v_cmpx_ne_u32_e32 0, v10
	s_cbranch_execz .LBB4_1926
; %bb.1919:                             ;   in Loop: Header=BB4_1414 Depth=2
	v_bfe_u32 v42, v10, 23, 8
	v_or_b32_e32 v14, 0x800000, v64
	s_delay_alu instid0(VALU_DEP_2) | instskip(SKIP_1) | instid1(VALU_DEP_1)
	v_sub_nc_u32_e32 v10, 0x71, v42
	v_cmp_gt_u32_e64 s10, 0x72, v42
	v_cndmask_b32_e64 v10, 0, v10, s10
	v_cmp_eq_u32_e64 s10, 0, v42
	s_delay_alu instid0(VALU_DEP_1) | instskip(NEXT) | instid1(VALU_DEP_1)
	v_cndmask_b32_e64 v43, v10, 0x70, s10
	v_dual_cndmask_b32 v64, v14, v64, s10 :: v_dual_add_nc_u32 v10, 21, v43
	v_add_nc_u32_e32 v15, 20, v43
	s_delay_alu instid0(VALU_DEP_2) | instskip(NEXT) | instid1(VALU_DEP_2)
	v_lshlrev_b64_e64 v[10:11], v10, -1
	v_lshlrev_b64_e64 v[14:15], v15, 1
	s_delay_alu instid0(VALU_DEP_2) | instskip(NEXT) | instid1(VALU_DEP_3)
	v_bfi_b32 v45, v11, 0, 0
	v_bfi_b32 v44, v10, 0, v64
	v_lshrrev_b64 v[10:11], v43, v[64:65]
	s_delay_alu instid0(VALU_DEP_2) | instskip(NEXT) | instid1(VALU_DEP_2)
	v_cmp_eq_u64_e64 s11, v[44:45], v[14:15]
	v_mov_b64_e32 v[14:15], v[10:11]
	s_and_saveexec_b32 s40, s11
; %bb.1920:                             ;   in Loop: Header=BB4_1414 Depth=2
	v_bfe_u32 v64, v10, 21, 1
	s_delay_alu instid0(VALU_DEP_1) | instskip(NEXT) | instid1(VALU_DEP_1)
	v_add_nc_u64_e32 v[14:15], v[10:11], v[64:65]
	v_add_nc_u64_e32 v[14:15], -1, v[14:15]
; %bb.1921:                             ;   in Loop: Header=BB4_1414 Depth=2
	s_or_b32 exec_lo, exec_lo, s40
	v_add_nc_u32_e32 v11, 0xffffff81, v42
	v_lshrrev_b32_e32 v15, 23, v10
	s_mov_b32 s11, exec_lo
	s_delay_alu instid0(VALU_DEP_2) | instskip(NEXT) | instid1(VALU_DEP_1)
	v_cndmask_b32_e64 v11, v11, 0xffffff82, s10
	v_add3_u32 v15, v43, v11, v15
	v_and_b32_e32 v11, 0x1fffff, v14
                                        ; implicit-def: $vgpr14
	s_delay_alu instid0(VALU_DEP_1) | instskip(NEXT) | instid1(VALU_DEP_1)
	v_dual_add_nc_u32 v42, 14, v15 :: v_dual_add_nc_u32 v64, v11, v10
                                        ; implicit-def: $vgpr10_vgpr11
	v_cmpx_ne_u32_e32 0, v42
	s_xor_b32 s11, exec_lo, s11
; %bb.1922:                             ;   in Loop: Header=BB4_1414 Depth=2
	s_delay_alu instid0(VALU_DEP_2) | instskip(SKIP_1) | instid1(VALU_DEP_1)
	v_cmp_lt_u64_e64 s10, 0xffffff, v[64:65]
	v_add_nc_u32_e32 v10, 15, v15
	v_cndmask_b32_e64 v14, v42, v10, s10
	v_cndmask_b32_e64 v10, 0, 1, s10
	s_delay_alu instid0(VALU_DEP_1)
	v_lshrrev_b64 v[10:11], v10, v[64:65]
; %bb.1923:                             ;   in Loop: Header=BB4_1414 Depth=2
	s_and_not1_saveexec_b32 s10, s11
; %bb.1924:                             ;   in Loop: Header=BB4_1414 Depth=2
	v_mov_b64_e32 v[10:11], v[64:65]
	v_bfe_u32 v14, v64, 23, 1
; %bb.1925:                             ;   in Loop: Header=BB4_1414 Depth=2
	s_or_b32 exec_lo, exec_lo, s10
	s_delay_alu instid0(VALU_DEP_2) | instskip(NEXT) | instid1(VALU_DEP_2)
	v_lshrrev_b64 v[10:11], 21, v[10:11]
	v_cmp_gt_i32_e64 s10, 32, v14
	v_min_i32_e32 v15, 31, v14
	v_cmp_eq_u32_e64 s11, 0, v14
	s_delay_alu instid0(VALU_DEP_3) | instskip(NEXT) | instid1(VALU_DEP_3)
	v_cndmask_b32_e64 v11, 0, v11, s10
	v_dual_lshlrev_b32 v15, 2, v15 :: v_dual_cndmask_b32 v10, 3, v10, s10
	s_delay_alu instid0(VALU_DEP_1) | instskip(NEXT) | instid1(VALU_DEP_2)
	v_and_b32_e32 v15, 0xfc, v15
	v_cmp_eq_u64_e64 s10, 0, v[10:11]
	s_delay_alu instid0(VALU_DEP_2)
	v_and_or_b32 v10, v10, 3, v15
	s_and_b32 s10, s11, s10
	s_delay_alu instid0(VALU_DEP_1) | instid1(SALU_CYCLE_1)
	v_cndmask_b32_e64 v10, v10, 0, s10
	s_delay_alu instid0(VALU_DEP_1)
	v_or_b32_e32 v14, v10, v41
.LBB4_1926:                             ;   in Loop: Header=BB4_1414 Depth=2
	s_or_b32 exec_lo, exec_lo, s29
                                        ; implicit-def: $vgpr41
.LBB4_1927:                             ;   in Loop: Header=BB4_1414 Depth=2
	s_and_not1_saveexec_b32 s10, s28
; %bb.1928:                             ;   in Loop: Header=BB4_1414 Depth=2
	v_or_b32_e32 v14, 0x7b, v41
; %bb.1929:                             ;   in Loop: Header=BB4_1414 Depth=2
	s_or_b32 exec_lo, exec_lo, s10
                                        ; implicit-def: $vgpr10
                                        ; implicit-def: $vgpr11
.LBB4_1930:                             ;   in Loop: Header=BB4_1414 Depth=2
	s_and_not1_saveexec_b32 s11, s27
	s_cbranch_execz .LBB4_1936
; %bb.1931:                             ;   in Loop: Header=BB4_1414 Depth=2
	v_cmp_ne_u64_e64 s10, 0, v[64:65]
                                        ; implicit-def: $vgpr14
	s_and_saveexec_b32 s27, s10
	s_delay_alu instid0(SALU_CYCLE_1)
	s_xor_b32 s10, exec_lo, s27
; %bb.1932:                             ;   in Loop: Header=BB4_1414 Depth=2
	v_or_b32_e32 v14, 0x7f, v11
                                        ; implicit-def: $vgpr10
; %bb.1933:                             ;   in Loop: Header=BB4_1414 Depth=2
	s_and_not1_saveexec_b32 s27, s10
; %bb.1934:                             ;   in Loop: Header=BB4_1414 Depth=2
	v_cmp_lt_i32_e64 s10, -1, v10
	s_delay_alu instid0(VALU_DEP_1)
	v_cndmask_b32_e64 v14, 0xfc, v68, s10
; %bb.1935:                             ;   in Loop: Header=BB4_1414 Depth=2
	s_or_b32 exec_lo, exec_lo, s27
.LBB4_1936:                             ;   in Loop: Header=BB4_1414 Depth=2
	s_delay_alu instid0(SALU_CYCLE_1)
	s_or_b32 exec_lo, exec_lo, s11
	v_mov_b32_e32 v11, 0
	s_mov_b32 s11, exec_lo
	v_cmpx_lt_u64_e64 s[12:13], v[16:17]
	s_cbranch_execz .LBB4_1946
; %bb.1937:                             ;   in Loop: Header=BB4_1414 Depth=2
	v_lshrrev_b32_e32 v10, 24, v17
	v_bfrev_b32_e32 v11, 1
	s_mov_b32 s27, exec_lo
	s_delay_alu instid0(VALU_DEP_2)
	v_cmpx_ne_u32_e32 0x80, v10
	s_cbranch_execz .LBB4_1945
; %bb.1938:                             ;   in Loop: Header=BB4_1414 Depth=2
	v_and_b32_e32 v11, 0x7c000000, v17
	v_bfe_u32 v15, v17, 24, 2
	s_delay_alu instid0(VALU_DEP_2) | instskip(SKIP_1) | instid1(SALU_CYCLE_1)
	v_cmp_ne_u32_e64 s10, 0x7c000000, v11
                                        ; implicit-def: $vgpr11
	s_and_saveexec_b32 s28, s10
	s_xor_b32 s28, exec_lo, s28
	s_cbranch_execz .LBB4_1942
; %bb.1939:                             ;   in Loop: Header=BB4_1414 Depth=2
	v_bfe_u32 v11, v17, 26, 5
	s_mov_b32 s29, exec_lo
	s_delay_alu instid0(VALU_DEP_1)
	v_cmpx_eq_u32_e32 0, v11
; %bb.1940:                             ;   in Loop: Header=BB4_1414 Depth=2
	v_clz_i32_u32_e32 v11, v15
	s_delay_alu instid0(VALU_DEP_1) | instskip(NEXT) | instid1(VALU_DEP_1)
	v_min_u32_e32 v15, 32, v11
	v_subrev_nc_u32_e32 v11, 29, v15
	s_delay_alu instid0(VALU_DEP_1) | instskip(NEXT) | instid1(VALU_DEP_1)
	v_lshlrev_b64_e32 v[10:11], v11, v[10:11]
	v_dual_sub_nc_u32 v11, 30, v15 :: v_dual_bitop2_b32 v15, 3, v10 bitop3:0x40
; %bb.1941:                             ;   in Loop: Header=BB4_1414 Depth=2
	s_or_b32 exec_lo, exec_lo, s29
	v_and_b32_e32 v10, 0x80000000, v17
                                        ; implicit-def: $vgpr16_vgpr17
	s_delay_alu instid0(VALU_DEP_1) | instskip(NEXT) | instid1(VALU_DEP_1)
	v_lshl_add_u32 v10, v11, 23, v10
	v_lshl_or_b32 v10, v15, 21, v10
                                        ; implicit-def: $vgpr15
	s_delay_alu instid0(VALU_DEP_1)
	v_add_nc_u32_e32 v11, 0x38000000, v10
.LBB4_1942:                             ;   in Loop: Header=BB4_1414 Depth=2
	s_and_not1_saveexec_b32 s28, s28
; %bb.1943:                             ;   in Loop: Header=BB4_1414 Depth=2
	v_cmp_lt_i64_e64 s10, -1, v[16:17]
	s_delay_alu instid0(VALU_DEP_1) | instskip(SKIP_1) | instid1(VALU_DEP_1)
	v_cndmask_b32_e64 v10, 0xff800000, v126, s10
	v_cmp_eq_u32_e64 s10, 0, v15
	v_cndmask_b32_e64 v11, 0x7f800001, v10, s10
; %bb.1944:                             ;   in Loop: Header=BB4_1414 Depth=2
	s_or_b32 exec_lo, exec_lo, s28
.LBB4_1945:                             ;   in Loop: Header=BB4_1414 Depth=2
	s_delay_alu instid0(SALU_CYCLE_1)
	s_or_b32 exec_lo, exec_lo, s27
.LBB4_1946:                             ;   in Loop: Header=BB4_1414 Depth=2
	s_delay_alu instid0(SALU_CYCLE_1) | instskip(SKIP_2) | instid1(VALU_DEP_2)
	s_or_b32 exec_lo, exec_lo, s11
	v_bfe_u32 v15, v13, 24, 2
	v_bfe_u32 v82, v13, 26, 5
	v_clz_i32_u32_e32 v10, v15
	s_delay_alu instid0(VALU_DEP_2) | instskip(NEXT) | instid1(VALU_DEP_2)
	v_cmp_eq_u32_e64 s10, 0, v82
	v_min_u32_e32 v64, 32, v10
	v_lshrrev_b32_e32 v10, 24, v13
	s_delay_alu instid0(VALU_DEP_2) | instskip(NEXT) | instid1(VALU_DEP_1)
	v_subrev_nc_u32_e32 v16, 29, v64
	v_lshlrev_b64_e32 v[16:17], v16, v[10:11]
	v_sub_nc_u32_e32 v17, 30, v64
	v_and_b32_e32 v64, 0x80000000, v13
	s_delay_alu instid0(VALU_DEP_2) | instskip(NEXT) | instid1(VALU_DEP_1)
	v_dual_cndmask_b32 v17, v82, v17, s10 :: v_dual_bitop2_b32 v16, 3, v16 bitop3:0x40
	v_lshl_add_u32 v17, v17, 23, v64
	s_delay_alu instid0(VALU_DEP_2) | instskip(SKIP_1) | instid1(VALU_DEP_2)
	v_cndmask_b32_e64 v16, v15, v16, s10
	v_cmp_lt_i64_e64 s10, -1, v[12:13]
	v_lshl_or_b32 v16, v16, 21, v17
	v_and_b32_e32 v17, 0x7c000000, v13
	s_delay_alu instid0(VALU_DEP_3) | instskip(SKIP_1) | instid1(VALU_DEP_4)
	v_cndmask_b32_e64 v64, 0xff800000, v126, s10
	v_cmp_eq_u32_e64 s10, 0, v15
	v_add_nc_u32_e32 v16, 0x38000000, v16
	s_delay_alu instid0(VALU_DEP_2) | instskip(SKIP_1) | instid1(VALU_DEP_1)
	v_cndmask_b32_e64 v15, 0x7f800001, v64, s10
	v_cmp_eq_u32_e64 s10, 0x7c000000, v17
	v_cndmask_b32_e64 v15, v16, v15, s10
	v_cmp_ne_u32_e64 s10, 0x80, v10
	s_delay_alu instid0(VALU_DEP_1) | instskip(SKIP_1) | instid1(VALU_DEP_1)
	v_cndmask_b32_e64 v10, 0x80000000, v15, s10
	v_cmp_lt_u64_e64 s10, s[12:13], v[12:13]
	v_dual_mov_b32 v13, v65 :: v_dual_cndmask_b32 v10, 0, v10, s10
	s_delay_alu instid0(VALU_DEP_1) | instskip(NEXT) | instid1(VALU_DEP_1)
	v_mul_f32_e32 v11, v10, v11
                                        ; implicit-def: $vgpr10
	v_and_b32_e32 v12, 0x7f800000, v11
	v_and_b32_e32 v64, 0x7fffff, v11
	s_delay_alu instid0(VALU_DEP_2) | instskip(SKIP_2) | instid1(SALU_CYCLE_1)
	v_cmp_ne_u64_e64 s10, 0x7f800000, v[12:13]
	v_lshrrev_b32_e32 v12, 24, v11
	s_and_saveexec_b32 s11, s10
	s_xor_b32 s27, exec_lo, s11
	s_cbranch_execz .LBB4_1960
; %bb.1947:                             ;   in Loop: Header=BB4_1414 Depth=2
	v_and_b32_e32 v16, 0x7fffffff, v11
	v_mov_b32_e32 v17, v65
	v_and_b32_e32 v15, 0x80, v12
                                        ; implicit-def: $vgpr10
	s_mov_b32 s11, exec_lo
	s_delay_alu instid0(VALU_DEP_2)
	v_cmpx_gt_u64_e32 0x47600001, v[16:17]
	s_xor_b32 s28, exec_lo, s11
	s_cbranch_execz .LBB4_1957
; %bb.1948:                             ;   in Loop: Header=BB4_1414 Depth=2
	v_mov_b32_e32 v10, 0
	s_mov_b32 s29, exec_lo
	v_cmpx_ne_u32_e32 0, v11
	s_cbranch_execz .LBB4_1956
; %bb.1949:                             ;   in Loop: Header=BB4_1414 Depth=2
	v_bfe_u32 v16, v11, 23, 8
	v_or_b32_e32 v12, 0x800000, v64
	s_delay_alu instid0(VALU_DEP_2) | instskip(SKIP_1) | instid1(VALU_DEP_1)
	v_sub_nc_u32_e32 v10, 0x71, v16
	v_cmp_gt_u32_e64 s10, 0x72, v16
	v_cndmask_b32_e64 v10, 0, v10, s10
	v_cmp_eq_u32_e64 s10, 0, v16
	s_delay_alu instid0(VALU_DEP_1) | instskip(NEXT) | instid1(VALU_DEP_1)
	v_cndmask_b32_e64 v17, v10, 0x70, s10
	v_dual_cndmask_b32 v64, v12, v64, s10 :: v_dual_add_nc_u32 v10, 21, v17
	v_add_nc_u32_e32 v13, 20, v17
	s_delay_alu instid0(VALU_DEP_2) | instskip(NEXT) | instid1(VALU_DEP_2)
	v_lshlrev_b64_e64 v[10:11], v10, -1
	v_lshlrev_b64_e64 v[12:13], v13, 1
	s_delay_alu instid0(VALU_DEP_2) | instskip(NEXT) | instid1(VALU_DEP_3)
	v_bfi_b32 v43, v11, 0, 0
	v_bfi_b32 v42, v10, 0, v64
	v_lshrrev_b64 v[10:11], v17, v[64:65]
	s_delay_alu instid0(VALU_DEP_2) | instskip(NEXT) | instid1(VALU_DEP_2)
	v_cmp_eq_u64_e64 s11, v[42:43], v[12:13]
	v_mov_b64_e32 v[12:13], v[10:11]
	s_and_saveexec_b32 s40, s11
; %bb.1950:                             ;   in Loop: Header=BB4_1414 Depth=2
	v_bfe_u32 v64, v10, 21, 1
	s_delay_alu instid0(VALU_DEP_1) | instskip(NEXT) | instid1(VALU_DEP_1)
	v_add_nc_u64_e32 v[12:13], v[10:11], v[64:65]
	v_add_nc_u64_e32 v[12:13], -1, v[12:13]
; %bb.1951:                             ;   in Loop: Header=BB4_1414 Depth=2
	s_or_b32 exec_lo, exec_lo, s40
	v_add_nc_u32_e32 v11, 0xffffff81, v16
	v_lshrrev_b32_e32 v13, 23, v10
	s_mov_b32 s11, exec_lo
	s_delay_alu instid0(VALU_DEP_2) | instskip(NEXT) | instid1(VALU_DEP_1)
	v_cndmask_b32_e64 v11, v11, 0xffffff82, s10
	v_add3_u32 v13, v17, v11, v13
	v_and_b32_e32 v11, 0x1fffff, v12
                                        ; implicit-def: $vgpr12
	s_delay_alu instid0(VALU_DEP_1) | instskip(NEXT) | instid1(VALU_DEP_1)
	v_dual_add_nc_u32 v16, 14, v13 :: v_dual_add_nc_u32 v64, v11, v10
                                        ; implicit-def: $vgpr10_vgpr11
	v_cmpx_ne_u32_e32 0, v16
	s_xor_b32 s11, exec_lo, s11
; %bb.1952:                             ;   in Loop: Header=BB4_1414 Depth=2
	s_delay_alu instid0(VALU_DEP_2) | instskip(SKIP_1) | instid1(VALU_DEP_1)
	v_cmp_lt_u64_e64 s10, 0xffffff, v[64:65]
	v_add_nc_u32_e32 v10, 15, v13
	v_cndmask_b32_e64 v12, v16, v10, s10
	v_cndmask_b32_e64 v10, 0, 1, s10
	s_delay_alu instid0(VALU_DEP_1)
	v_lshrrev_b64 v[10:11], v10, v[64:65]
; %bb.1953:                             ;   in Loop: Header=BB4_1414 Depth=2
	s_and_not1_saveexec_b32 s10, s11
; %bb.1954:                             ;   in Loop: Header=BB4_1414 Depth=2
	v_mov_b64_e32 v[10:11], v[64:65]
	v_bfe_u32 v12, v64, 23, 1
; %bb.1955:                             ;   in Loop: Header=BB4_1414 Depth=2
	s_or_b32 exec_lo, exec_lo, s10
	s_delay_alu instid0(VALU_DEP_2) | instskip(NEXT) | instid1(VALU_DEP_2)
	v_lshrrev_b64 v[10:11], 21, v[10:11]
	v_cmp_gt_i32_e64 s10, 32, v12
	v_min_i32_e32 v13, 31, v12
	v_cmp_eq_u32_e64 s11, 0, v12
	s_delay_alu instid0(VALU_DEP_2) | instskip(SKIP_1) | instid1(VALU_DEP_2)
	v_dual_cndmask_b32 v11, 0, v11, s10 :: v_dual_lshlrev_b32 v13, 2, v13
	v_cndmask_b32_e64 v10, 3, v10, s10
	v_and_b32_e32 v13, 0xfc, v13
	s_delay_alu instid0(VALU_DEP_2) | instskip(NEXT) | instid1(VALU_DEP_2)
	v_cmp_eq_u64_e64 s10, 0, v[10:11]
	v_and_or_b32 v10, v10, 3, v13
	s_and_b32 s10, s11, s10
	s_delay_alu instid0(VALU_DEP_1) | instid1(SALU_CYCLE_1)
	v_cndmask_b32_e64 v10, v10, 0, s10
	s_delay_alu instid0(VALU_DEP_1)
	v_or_b32_e32 v10, v10, v15
.LBB4_1956:                             ;   in Loop: Header=BB4_1414 Depth=2
	s_or_b32 exec_lo, exec_lo, s29
                                        ; implicit-def: $vgpr15
.LBB4_1957:                             ;   in Loop: Header=BB4_1414 Depth=2
	s_and_not1_saveexec_b32 s10, s28
; %bb.1958:                             ;   in Loop: Header=BB4_1414 Depth=2
	v_or_b32_e32 v10, 0x7b, v15
; %bb.1959:                             ;   in Loop: Header=BB4_1414 Depth=2
	s_or_b32 exec_lo, exec_lo, s10
                                        ; implicit-def: $vgpr11
                                        ; implicit-def: $vgpr12
.LBB4_1960:                             ;   in Loop: Header=BB4_1414 Depth=2
	s_and_not1_saveexec_b32 s11, s27
	s_cbranch_execz .LBB4_1413
; %bb.1961:                             ;   in Loop: Header=BB4_1414 Depth=2
	v_cmp_ne_u64_e64 s10, 0, v[64:65]
                                        ; implicit-def: $vgpr10
	s_and_saveexec_b32 s27, s10
	s_delay_alu instid0(SALU_CYCLE_1)
	s_xor_b32 s10, exec_lo, s27
; %bb.1962:                             ;   in Loop: Header=BB4_1414 Depth=2
	v_or_b32_e32 v10, 0x7f, v12
                                        ; implicit-def: $vgpr11
; %bb.1963:                             ;   in Loop: Header=BB4_1414 Depth=2
	s_and_not1_saveexec_b32 s27, s10
	s_cbranch_execz .LBB4_1412
; %bb.1964:                             ;   in Loop: Header=BB4_1414 Depth=2
	v_cmp_lt_i32_e64 s10, -1, v11
	s_delay_alu instid0(VALU_DEP_1)
	v_cndmask_b32_e64 v10, 0xfc, v68, s10
	s_branch .LBB4_1412
.LBB4_1965:                             ;   in Loop: Header=BB4_1414 Depth=2
	s_or_saveexec_b32 s11, s11
	v_bfrev_b32_e32 v25, 1
	s_xor_b32 exec_lo, exec_lo, s11
	s_cbranch_execz .LBB4_1428
.LBB4_1966:                             ;   in Loop: Header=BB4_1414 Depth=2
	v_cmp_ne_u16_e64 s10, 0, v64
	v_mov_b32_e32 v25, 0
	s_and_not1_b32 s27, s27, exec_lo
	s_and_b32 s10, s10, exec_lo
	s_delay_alu instid0(SALU_CYCLE_1)
	s_or_b32 s27, s27, s10
	s_or_b32 exec_lo, exec_lo, s11
	s_and_saveexec_b32 s11, s27
	s_cbranch_execnz .LBB4_1429
	s_branch .LBB4_1430
.LBB4_1967:                             ;   in Loop: Header=BB4_1414 Depth=2
	s_or_saveexec_b32 s11, s11
	v_bfrev_b32_e32 v25, 1
	s_xor_b32 exec_lo, exec_lo, s11
	s_cbranch_execz .LBB4_1464
.LBB4_1968:                             ;   in Loop: Header=BB4_1414 Depth=2
	v_cmp_ne_u16_e64 s10, 0, v64
	v_mov_b32_e32 v25, 0
	s_and_not1_b32 s27, s27, exec_lo
	s_and_b32 s10, s10, exec_lo
	s_delay_alu instid0(SALU_CYCLE_1)
	s_or_b32 s27, s27, s10
	s_or_b32 exec_lo, exec_lo, s11
	s_and_saveexec_b32 s11, s27
	s_cbranch_execnz .LBB4_1465
	s_branch .LBB4_1466
.LBB4_1969:                             ;   in Loop: Header=BB4_1414 Depth=2
	s_or_saveexec_b32 s11, s11
	v_bfrev_b32_e32 v64, 1
	s_xor_b32 exec_lo, exec_lo, s11
	s_cbranch_execz .LBB4_1500
.LBB4_1970:                             ;   in Loop: Header=BB4_1414 Depth=2
	v_cmp_ne_u16_e64 s10, 0, v102
	v_mov_b32_e32 v64, 0
	s_and_not1_b32 s27, s27, exec_lo
	s_and_b32 s10, s10, exec_lo
	s_delay_alu instid0(SALU_CYCLE_1)
	s_or_b32 s27, s27, s10
	s_or_b32 exec_lo, exec_lo, s11
	s_and_saveexec_b32 s11, s27
	s_cbranch_execnz .LBB4_1501
	s_branch .LBB4_1502
.LBB4_1971:                             ;   in Loop: Header=BB4_1414 Depth=2
	s_or_saveexec_b32 s11, s11
	v_bfrev_b32_e32 v103, 1
	s_xor_b32 exec_lo, exec_lo, s11
	s_cbranch_execz .LBB4_1566
.LBB4_1972:                             ;   in Loop: Header=BB4_1414 Depth=2
	v_cmp_ne_u16_e64 s10, 0, v25
	v_mov_b32_e32 v103, 0
	s_and_not1_b32 s27, s27, exec_lo
	s_and_b32 s10, s10, exec_lo
	s_delay_alu instid0(SALU_CYCLE_1)
	s_or_b32 s27, s27, s10
	s_or_b32 exec_lo, exec_lo, s11
	v_mov_b32_e32 v25, v65
	s_and_saveexec_b32 s11, s27
	s_cbranch_execnz .LBB4_1567
	s_branch .LBB4_1568
.LBB4_1973:                             ;   in Loop: Header=BB4_1414 Depth=2
	s_or_saveexec_b32 s11, s11
	v_bfrev_b32_e32 v102, 1
	s_xor_b32 exec_lo, exec_lo, s11
	s_cbranch_execz .LBB4_1602
.LBB4_1974:                             ;   in Loop: Header=BB4_1414 Depth=2
	v_cmp_ne_u16_e64 s10, 0, v64
	v_mov_b32_e32 v102, 0
	s_and_not1_b32 s27, s27, exec_lo
	s_and_b32 s10, s10, exec_lo
	s_delay_alu instid0(SALU_CYCLE_1)
	s_or_b32 s27, s27, s10
	s_or_b32 exec_lo, exec_lo, s11
	s_and_saveexec_b32 s11, s27
	s_cbranch_execnz .LBB4_1603
	s_branch .LBB4_1604
.LBB4_1975:                             ;   in Loop: Header=BB4_1414 Depth=2
	s_or_saveexec_b32 s11, s11
	v_bfrev_b32_e32 v64, 1
	s_xor_b32 exec_lo, exec_lo, s11
	s_cbranch_execz .LBB4_1638
.LBB4_1976:                             ;   in Loop: Header=BB4_1414 Depth=2
	v_cmp_ne_u16_e64 s10, 0, v102
	v_mov_b32_e32 v64, 0
	s_and_not1_b32 s27, s27, exec_lo
	s_and_b32 s10, s10, exec_lo
	s_delay_alu instid0(SALU_CYCLE_1)
	s_or_b32 s27, s27, s10
	s_or_b32 exec_lo, exec_lo, s11
	s_and_saveexec_b32 s11, s27
	s_cbranch_execnz .LBB4_1639
	s_branch .LBB4_1640
.LBB4_1977:                             ;   in Loop: Header=BB4_1414 Depth=2
	s_or_saveexec_b32 s11, s11
	v_bfrev_b32_e32 v11, 1
	s_xor_b32 exec_lo, exec_lo, s11
	s_cbranch_execz .LBB4_1704
.LBB4_1978:                             ;   in Loop: Header=BB4_1414 Depth=2
	v_cmp_ne_u16_e64 s10, 0, v14
	v_mov_b32_e32 v11, 0
	s_and_not1_b32 s27, s27, exec_lo
	s_and_b32 s10, s10, exec_lo
	s_delay_alu instid0(SALU_CYCLE_1)
	s_or_b32 s27, s27, s10
	s_or_b32 exec_lo, exec_lo, s11
	s_and_saveexec_b32 s11, s27
	s_cbranch_execnz .LBB4_1705
	s_branch .LBB4_1706
.LBB4_1979:                             ;   in Loop: Header=BB4_1414 Depth=2
	s_or_saveexec_b32 s11, s11
	v_bfrev_b32_e32 v11, 1
	s_xor_b32 exec_lo, exec_lo, s11
	s_cbranch_execz .LBB4_1740
.LBB4_1980:                             ;   in Loop: Header=BB4_1414 Depth=2
	v_cmp_ne_u16_e64 s10, 0, v64
	v_mov_b32_e32 v11, 0
	s_and_not1_b32 s27, s27, exec_lo
	s_and_b32 s10, s10, exec_lo
	s_delay_alu instid0(SALU_CYCLE_1)
	s_or_b32 s27, s27, s10
	s_or_b32 exec_lo, exec_lo, s11
	s_and_saveexec_b32 s11, s27
	s_cbranch_execnz .LBB4_1741
	s_branch .LBB4_1742
.LBB4_1981:                             ;   in Loop: Header=BB4_1414 Depth=2
	s_or_saveexec_b32 s11, s11
	v_bfrev_b32_e32 v14, 1
	s_xor_b32 exec_lo, exec_lo, s11
	s_cbranch_execz .LBB4_1776
.LBB4_1982:                             ;   in Loop: Header=BB4_1414 Depth=2
	v_cmp_ne_u16_e64 s10, 0, v15
	v_mov_b32_e32 v14, 0
	s_and_not1_b32 s27, s27, exec_lo
	s_and_b32 s10, s10, exec_lo
	s_delay_alu instid0(SALU_CYCLE_1)
	s_or_b32 s27, s27, s10
	s_or_b32 exec_lo, exec_lo, s11
	s_and_saveexec_b32 s11, s27
	s_cbranch_execnz .LBB4_1777
	s_branch .LBB4_1778
.LBB4_1983:                             ;   in Loop: Header=BB4_1414 Depth=2
	s_or_saveexec_b32 s11, s11
	v_bfrev_b32_e32 v15, 1
	s_xor_b32 exec_lo, exec_lo, s11
	s_cbranch_execz .LBB4_1842
.LBB4_1984:                             ;   in Loop: Header=BB4_1414 Depth=2
	v_cmp_ne_u16_e64 s10, 0, v11
	v_mov_b32_e32 v15, 0
	s_and_not1_b32 s27, s27, exec_lo
	s_and_b32 s10, s10, exec_lo
	s_delay_alu instid0(SALU_CYCLE_1)
	s_or_b32 s27, s27, s10
	s_or_b32 exec_lo, exec_lo, s11
	v_mov_b32_e32 v11, v65
	s_and_saveexec_b32 s11, s27
	s_cbranch_execnz .LBB4_1843
	s_branch .LBB4_1844
.LBB4_1985:                             ;   in Loop: Header=BB4_1414 Depth=2
	s_or_saveexec_b32 s11, s11
	v_bfrev_b32_e32 v14, 1
	s_xor_b32 exec_lo, exec_lo, s11
	s_cbranch_execz .LBB4_1878
.LBB4_1986:                             ;   in Loop: Header=BB4_1414 Depth=2
	v_cmp_ne_u16_e64 s10, 0, v64
	v_mov_b32_e32 v14, 0
	s_and_not1_b32 s27, s27, exec_lo
	s_and_b32 s10, s10, exec_lo
	s_delay_alu instid0(SALU_CYCLE_1)
	s_or_b32 s27, s27, s10
	s_or_b32 exec_lo, exec_lo, s11
	s_and_saveexec_b32 s11, s27
	s_cbranch_execnz .LBB4_1879
	s_branch .LBB4_1880
.LBB4_1987:                             ;   in Loop: Header=BB4_1414 Depth=2
	s_or_saveexec_b32 s11, s11
	v_bfrev_b32_e32 v14, 1
	s_xor_b32 exec_lo, exec_lo, s11
	s_cbranch_execz .LBB4_1914
.LBB4_1988:                             ;   in Loop: Header=BB4_1414 Depth=2
	v_cmp_ne_u16_e64 s10, 0, v15
	v_mov_b32_e32 v14, 0
	s_and_not1_b32 s27, s27, exec_lo
	s_and_b32 s10, s10, exec_lo
	s_delay_alu instid0(SALU_CYCLE_1)
	s_or_b32 s27, s27, s10
	s_or_b32 exec_lo, exec_lo, s11
	s_and_saveexec_b32 s11, s27
	s_cbranch_execnz .LBB4_1915
	s_branch .LBB4_1916
.LBB4_1989:                             ;   in Loop: Header=BB4_49 Depth=1
	s_or_b32 exec_lo, exec_lo, s26
.LBB4_1990:                             ;   in Loop: Header=BB4_49 Depth=1
	s_delay_alu instid0(SALU_CYCLE_1) | instskip(SKIP_3) | instid1(VALU_DEP_1)
	s_or_b32 exec_lo, exec_lo, s25
	v_dual_mov_b32 v30, 0 :: v_dual_bitop2_b32 v10, 15, v69 bitop3:0x40
	s_mov_b32 s11, 0
	s_mov_b32 s25, exec_lo
	v_cndmask_b32_e32 v97, v0, v10, vcc_lo
                                        ; implicit-def: $vgpr0
                                        ; implicit-def: $vgpr10
	s_delay_alu instid0(VALU_DEP_1)
	v_cmpx_ne_u32_e32 0, v97
	s_cbranch_execz .LBB4_1992
; %bb.1991:                             ;   in Loop: Header=BB4_49 Depth=1
	v_cmp_lt_i32_e64 s10, 0, v87
	v_and_b32_e32 v10, 0x1f0, v69
	s_mov_b32 s11, exec_lo
	v_cndmask_b32_e64 v0, 0, v54, s10
	s_delay_alu instid0(VALU_DEP_1) | instskip(NEXT) | instid1(VALU_DEP_1)
	v_dual_cndmask_b32 v10, 0, v10, vcc_lo :: v_dual_sub_nc_u32 v0, v0, v87
	v_and_or_b32 v30, 0x3ffffe00, v69, v10
	s_delay_alu instid0(VALU_DEP_2) | instskip(NEXT) | instid1(VALU_DEP_1)
	v_lshl_add_u32 v0, v0, 5, v3
	v_ashrrev_i32_e32 v3, 31, v0
	s_delay_alu instid0(VALU_DEP_1) | instskip(NEXT) | instid1(VALU_DEP_1)
	v_lshrrev_b32_e32 v3, 27, v3
	v_add_nc_u32_e32 v3, v0, v3
	s_delay_alu instid0(VALU_DEP_1)
	v_ashrrev_i32_e32 v10, 5, v3
.LBB4_1992:                             ;   in Loop: Header=BB4_49 Depth=1
	s_or_b32 exec_lo, exec_lo, s25
	s_delay_alu instid0(SALU_CYCLE_1)
	s_and_b32 s10, s11, exec_lo
.LBB4_1993:                             ;   in Loop: Header=BB4_49 Depth=1
	s_or_b32 exec_lo, exec_lo, s24
	s_and_saveexec_b32 s11, s10
	s_cbranch_execz .LBB4_2750
.LBB4_1994:                             ;   in Loop: Header=BB4_49 Depth=1
	v_dual_lshrrev_b32 v3, 9, v97 :: v_dual_ashrrev_i32 v11, 31, v0
	s_mov_b32 s24, exec_lo
	s_delay_alu instid0(VALU_DEP_1) | instskip(NEXT) | instid1(VALU_DEP_1)
	v_dual_sub_nc_u32 v3, v3, v10 :: v_dual_lshrrev_b32 v87, 27, v11
	v_cmpx_lt_i32_e32 0, v3
	s_cbranch_execz .LBB4_2702
; %bb.1995:                             ;   in Loop: Header=BB4_49 Depth=1
	s_delay_alu instid0(VALU_DEP_2)
	v_dual_add_nc_u32 v11, v0, v87 :: v_dual_lshlrev_b32 v10, 9, v10
	s_trap 2
	ds_load_b64 v[12:13], v0
	v_add_nc_u64_e32 v[16:17], 0x1e0, v[100:101]
	v_and_b32_e32 v11, 0xffffffe0, v11
	s_mov_b32 s25, 0
	s_delay_alu instid0(VALU_DEP_1) | instskip(NEXT) | instid1(VALU_DEP_1)
	v_sub_nc_u32_e32 v11, v0, v11
	v_add3_u32 v14, v30, v11, v10
	s_delay_alu instid0(VALU_DEP_1) | instskip(NEXT) | instid1(VALU_DEP_1)
	v_ashrrev_i32_e32 v15, 31, v14
	v_add_nc_u64_e32 v[10:11], v[14:15], v[98:99]
	s_wait_dscnt 0x0
	v_add_nc_u64_e32 v[12:13], v[12:13], v[14:15]
	v_add_nc_u64_e32 v[14:15], v[16:17], v[14:15]
	s_branch .LBB4_1998
.LBB4_1996:                             ;   in Loop: Header=BB4_1998 Depth=2
	s_or_b32 exec_lo, exec_lo, s26
.LBB4_1997:                             ;   in Loop: Header=BB4_1998 Depth=2
	s_delay_alu instid0(SALU_CYCLE_1)
	s_or_b32 exec_lo, exec_lo, s10
	v_sub_nc_u32_e32 v3, v3, v54
	s_clause 0xf
	flat_store_b8 v[14:15], v109 offset:-480 th:TH_STORE_NT
	flat_store_b8 v[14:15], v105 offset:-448 th:TH_STORE_NT
	;; [unrolled: 1-line block ×15, first 2 shown]
	flat_store_b8 v[14:15], v17 th:TH_STORE_NT
	v_add_nc_u64_e32 v[10:11], v[10:11], v[80:81]
	v_add_nc_u64_e32 v[12:13], v[12:13], v[80:81]
	v_cmp_gt_i32_e32 vcc_lo, 1, v3
	s_wait_xcnt 0x0
	v_add_nc_u64_e32 v[14:15], v[14:15], v[80:81]
	s_or_b32 s25, vcc_lo, s25
	s_delay_alu instid0(SALU_CYCLE_1)
	s_and_not1_b32 exec_lo, exec_lo, s25
	s_cbranch_execz .LBB4_2701
.LBB4_1998:                             ;   Parent Loop BB4_49 Depth=1
                                        ; =>  This Inner Loop Header: Depth=2
	s_clause 0xf
	flat_load_i8 v64, v[10:11] th:TH_LOAD_NT
	flat_load_i8 v106, v[10:11] offset:32 th:TH_LOAD_NT
	flat_load_i8 v94, v[10:11] offset:64 th:TH_LOAD_NT
	flat_load_i8 v90, v[10:11] offset:96 th:TH_LOAD_NT
	flat_load_i8 v78, v[10:11] offset:128 th:TH_LOAD_NT
	flat_load_i8 v74, v[10:11] offset:160 th:TH_LOAD_NT
	flat_load_i8 v62, v[10:11] offset:192 th:TH_LOAD_NT
	flat_load_i8 v58, v[10:11] offset:224 th:TH_LOAD_NT
	flat_load_i8 v46, v[10:11] offset:256 th:TH_LOAD_NT
	flat_load_i8 v42, v[10:11] offset:288 th:TH_LOAD_NT
	flat_load_i8 v118, v[10:11] offset:320 th:TH_LOAD_NT
	flat_load_i8 v114, v[10:11] offset:352 th:TH_LOAD_NT
	flat_load_i8 v102, v[10:11] offset:384 th:TH_LOAD_NT
	flat_load_i8 v98, v[10:11] offset:416 th:TH_LOAD_NT
	flat_load_i8 v22, v[10:11] offset:448 th:TH_LOAD_NT
	flat_load_i8 v18, v[10:11] offset:480 th:TH_LOAD_NT
	s_clause 0xf
	flat_load_i8 v108, v[12:13] th:TH_LOAD_NT
	flat_load_i8 v104, v[12:13] offset:32 th:TH_LOAD_NT
	flat_load_i8 v92, v[12:13] offset:64 th:TH_LOAD_NT
	;; [unrolled: 1-line block ×15, first 2 shown]
	v_dual_mov_b32 v17, 0 :: v_dual_mov_b32 v19, 0
	s_mov_b32 s10, exec_lo
	s_wait_loadcnt_dscnt 0x1f1f
	s_wait_xcnt 0x0
	v_cmpx_ne_u16_e32 0, v64
	s_cbranch_execz .LBB4_2008
; %bb.1999:                             ;   in Loop: Header=BB4_1998 Depth=2
	v_bfrev_b32_e32 v19, 1
	s_mov_b32 s26, exec_lo
	v_cmpx_ne_u16_e32 0xff80, v64
	s_cbranch_execz .LBB4_2007
; %bb.2000:                             ;   in Loop: Header=BB4_1998 Depth=2
	v_and_b32_e32 v19, 0x7c, v64
	v_and_b32_e32 v21, 3, v64
	s_delay_alu instid0(VALU_DEP_2) | instskip(SKIP_1) | instid1(SALU_CYCLE_1)
	v_cmp_ne_u32_e32 vcc_lo, 0x7c, v19
                                        ; implicit-def: $vgpr19
	s_and_saveexec_b32 s27, vcc_lo
	s_xor_b32 s27, exec_lo, s27
	s_cbranch_execz .LBB4_2004
; %bb.2001:                             ;   in Loop: Header=BB4_1998 Depth=2
	v_and_b32_e32 v19, 0xff, v64
	s_mov_b32 s28, exec_lo
	s_delay_alu instid0(VALU_DEP_1) | instskip(NEXT) | instid1(VALU_DEP_1)
	v_bfe_u32 v19, v19, 2, 5
	v_cmpx_eq_u32_e32 0, v19
; %bb.2002:                             ;   in Loop: Header=BB4_1998 Depth=2
	v_clz_i32_u32_e32 v19, v21
	s_delay_alu instid0(VALU_DEP_1) | instskip(NEXT) | instid1(VALU_DEP_1)
	v_min_u32_e32 v19, 32, v19
	v_subrev_nc_u32_e32 v21, 29, v19
	s_delay_alu instid0(VALU_DEP_1) | instskip(NEXT) | instid1(VALU_DEP_1)
	v_lshlrev_b64_e32 v[110:111], v21, v[64:65]
	v_dual_sub_nc_u32 v19, 30, v19 :: v_dual_bitop2_b32 v21, 3, v110 bitop3:0x40
; %bb.2003:                             ;   in Loop: Header=BB4_1998 Depth=2
	s_or_b32 exec_lo, exec_lo, s28
	v_bfe_i32 v23, v64, 0, 16
	s_delay_alu instid0(VALU_DEP_1) | instskip(NEXT) | instid1(VALU_DEP_1)
	v_and_b32_e32 v23, 0x80000000, v23
	v_lshl_add_u32 v19, v19, 23, v23
	s_delay_alu instid0(VALU_DEP_1) | instskip(NEXT) | instid1(VALU_DEP_1)
	v_lshl_or_b32 v19, v21, 21, v19
                                        ; implicit-def: $vgpr21
	v_add_nc_u32_e32 v19, 0x38000000, v19
.LBB4_2004:                             ;   in Loop: Header=BB4_1998 Depth=2
	s_and_not1_saveexec_b32 s27, s27
; %bb.2005:                             ;   in Loop: Header=BB4_1998 Depth=2
	v_cmp_lt_i16_e32 vcc_lo, -1, v64
	v_cndmask_b32_e32 v19, 0xff800000, v126, vcc_lo
	v_cmp_eq_u32_e32 vcc_lo, 0, v21
	s_delay_alu instid0(VALU_DEP_2)
	v_cndmask_b32_e32 v19, 0x7f800001, v19, vcc_lo
; %bb.2006:                             ;   in Loop: Header=BB4_1998 Depth=2
	s_or_b32 exec_lo, exec_lo, s27
.LBB4_2007:                             ;   in Loop: Header=BB4_1998 Depth=2
	s_delay_alu instid0(SALU_CYCLE_1)
	s_or_b32 exec_lo, exec_lo, s26
.LBB4_2008:                             ;   in Loop: Header=BB4_1998 Depth=2
	s_delay_alu instid0(SALU_CYCLE_1) | instskip(NEXT) | instid1(SALU_CYCLE_1)
	s_or_b32 exec_lo, exec_lo, s10
	s_mov_b32 s10, exec_lo
	s_wait_loadcnt_dscnt 0xf0f
	v_cmpx_ne_u16_e32 0, v108
	s_cbranch_execz .LBB4_2018
; %bb.2009:                             ;   in Loop: Header=BB4_1998 Depth=2
	v_bfrev_b32_e32 v17, 1
	s_mov_b32 s26, exec_lo
	v_cmpx_ne_u16_e32 0xff80, v108
	s_cbranch_execz .LBB4_2017
; %bb.2010:                             ;   in Loop: Header=BB4_1998 Depth=2
	v_and_b32_e32 v17, 0x7c, v108
	v_and_b32_e32 v21, 3, v108
	s_delay_alu instid0(VALU_DEP_2) | instskip(SKIP_1) | instid1(SALU_CYCLE_1)
	v_cmp_ne_u32_e32 vcc_lo, 0x7c, v17
                                        ; implicit-def: $vgpr17
	s_and_saveexec_b32 s27, vcc_lo
	s_xor_b32 s27, exec_lo, s27
	s_cbranch_execz .LBB4_2014
; %bb.2011:                             ;   in Loop: Header=BB4_1998 Depth=2
	v_and_b32_e32 v17, 0xff, v108
	s_mov_b32 s28, exec_lo
	s_delay_alu instid0(VALU_DEP_1) | instskip(NEXT) | instid1(VALU_DEP_1)
	v_bfe_u32 v17, v17, 2, 5
	v_cmpx_eq_u32_e32 0, v17
	s_cbranch_execz .LBB4_2013
; %bb.2012:                             ;   in Loop: Header=BB4_1998 Depth=2
	v_clz_i32_u32_e32 v17, v21
	s_delay_alu instid0(VALU_DEP_1) | instskip(SKIP_1) | instid1(VALU_DEP_2)
	v_min_u32_e32 v17, 32, v17
	v_mov_b32_e32 v109, v65
	v_subrev_nc_u32_e32 v21, 29, v17
	v_sub_nc_u32_e32 v17, 30, v17
	s_delay_alu instid0(VALU_DEP_2) | instskip(NEXT) | instid1(VALU_DEP_1)
	v_lshlrev_b64_e32 v[110:111], v21, v[108:109]
	v_and_b32_e32 v21, 3, v110
.LBB4_2013:                             ;   in Loop: Header=BB4_1998 Depth=2
	s_or_b32 exec_lo, exec_lo, s28
	v_bfe_i32 v23, v108, 0, 16
                                        ; implicit-def: $vgpr108
	s_delay_alu instid0(VALU_DEP_1) | instskip(NEXT) | instid1(VALU_DEP_1)
	v_and_b32_e32 v23, 0x80000000, v23
	v_lshl_add_u32 v17, v17, 23, v23
	s_delay_alu instid0(VALU_DEP_1) | instskip(NEXT) | instid1(VALU_DEP_1)
	v_lshl_or_b32 v17, v21, 21, v17
                                        ; implicit-def: $vgpr21
	v_add_nc_u32_e32 v17, 0x38000000, v17
.LBB4_2014:                             ;   in Loop: Header=BB4_1998 Depth=2
	s_and_not1_saveexec_b32 s27, s27
; %bb.2015:                             ;   in Loop: Header=BB4_1998 Depth=2
	v_cmp_lt_i16_e32 vcc_lo, -1, v108
	v_cndmask_b32_e32 v17, 0xff800000, v126, vcc_lo
	v_cmp_eq_u32_e32 vcc_lo, 0, v21
	s_delay_alu instid0(VALU_DEP_2)
	v_cndmask_b32_e32 v17, 0x7f800001, v17, vcc_lo
; %bb.2016:                             ;   in Loop: Header=BB4_1998 Depth=2
	s_or_b32 exec_lo, exec_lo, s27
.LBB4_2017:                             ;   in Loop: Header=BB4_1998 Depth=2
	s_delay_alu instid0(SALU_CYCLE_1)
	s_or_b32 exec_lo, exec_lo, s26
.LBB4_2018:                             ;   in Loop: Header=BB4_1998 Depth=2
	s_delay_alu instid0(SALU_CYCLE_1) | instskip(NEXT) | instid1(VALU_DEP_1)
	s_or_b32 exec_lo, exec_lo, s10
	v_dual_mul_f32 v19, v19, v17 :: v_dual_mov_b32 v109, v65
	s_delay_alu instid0(VALU_DEP_1) | instskip(SKIP_1) | instid1(VALU_DEP_2)
	v_and_b32_e32 v108, 0x7f800000, v19
	v_and_b32_e32 v64, 0x7fffff, v19
	v_cmp_ne_u64_e32 vcc_lo, 0x7f800000, v[108:109]
                                        ; implicit-def: $vgpr109
	s_and_saveexec_b32 s10, vcc_lo
	s_delay_alu instid0(SALU_CYCLE_1)
	s_xor_b32 s26, exec_lo, s10
	s_cbranch_execz .LBB4_2036
; %bb.2019:                             ;   in Loop: Header=BB4_1998 Depth=2
	v_and_b32_e32 v108, 0x7fffffff, v19
	v_dual_mov_b32 v109, v65 :: v_dual_lshrrev_b32 v17, 24, v19
	s_delay_alu instid0(VALU_DEP_1) | instskip(NEXT) | instid1(VALU_DEP_2)
	v_cmp_gt_u64_e32 vcc_lo, 0x47600001, v[108:109]
	v_and_b32_e32 v17, 0x80, v17
                                        ; implicit-def: $vgpr109
	s_and_saveexec_b32 s10, vcc_lo
	s_delay_alu instid0(SALU_CYCLE_1)
	s_xor_b32 s27, exec_lo, s10
	s_cbranch_execz .LBB4_2033
; %bb.2020:                             ;   in Loop: Header=BB4_1998 Depth=2
	v_mov_b32_e32 v109, 0
	s_mov_b32 s28, exec_lo
	v_cmpx_ne_u32_e32 0, v19
	s_cbranch_execz .LBB4_2032
; %bb.2021:                             ;   in Loop: Header=BB4_1998 Depth=2
	v_bfe_u32 v19, v19, 23, 8
	v_or_b32_e32 v25, 0x800000, v64
	s_delay_alu instid0(VALU_DEP_2) | instskip(SKIP_1) | instid1(VALU_DEP_2)
	v_sub_nc_u32_e32 v21, 0x71, v19
	v_cmp_gt_u32_e32 vcc_lo, 0x72, v19
	v_cndmask_b32_e32 v21, 0, v21, vcc_lo
	v_cmp_eq_u32_e32 vcc_lo, 0, v19
	s_delay_alu instid0(VALU_DEP_2) | instskip(NEXT) | instid1(VALU_DEP_1)
	v_cndmask_b32_e64 v21, v21, 0x70, vcc_lo
	v_dual_cndmask_b32 v64, v25, v64 :: v_dual_add_nc_u32 v23, 21, v21
	s_delay_alu instid0(VALU_DEP_1) | instskip(SKIP_1) | instid1(VALU_DEP_1)
	v_lshlrev_b64_e64 v[108:109], v23, -1
	v_add_nc_u32_e32 v23, 20, v21
	v_lshlrev_b64_e64 v[110:111], v23, 1
	s_delay_alu instid0(VALU_DEP_3) | instskip(NEXT) | instid1(VALU_DEP_4)
	v_bfi_b32 v83, v109, 0, 0
	v_bfi_b32 v82, v108, 0, v64
	v_lshrrev_b64 v[108:109], v21, v[64:65]
	s_delay_alu instid0(VALU_DEP_2) | instskip(NEXT) | instid1(VALU_DEP_2)
	v_cmp_eq_u64_e64 s10, v[82:83], v[110:111]
	v_mov_b64_e32 v[110:111], v[108:109]
	s_and_saveexec_b32 s29, s10
; %bb.2022:                             ;   in Loop: Header=BB4_1998 Depth=2
	v_bfe_u32 v64, v108, 21, 1
	s_delay_alu instid0(VALU_DEP_1) | instskip(NEXT) | instid1(VALU_DEP_1)
	v_add_nc_u64_e32 v[82:83], v[108:109], v[64:65]
	v_add_nc_u64_e32 v[110:111], -1, v[82:83]
; %bb.2023:                             ;   in Loop: Header=BB4_1998 Depth=2
	s_or_b32 exec_lo, exec_lo, s29
	v_add_nc_u32_e32 v19, 0xffffff81, v19
	v_lshrrev_b32_e32 v23, 23, v108
	s_mov_b32 s10, exec_lo
	s_delay_alu instid0(VALU_DEP_2) | instskip(NEXT) | instid1(VALU_DEP_1)
	v_cndmask_b32_e64 v19, v19, 0xffffff82, vcc_lo
	v_add3_u32 v21, v21, v19, v23
	v_and_b32_e32 v19, 0x1fffff, v110
	s_delay_alu instid0(VALU_DEP_1) | instskip(NEXT) | instid1(VALU_DEP_1)
	v_dual_add_nc_u32 v23, 14, v21 :: v_dual_add_nc_u32 v64, v19, v108
                                        ; implicit-def: $vgpr108_vgpr109
                                        ; implicit-def: $vgpr19
	v_cmpx_ne_u32_e32 0, v23
	s_xor_b32 s10, exec_lo, s10
; %bb.2024:                             ;   in Loop: Header=BB4_1998 Depth=2
	s_delay_alu instid0(VALU_DEP_2) | instskip(SKIP_2) | instid1(VALU_DEP_2)
	v_cmp_lt_u64_e32 vcc_lo, 0xffffff, v[64:65]
	v_add_nc_u32_e32 v19, 15, v21
	v_cndmask_b32_e64 v21, 0, 1, vcc_lo
	v_cndmask_b32_e32 v19, v23, v19, vcc_lo
	s_delay_alu instid0(VALU_DEP_2)
	v_lshrrev_b64 v[108:109], v21, v[64:65]
; %bb.2025:                             ;   in Loop: Header=BB4_1998 Depth=2
	s_and_not1_saveexec_b32 s10, s10
; %bb.2026:                             ;   in Loop: Header=BB4_1998 Depth=2
	v_mov_b64_e32 v[108:109], v[64:65]
	v_bfe_u32 v19, v64, 23, 1
; %bb.2027:                             ;   in Loop: Header=BB4_1998 Depth=2
	s_or_b32 exec_lo, exec_lo, s10
	s_delay_alu instid0(VALU_DEP_2) | instskip(NEXT) | instid1(VALU_DEP_2)
	v_lshrrev_b64 v[82:83], 21, v[108:109]
	v_cmp_gt_i32_e32 vcc_lo, 32, v19
	v_cmp_ne_u32_e64 s10, 0, v19
	s_delay_alu instid0(VALU_DEP_3) | instskip(NEXT) | instid1(VALU_DEP_1)
	v_dual_cndmask_b32 v109, 0, v83 :: v_dual_cndmask_b32 v108, 3, v82
	v_cmp_ne_u64_e32 vcc_lo, 0, v[108:109]
                                        ; implicit-def: $vgpr109
	s_or_b32 s10, s10, vcc_lo
	s_delay_alu instid0(SALU_CYCLE_1) | instskip(NEXT) | instid1(SALU_CYCLE_1)
	s_and_saveexec_b32 s29, s10
	s_xor_b32 s10, exec_lo, s29
; %bb.2028:                             ;   in Loop: Header=BB4_1998 Depth=2
	v_min_i32_e32 v19, 31, v19
	s_delay_alu instid0(VALU_DEP_1) | instskip(NEXT) | instid1(VALU_DEP_1)
	v_lshl_or_b32 v17, v19, 2, v17
	v_and_or_b32 v109, v108, 3, v17
                                        ; implicit-def: $vgpr17
; %bb.2029:                             ;   in Loop: Header=BB4_1998 Depth=2
	s_and_not1_saveexec_b32 s10, s10
; %bb.2030:                             ;   in Loop: Header=BB4_1998 Depth=2
	v_mov_b32_e32 v109, v17
; %bb.2031:                             ;   in Loop: Header=BB4_1998 Depth=2
	s_or_b32 exec_lo, exec_lo, s10
.LBB4_2032:                             ;   in Loop: Header=BB4_1998 Depth=2
	s_delay_alu instid0(SALU_CYCLE_1)
	s_or_b32 exec_lo, exec_lo, s28
                                        ; implicit-def: $vgpr17
.LBB4_2033:                             ;   in Loop: Header=BB4_1998 Depth=2
	s_and_not1_saveexec_b32 s10, s27
; %bb.2034:                             ;   in Loop: Header=BB4_1998 Depth=2
	v_or_b32_e32 v109, 0x7b, v17
; %bb.2035:                             ;   in Loop: Header=BB4_1998 Depth=2
	s_or_b32 exec_lo, exec_lo, s10
                                        ; implicit-def: $vgpr19
.LBB4_2036:                             ;   in Loop: Header=BB4_1998 Depth=2
	s_and_not1_saveexec_b32 s10, s26
	s_cbranch_execz .LBB4_2042
; %bb.2037:                             ;   in Loop: Header=BB4_1998 Depth=2
	s_mov_b32 s26, exec_lo
                                        ; implicit-def: $vgpr109
	v_cmpx_ne_u64_e32 0, v[64:65]
	s_xor_b32 s26, exec_lo, s26
; %bb.2038:                             ;   in Loop: Header=BB4_1998 Depth=2
	v_lshrrev_b32_e32 v17, 24, v19
                                        ; implicit-def: $vgpr19
	s_delay_alu instid0(VALU_DEP_1)
	v_or_b32_e32 v109, 0x7f, v17
; %bb.2039:                             ;   in Loop: Header=BB4_1998 Depth=2
	s_and_not1_saveexec_b32 s26, s26
; %bb.2040:                             ;   in Loop: Header=BB4_1998 Depth=2
	v_cmp_lt_i32_e32 vcc_lo, -1, v19
	v_cndmask_b32_e64 v109, -4, 0x7c, vcc_lo
; %bb.2041:                             ;   in Loop: Header=BB4_1998 Depth=2
	s_or_b32 exec_lo, exec_lo, s26
.LBB4_2042:                             ;   in Loop: Header=BB4_1998 Depth=2
	s_delay_alu instid0(SALU_CYCLE_1)
	s_or_b32 exec_lo, exec_lo, s10
	v_dual_mov_b32 v17, 0 :: v_dual_mov_b32 v19, 0
	s_mov_b32 s10, exec_lo
	v_cmpx_ne_u16_e32 0, v106
	s_cbranch_execz .LBB4_2052
; %bb.2043:                             ;   in Loop: Header=BB4_1998 Depth=2
	v_bfrev_b32_e32 v19, 1
	s_mov_b32 s26, exec_lo
	v_cmpx_ne_u16_e32 0xff80, v106
	s_cbranch_execz .LBB4_2051
; %bb.2044:                             ;   in Loop: Header=BB4_1998 Depth=2
	v_and_b32_e32 v19, 0x7c, v106
	v_and_b32_e32 v21, 3, v106
	s_delay_alu instid0(VALU_DEP_2) | instskip(SKIP_1) | instid1(SALU_CYCLE_1)
	v_cmp_ne_u32_e32 vcc_lo, 0x7c, v19
                                        ; implicit-def: $vgpr19
	s_and_saveexec_b32 s27, vcc_lo
	s_xor_b32 s27, exec_lo, s27
	s_cbranch_execz .LBB4_2048
; %bb.2045:                             ;   in Loop: Header=BB4_1998 Depth=2
	v_and_b32_e32 v19, 0xff, v106
	s_mov_b32 s28, exec_lo
	s_delay_alu instid0(VALU_DEP_1) | instskip(NEXT) | instid1(VALU_DEP_1)
	v_bfe_u32 v19, v19, 2, 5
	v_cmpx_eq_u32_e32 0, v19
	s_cbranch_execz .LBB4_2047
; %bb.2046:                             ;   in Loop: Header=BB4_1998 Depth=2
	v_clz_i32_u32_e32 v19, v21
	s_delay_alu instid0(VALU_DEP_1) | instskip(SKIP_1) | instid1(VALU_DEP_2)
	v_min_u32_e32 v19, 32, v19
	v_mov_b32_e32 v107, v65
	v_subrev_nc_u32_e32 v21, 29, v19
	v_sub_nc_u32_e32 v19, 30, v19
	s_delay_alu instid0(VALU_DEP_2) | instskip(NEXT) | instid1(VALU_DEP_1)
	v_lshlrev_b64_e32 v[82:83], v21, v[106:107]
	v_and_b32_e32 v21, 3, v82
.LBB4_2047:                             ;   in Loop: Header=BB4_1998 Depth=2
	s_or_b32 exec_lo, exec_lo, s28
	v_bfe_i32 v23, v106, 0, 16
                                        ; implicit-def: $vgpr106
	s_delay_alu instid0(VALU_DEP_1) | instskip(NEXT) | instid1(VALU_DEP_1)
	v_and_b32_e32 v23, 0x80000000, v23
	v_lshl_add_u32 v19, v19, 23, v23
	s_delay_alu instid0(VALU_DEP_1) | instskip(NEXT) | instid1(VALU_DEP_1)
	v_lshl_or_b32 v19, v21, 21, v19
                                        ; implicit-def: $vgpr21
	v_add_nc_u32_e32 v19, 0x38000000, v19
.LBB4_2048:                             ;   in Loop: Header=BB4_1998 Depth=2
	s_and_not1_saveexec_b32 s27, s27
; %bb.2049:                             ;   in Loop: Header=BB4_1998 Depth=2
	v_cmp_lt_i16_e32 vcc_lo, -1, v106
	v_cndmask_b32_e32 v19, 0xff800000, v126, vcc_lo
	v_cmp_eq_u32_e32 vcc_lo, 0, v21
	s_delay_alu instid0(VALU_DEP_2)
	v_cndmask_b32_e32 v19, 0x7f800001, v19, vcc_lo
; %bb.2050:                             ;   in Loop: Header=BB4_1998 Depth=2
	s_or_b32 exec_lo, exec_lo, s27
.LBB4_2051:                             ;   in Loop: Header=BB4_1998 Depth=2
	s_delay_alu instid0(SALU_CYCLE_1)
	s_or_b32 exec_lo, exec_lo, s26
.LBB4_2052:                             ;   in Loop: Header=BB4_1998 Depth=2
	s_delay_alu instid0(SALU_CYCLE_1) | instskip(NEXT) | instid1(SALU_CYCLE_1)
	s_or_b32 exec_lo, exec_lo, s10
	s_mov_b32 s10, exec_lo
	s_wait_loadcnt_dscnt 0xe0e
	v_cmpx_ne_u16_e32 0, v104
	s_cbranch_execz .LBB4_2062
; %bb.2053:                             ;   in Loop: Header=BB4_1998 Depth=2
	v_bfrev_b32_e32 v17, 1
	s_mov_b32 s26, exec_lo
	v_cmpx_ne_u16_e32 0xff80, v104
	s_cbranch_execz .LBB4_2061
; %bb.2054:                             ;   in Loop: Header=BB4_1998 Depth=2
	v_and_b32_e32 v17, 0x7c, v104
	v_and_b32_e32 v21, 3, v104
	s_delay_alu instid0(VALU_DEP_2) | instskip(SKIP_1) | instid1(SALU_CYCLE_1)
	v_cmp_ne_u32_e32 vcc_lo, 0x7c, v17
                                        ; implicit-def: $vgpr17
	s_and_saveexec_b32 s27, vcc_lo
	s_xor_b32 s27, exec_lo, s27
	s_cbranch_execz .LBB4_2058
; %bb.2055:                             ;   in Loop: Header=BB4_1998 Depth=2
	v_and_b32_e32 v17, 0xff, v104
	s_mov_b32 s28, exec_lo
	s_delay_alu instid0(VALU_DEP_1) | instskip(NEXT) | instid1(VALU_DEP_1)
	v_bfe_u32 v17, v17, 2, 5
	v_cmpx_eq_u32_e32 0, v17
	s_cbranch_execz .LBB4_2057
; %bb.2056:                             ;   in Loop: Header=BB4_1998 Depth=2
	v_clz_i32_u32_e32 v17, v21
	s_delay_alu instid0(VALU_DEP_1) | instskip(SKIP_1) | instid1(VALU_DEP_2)
	v_min_u32_e32 v17, 32, v17
	v_mov_b32_e32 v105, v65
	v_subrev_nc_u32_e32 v21, 29, v17
	v_sub_nc_u32_e32 v17, 30, v17
	s_delay_alu instid0(VALU_DEP_2) | instskip(NEXT) | instid1(VALU_DEP_1)
	v_lshlrev_b64_e32 v[82:83], v21, v[104:105]
	v_and_b32_e32 v21, 3, v82
.LBB4_2057:                             ;   in Loop: Header=BB4_1998 Depth=2
	s_or_b32 exec_lo, exec_lo, s28
	v_bfe_i32 v23, v104, 0, 16
                                        ; implicit-def: $vgpr104
	s_delay_alu instid0(VALU_DEP_1) | instskip(NEXT) | instid1(VALU_DEP_1)
	v_and_b32_e32 v23, 0x80000000, v23
	v_lshl_add_u32 v17, v17, 23, v23
	s_delay_alu instid0(VALU_DEP_1) | instskip(NEXT) | instid1(VALU_DEP_1)
	v_lshl_or_b32 v17, v21, 21, v17
                                        ; implicit-def: $vgpr21
	v_add_nc_u32_e32 v17, 0x38000000, v17
.LBB4_2058:                             ;   in Loop: Header=BB4_1998 Depth=2
	s_and_not1_saveexec_b32 s27, s27
; %bb.2059:                             ;   in Loop: Header=BB4_1998 Depth=2
	v_cmp_lt_i16_e32 vcc_lo, -1, v104
	v_cndmask_b32_e32 v17, 0xff800000, v126, vcc_lo
	v_cmp_eq_u32_e32 vcc_lo, 0, v21
	s_delay_alu instid0(VALU_DEP_2)
	v_cndmask_b32_e32 v17, 0x7f800001, v17, vcc_lo
; %bb.2060:                             ;   in Loop: Header=BB4_1998 Depth=2
	s_or_b32 exec_lo, exec_lo, s27
.LBB4_2061:                             ;   in Loop: Header=BB4_1998 Depth=2
	s_delay_alu instid0(SALU_CYCLE_1)
	s_or_b32 exec_lo, exec_lo, s26
.LBB4_2062:                             ;   in Loop: Header=BB4_1998 Depth=2
	s_delay_alu instid0(SALU_CYCLE_1) | instskip(NEXT) | instid1(VALU_DEP_1)
	s_or_b32 exec_lo, exec_lo, s10
	v_dual_mul_f32 v19, v19, v17 :: v_dual_mov_b32 v83, v65
                                        ; implicit-def: $vgpr105
	s_mov_b32 s10, exec_lo
	s_delay_alu instid0(VALU_DEP_1) | instskip(SKIP_1) | instid1(VALU_DEP_2)
	v_and_b32_e32 v82, 0x7f800000, v19
	v_and_b32_e32 v64, 0x7fffff, v19
	v_cmpx_ne_u64_e32 0x7f800000, v[82:83]
	s_xor_b32 s26, exec_lo, s10
	s_cbranch_execz .LBB4_2080
; %bb.2063:                             ;   in Loop: Header=BB4_1998 Depth=2
	v_dual_mov_b32 v83, v65 :: v_dual_lshrrev_b32 v17, 24, v19
	v_and_b32_e32 v82, 0x7fffffff, v19
                                        ; implicit-def: $vgpr105
	s_mov_b32 s10, exec_lo
	s_delay_alu instid0(VALU_DEP_2) | instskip(NEXT) | instid1(VALU_DEP_2)
	v_and_b32_e32 v17, 0x80, v17
	v_cmpx_gt_u64_e32 0x47600001, v[82:83]
	s_xor_b32 s27, exec_lo, s10
	s_cbranch_execz .LBB4_2077
; %bb.2064:                             ;   in Loop: Header=BB4_1998 Depth=2
	v_mov_b32_e32 v105, 0
	s_mov_b32 s28, exec_lo
	v_cmpx_ne_u32_e32 0, v19
	s_cbranch_execz .LBB4_2076
; %bb.2065:                             ;   in Loop: Header=BB4_1998 Depth=2
	v_bfe_u32 v19, v19, 23, 8
	v_or_b32_e32 v25, 0x800000, v64
	s_delay_alu instid0(VALU_DEP_2) | instskip(SKIP_1) | instid1(VALU_DEP_2)
	v_sub_nc_u32_e32 v21, 0x71, v19
	v_cmp_gt_u32_e32 vcc_lo, 0x72, v19
	v_cndmask_b32_e32 v21, 0, v21, vcc_lo
	v_cmp_eq_u32_e32 vcc_lo, 0, v19
	s_delay_alu instid0(VALU_DEP_2) | instskip(NEXT) | instid1(VALU_DEP_1)
	v_cndmask_b32_e64 v21, v21, 0x70, vcc_lo
	v_dual_cndmask_b32 v64, v25, v64 :: v_dual_add_nc_u32 v23, 21, v21
	s_delay_alu instid0(VALU_DEP_1) | instskip(NEXT) | instid1(VALU_DEP_2)
	v_lshrrev_b64 v[104:105], v21, v[64:65]
	v_lshlrev_b64_e64 v[82:83], v23, -1
	v_add_nc_u32_e32 v23, 20, v21
	s_delay_alu instid0(VALU_DEP_1) | instskip(NEXT) | instid1(VALU_DEP_3)
	v_lshlrev_b64_e64 v[106:107], v23, 1
	v_bfi_b32 v83, v83, 0, 0
	s_delay_alu instid0(VALU_DEP_4) | instskip(NEXT) | instid1(VALU_DEP_1)
	v_bfi_b32 v82, v82, 0, v64
	v_cmp_eq_u64_e64 s10, v[82:83], v[106:107]
	v_mov_b64_e32 v[106:107], v[104:105]
	s_and_saveexec_b32 s29, s10
; %bb.2066:                             ;   in Loop: Header=BB4_1998 Depth=2
	v_bfe_u32 v64, v104, 21, 1
	s_delay_alu instid0(VALU_DEP_1) | instskip(NEXT) | instid1(VALU_DEP_1)
	v_add_nc_u64_e32 v[82:83], v[104:105], v[64:65]
	v_add_nc_u64_e32 v[106:107], -1, v[82:83]
; %bb.2067:                             ;   in Loop: Header=BB4_1998 Depth=2
	s_or_b32 exec_lo, exec_lo, s29
	v_add_nc_u32_e32 v19, 0xffffff81, v19
	v_lshrrev_b32_e32 v23, 23, v104
	s_mov_b32 s10, exec_lo
	s_delay_alu instid0(VALU_DEP_2) | instskip(NEXT) | instid1(VALU_DEP_1)
	v_cndmask_b32_e64 v19, v19, 0xffffff82, vcc_lo
	v_add3_u32 v21, v21, v19, v23
	v_and_b32_e32 v19, 0x1fffff, v106
	s_delay_alu instid0(VALU_DEP_1) | instskip(NEXT) | instid1(VALU_DEP_1)
	v_dual_add_nc_u32 v23, 14, v21 :: v_dual_add_nc_u32 v64, v19, v104
                                        ; implicit-def: $vgpr104_vgpr105
                                        ; implicit-def: $vgpr19
	v_cmpx_ne_u32_e32 0, v23
	s_xor_b32 s10, exec_lo, s10
; %bb.2068:                             ;   in Loop: Header=BB4_1998 Depth=2
	s_delay_alu instid0(VALU_DEP_2) | instskip(SKIP_2) | instid1(VALU_DEP_2)
	v_cmp_lt_u64_e32 vcc_lo, 0xffffff, v[64:65]
	v_add_nc_u32_e32 v19, 15, v21
	v_cndmask_b32_e64 v21, 0, 1, vcc_lo
	v_cndmask_b32_e32 v19, v23, v19, vcc_lo
	s_delay_alu instid0(VALU_DEP_2)
	v_lshrrev_b64 v[104:105], v21, v[64:65]
; %bb.2069:                             ;   in Loop: Header=BB4_1998 Depth=2
	s_and_not1_saveexec_b32 s10, s10
; %bb.2070:                             ;   in Loop: Header=BB4_1998 Depth=2
	v_mov_b64_e32 v[104:105], v[64:65]
	v_bfe_u32 v19, v64, 23, 1
; %bb.2071:                             ;   in Loop: Header=BB4_1998 Depth=2
	s_or_b32 exec_lo, exec_lo, s10
	s_delay_alu instid0(VALU_DEP_2) | instskip(NEXT) | instid1(VALU_DEP_2)
	v_lshrrev_b64 v[82:83], 21, v[104:105]
	v_cmp_gt_i32_e32 vcc_lo, 32, v19
	v_cmp_ne_u32_e64 s10, 0, v19
	s_delay_alu instid0(VALU_DEP_3) | instskip(NEXT) | instid1(VALU_DEP_1)
	v_dual_cndmask_b32 v105, 0, v83 :: v_dual_cndmask_b32 v104, 3, v82
	v_cmp_ne_u64_e32 vcc_lo, 0, v[104:105]
                                        ; implicit-def: $vgpr105
	s_or_b32 s10, s10, vcc_lo
	s_delay_alu instid0(SALU_CYCLE_1) | instskip(NEXT) | instid1(SALU_CYCLE_1)
	s_and_saveexec_b32 s29, s10
	s_xor_b32 s10, exec_lo, s29
; %bb.2072:                             ;   in Loop: Header=BB4_1998 Depth=2
	v_min_i32_e32 v19, 31, v19
	s_delay_alu instid0(VALU_DEP_1) | instskip(NEXT) | instid1(VALU_DEP_1)
	v_lshl_or_b32 v17, v19, 2, v17
	v_and_or_b32 v105, v104, 3, v17
                                        ; implicit-def: $vgpr17
; %bb.2073:                             ;   in Loop: Header=BB4_1998 Depth=2
	s_and_not1_saveexec_b32 s10, s10
; %bb.2074:                             ;   in Loop: Header=BB4_1998 Depth=2
	v_mov_b32_e32 v105, v17
; %bb.2075:                             ;   in Loop: Header=BB4_1998 Depth=2
	s_or_b32 exec_lo, exec_lo, s10
.LBB4_2076:                             ;   in Loop: Header=BB4_1998 Depth=2
	s_delay_alu instid0(SALU_CYCLE_1)
	s_or_b32 exec_lo, exec_lo, s28
                                        ; implicit-def: $vgpr17
.LBB4_2077:                             ;   in Loop: Header=BB4_1998 Depth=2
	s_and_not1_saveexec_b32 s10, s27
; %bb.2078:                             ;   in Loop: Header=BB4_1998 Depth=2
	v_or_b32_e32 v105, 0x7b, v17
; %bb.2079:                             ;   in Loop: Header=BB4_1998 Depth=2
	s_or_b32 exec_lo, exec_lo, s10
                                        ; implicit-def: $vgpr19
.LBB4_2080:                             ;   in Loop: Header=BB4_1998 Depth=2
	s_and_not1_saveexec_b32 s10, s26
	s_cbranch_execz .LBB4_2086
; %bb.2081:                             ;   in Loop: Header=BB4_1998 Depth=2
	s_mov_b32 s26, exec_lo
                                        ; implicit-def: $vgpr105
	v_cmpx_ne_u64_e32 0, v[64:65]
	s_xor_b32 s26, exec_lo, s26
; %bb.2082:                             ;   in Loop: Header=BB4_1998 Depth=2
	v_lshrrev_b32_e32 v17, 24, v19
                                        ; implicit-def: $vgpr19
	s_delay_alu instid0(VALU_DEP_1)
	v_or_b32_e32 v105, 0x7f, v17
; %bb.2083:                             ;   in Loop: Header=BB4_1998 Depth=2
	s_and_not1_saveexec_b32 s26, s26
; %bb.2084:                             ;   in Loop: Header=BB4_1998 Depth=2
	v_cmp_lt_i32_e32 vcc_lo, -1, v19
	v_cndmask_b32_e64 v105, -4, 0x7c, vcc_lo
; %bb.2085:                             ;   in Loop: Header=BB4_1998 Depth=2
	s_or_b32 exec_lo, exec_lo, s26
.LBB4_2086:                             ;   in Loop: Header=BB4_1998 Depth=2
	s_delay_alu instid0(SALU_CYCLE_1)
	s_or_b32 exec_lo, exec_lo, s10
	v_dual_mov_b32 v17, 0 :: v_dual_mov_b32 v19, 0
	s_mov_b32 s10, exec_lo
	v_cmpx_ne_u16_e32 0, v94
	s_cbranch_execz .LBB4_2096
; %bb.2087:                             ;   in Loop: Header=BB4_1998 Depth=2
	v_bfrev_b32_e32 v19, 1
	s_mov_b32 s26, exec_lo
	v_cmpx_ne_u16_e32 0xff80, v94
	s_cbranch_execz .LBB4_2095
; %bb.2088:                             ;   in Loop: Header=BB4_1998 Depth=2
	v_and_b32_e32 v19, 0x7c, v94
	v_and_b32_e32 v21, 3, v94
	s_delay_alu instid0(VALU_DEP_2) | instskip(SKIP_1) | instid1(SALU_CYCLE_1)
	v_cmp_ne_u32_e32 vcc_lo, 0x7c, v19
                                        ; implicit-def: $vgpr19
	s_and_saveexec_b32 s27, vcc_lo
	s_xor_b32 s27, exec_lo, s27
	s_cbranch_execz .LBB4_2092
; %bb.2089:                             ;   in Loop: Header=BB4_1998 Depth=2
	v_and_b32_e32 v19, 0xff, v94
	s_mov_b32 s28, exec_lo
	s_delay_alu instid0(VALU_DEP_1) | instskip(NEXT) | instid1(VALU_DEP_1)
	v_bfe_u32 v19, v19, 2, 5
	v_cmpx_eq_u32_e32 0, v19
	s_cbranch_execz .LBB4_2091
; %bb.2090:                             ;   in Loop: Header=BB4_1998 Depth=2
	v_clz_i32_u32_e32 v19, v21
	s_delay_alu instid0(VALU_DEP_1) | instskip(SKIP_1) | instid1(VALU_DEP_2)
	v_min_u32_e32 v19, 32, v19
	v_mov_b32_e32 v95, v65
	v_subrev_nc_u32_e32 v21, 29, v19
	v_sub_nc_u32_e32 v19, 30, v19
	s_delay_alu instid0(VALU_DEP_2) | instskip(NEXT) | instid1(VALU_DEP_1)
	v_lshlrev_b64_e32 v[82:83], v21, v[94:95]
	v_and_b32_e32 v21, 3, v82
.LBB4_2091:                             ;   in Loop: Header=BB4_1998 Depth=2
	s_or_b32 exec_lo, exec_lo, s28
	v_bfe_i32 v23, v94, 0, 16
                                        ; implicit-def: $vgpr94
	s_delay_alu instid0(VALU_DEP_1) | instskip(NEXT) | instid1(VALU_DEP_1)
	v_and_b32_e32 v23, 0x80000000, v23
	v_lshl_add_u32 v19, v19, 23, v23
	s_delay_alu instid0(VALU_DEP_1) | instskip(NEXT) | instid1(VALU_DEP_1)
	v_lshl_or_b32 v19, v21, 21, v19
                                        ; implicit-def: $vgpr21
	v_add_nc_u32_e32 v19, 0x38000000, v19
.LBB4_2092:                             ;   in Loop: Header=BB4_1998 Depth=2
	s_and_not1_saveexec_b32 s27, s27
; %bb.2093:                             ;   in Loop: Header=BB4_1998 Depth=2
	v_cmp_lt_i16_e32 vcc_lo, -1, v94
	v_cndmask_b32_e32 v19, 0xff800000, v126, vcc_lo
	v_cmp_eq_u32_e32 vcc_lo, 0, v21
	s_delay_alu instid0(VALU_DEP_2)
	v_cndmask_b32_e32 v19, 0x7f800001, v19, vcc_lo
; %bb.2094:                             ;   in Loop: Header=BB4_1998 Depth=2
	s_or_b32 exec_lo, exec_lo, s27
.LBB4_2095:                             ;   in Loop: Header=BB4_1998 Depth=2
	s_delay_alu instid0(SALU_CYCLE_1)
	s_or_b32 exec_lo, exec_lo, s26
.LBB4_2096:                             ;   in Loop: Header=BB4_1998 Depth=2
	s_delay_alu instid0(SALU_CYCLE_1) | instskip(NEXT) | instid1(SALU_CYCLE_1)
	s_or_b32 exec_lo, exec_lo, s10
	s_mov_b32 s10, exec_lo
	s_wait_loadcnt_dscnt 0xd0d
	v_cmpx_ne_u16_e32 0, v92
	s_cbranch_execz .LBB4_2106
; %bb.2097:                             ;   in Loop: Header=BB4_1998 Depth=2
	v_bfrev_b32_e32 v17, 1
	s_mov_b32 s26, exec_lo
	v_cmpx_ne_u16_e32 0xff80, v92
	s_cbranch_execz .LBB4_2105
; %bb.2098:                             ;   in Loop: Header=BB4_1998 Depth=2
	v_and_b32_e32 v17, 0x7c, v92
	v_and_b32_e32 v21, 3, v92
	s_delay_alu instid0(VALU_DEP_2) | instskip(SKIP_1) | instid1(SALU_CYCLE_1)
	v_cmp_ne_u32_e32 vcc_lo, 0x7c, v17
                                        ; implicit-def: $vgpr17
	s_and_saveexec_b32 s27, vcc_lo
	s_xor_b32 s27, exec_lo, s27
	s_cbranch_execz .LBB4_2102
; %bb.2099:                             ;   in Loop: Header=BB4_1998 Depth=2
	v_and_b32_e32 v17, 0xff, v92
	s_mov_b32 s28, exec_lo
	s_delay_alu instid0(VALU_DEP_1) | instskip(NEXT) | instid1(VALU_DEP_1)
	v_bfe_u32 v17, v17, 2, 5
	v_cmpx_eq_u32_e32 0, v17
	s_cbranch_execz .LBB4_2101
; %bb.2100:                             ;   in Loop: Header=BB4_1998 Depth=2
	v_clz_i32_u32_e32 v17, v21
	s_delay_alu instid0(VALU_DEP_1) | instskip(SKIP_1) | instid1(VALU_DEP_2)
	v_min_u32_e32 v17, 32, v17
	v_mov_b32_e32 v93, v65
	v_subrev_nc_u32_e32 v21, 29, v17
	v_sub_nc_u32_e32 v17, 30, v17
	s_delay_alu instid0(VALU_DEP_2) | instskip(NEXT) | instid1(VALU_DEP_1)
	v_lshlrev_b64_e32 v[82:83], v21, v[92:93]
	v_and_b32_e32 v21, 3, v82
.LBB4_2101:                             ;   in Loop: Header=BB4_1998 Depth=2
	s_or_b32 exec_lo, exec_lo, s28
	v_bfe_i32 v23, v92, 0, 16
                                        ; implicit-def: $vgpr92
	s_delay_alu instid0(VALU_DEP_1) | instskip(NEXT) | instid1(VALU_DEP_1)
	v_and_b32_e32 v23, 0x80000000, v23
	v_lshl_add_u32 v17, v17, 23, v23
	s_delay_alu instid0(VALU_DEP_1) | instskip(NEXT) | instid1(VALU_DEP_1)
	v_lshl_or_b32 v17, v21, 21, v17
                                        ; implicit-def: $vgpr21
	v_add_nc_u32_e32 v17, 0x38000000, v17
.LBB4_2102:                             ;   in Loop: Header=BB4_1998 Depth=2
	s_and_not1_saveexec_b32 s27, s27
; %bb.2103:                             ;   in Loop: Header=BB4_1998 Depth=2
	v_cmp_lt_i16_e32 vcc_lo, -1, v92
	v_cndmask_b32_e32 v17, 0xff800000, v126, vcc_lo
	v_cmp_eq_u32_e32 vcc_lo, 0, v21
	s_delay_alu instid0(VALU_DEP_2)
	v_cndmask_b32_e32 v17, 0x7f800001, v17, vcc_lo
; %bb.2104:                             ;   in Loop: Header=BB4_1998 Depth=2
	s_or_b32 exec_lo, exec_lo, s27
.LBB4_2105:                             ;   in Loop: Header=BB4_1998 Depth=2
	s_delay_alu instid0(SALU_CYCLE_1)
	s_or_b32 exec_lo, exec_lo, s26
.LBB4_2106:                             ;   in Loop: Header=BB4_1998 Depth=2
	s_delay_alu instid0(SALU_CYCLE_1) | instskip(NEXT) | instid1(VALU_DEP_1)
	s_or_b32 exec_lo, exec_lo, s10
	v_dual_mul_f32 v19, v19, v17 :: v_dual_mov_b32 v83, v65
                                        ; implicit-def: $vgpr93
	s_mov_b32 s10, exec_lo
	s_delay_alu instid0(VALU_DEP_1) | instskip(SKIP_1) | instid1(VALU_DEP_2)
	v_and_b32_e32 v82, 0x7f800000, v19
	v_and_b32_e32 v64, 0x7fffff, v19
	v_cmpx_ne_u64_e32 0x7f800000, v[82:83]
	s_xor_b32 s26, exec_lo, s10
	s_cbranch_execz .LBB4_2124
; %bb.2107:                             ;   in Loop: Header=BB4_1998 Depth=2
	v_dual_mov_b32 v83, v65 :: v_dual_lshrrev_b32 v17, 24, v19
	v_and_b32_e32 v82, 0x7fffffff, v19
                                        ; implicit-def: $vgpr93
	s_mov_b32 s10, exec_lo
	s_delay_alu instid0(VALU_DEP_2) | instskip(NEXT) | instid1(VALU_DEP_2)
	v_and_b32_e32 v17, 0x80, v17
	v_cmpx_gt_u64_e32 0x47600001, v[82:83]
	s_xor_b32 s27, exec_lo, s10
	s_cbranch_execz .LBB4_2121
; %bb.2108:                             ;   in Loop: Header=BB4_1998 Depth=2
	v_mov_b32_e32 v93, 0
	s_mov_b32 s28, exec_lo
	v_cmpx_ne_u32_e32 0, v19
	s_cbranch_execz .LBB4_2120
; %bb.2109:                             ;   in Loop: Header=BB4_1998 Depth=2
	v_bfe_u32 v19, v19, 23, 8
	v_or_b32_e32 v25, 0x800000, v64
	s_delay_alu instid0(VALU_DEP_2) | instskip(SKIP_1) | instid1(VALU_DEP_2)
	v_sub_nc_u32_e32 v21, 0x71, v19
	v_cmp_gt_u32_e32 vcc_lo, 0x72, v19
	v_cndmask_b32_e32 v21, 0, v21, vcc_lo
	v_cmp_eq_u32_e32 vcc_lo, 0, v19
	s_delay_alu instid0(VALU_DEP_2) | instskip(NEXT) | instid1(VALU_DEP_1)
	v_cndmask_b32_e64 v21, v21, 0x70, vcc_lo
	v_dual_cndmask_b32 v64, v25, v64 :: v_dual_add_nc_u32 v23, 21, v21
	s_delay_alu instid0(VALU_DEP_1) | instskip(NEXT) | instid1(VALU_DEP_2)
	v_lshrrev_b64 v[92:93], v21, v[64:65]
	v_lshlrev_b64_e64 v[82:83], v23, -1
	v_add_nc_u32_e32 v23, 20, v21
	s_delay_alu instid0(VALU_DEP_1) | instskip(NEXT) | instid1(VALU_DEP_3)
	v_lshlrev_b64_e64 v[94:95], v23, 1
	v_bfi_b32 v83, v83, 0, 0
	s_delay_alu instid0(VALU_DEP_4) | instskip(NEXT) | instid1(VALU_DEP_1)
	v_bfi_b32 v82, v82, 0, v64
	v_cmp_eq_u64_e64 s10, v[82:83], v[94:95]
	v_mov_b64_e32 v[94:95], v[92:93]
	s_and_saveexec_b32 s29, s10
; %bb.2110:                             ;   in Loop: Header=BB4_1998 Depth=2
	v_bfe_u32 v64, v92, 21, 1
	s_delay_alu instid0(VALU_DEP_1) | instskip(NEXT) | instid1(VALU_DEP_1)
	v_add_nc_u64_e32 v[82:83], v[92:93], v[64:65]
	v_add_nc_u64_e32 v[94:95], -1, v[82:83]
; %bb.2111:                             ;   in Loop: Header=BB4_1998 Depth=2
	s_or_b32 exec_lo, exec_lo, s29
	v_add_nc_u32_e32 v19, 0xffffff81, v19
	v_lshrrev_b32_e32 v23, 23, v92
	s_mov_b32 s10, exec_lo
	s_delay_alu instid0(VALU_DEP_2) | instskip(NEXT) | instid1(VALU_DEP_1)
	v_cndmask_b32_e64 v19, v19, 0xffffff82, vcc_lo
	v_add3_u32 v21, v21, v19, v23
	v_and_b32_e32 v19, 0x1fffff, v94
	s_delay_alu instid0(VALU_DEP_1) | instskip(NEXT) | instid1(VALU_DEP_1)
	v_dual_add_nc_u32 v23, 14, v21 :: v_dual_add_nc_u32 v64, v19, v92
                                        ; implicit-def: $vgpr92_vgpr93
                                        ; implicit-def: $vgpr19
	v_cmpx_ne_u32_e32 0, v23
	s_xor_b32 s10, exec_lo, s10
; %bb.2112:                             ;   in Loop: Header=BB4_1998 Depth=2
	s_delay_alu instid0(VALU_DEP_2) | instskip(SKIP_2) | instid1(VALU_DEP_2)
	v_cmp_lt_u64_e32 vcc_lo, 0xffffff, v[64:65]
	v_add_nc_u32_e32 v19, 15, v21
	v_cndmask_b32_e64 v21, 0, 1, vcc_lo
	v_cndmask_b32_e32 v19, v23, v19, vcc_lo
	s_delay_alu instid0(VALU_DEP_2)
	v_lshrrev_b64 v[92:93], v21, v[64:65]
; %bb.2113:                             ;   in Loop: Header=BB4_1998 Depth=2
	s_and_not1_saveexec_b32 s10, s10
; %bb.2114:                             ;   in Loop: Header=BB4_1998 Depth=2
	v_mov_b64_e32 v[92:93], v[64:65]
	v_bfe_u32 v19, v64, 23, 1
; %bb.2115:                             ;   in Loop: Header=BB4_1998 Depth=2
	s_or_b32 exec_lo, exec_lo, s10
	s_delay_alu instid0(VALU_DEP_2) | instskip(NEXT) | instid1(VALU_DEP_2)
	v_lshrrev_b64 v[82:83], 21, v[92:93]
	v_cmp_gt_i32_e32 vcc_lo, 32, v19
	v_cmp_ne_u32_e64 s10, 0, v19
	s_delay_alu instid0(VALU_DEP_3) | instskip(NEXT) | instid1(VALU_DEP_1)
	v_dual_cndmask_b32 v93, 0, v83 :: v_dual_cndmask_b32 v92, 3, v82
	v_cmp_ne_u64_e32 vcc_lo, 0, v[92:93]
                                        ; implicit-def: $vgpr93
	s_or_b32 s10, s10, vcc_lo
	s_delay_alu instid0(SALU_CYCLE_1) | instskip(NEXT) | instid1(SALU_CYCLE_1)
	s_and_saveexec_b32 s29, s10
	s_xor_b32 s10, exec_lo, s29
; %bb.2116:                             ;   in Loop: Header=BB4_1998 Depth=2
	v_min_i32_e32 v19, 31, v19
	s_delay_alu instid0(VALU_DEP_1) | instskip(NEXT) | instid1(VALU_DEP_1)
	v_lshl_or_b32 v17, v19, 2, v17
	v_and_or_b32 v93, v92, 3, v17
                                        ; implicit-def: $vgpr17
; %bb.2117:                             ;   in Loop: Header=BB4_1998 Depth=2
	s_and_not1_saveexec_b32 s10, s10
; %bb.2118:                             ;   in Loop: Header=BB4_1998 Depth=2
	v_mov_b32_e32 v93, v17
; %bb.2119:                             ;   in Loop: Header=BB4_1998 Depth=2
	s_or_b32 exec_lo, exec_lo, s10
.LBB4_2120:                             ;   in Loop: Header=BB4_1998 Depth=2
	s_delay_alu instid0(SALU_CYCLE_1)
	s_or_b32 exec_lo, exec_lo, s28
                                        ; implicit-def: $vgpr17
.LBB4_2121:                             ;   in Loop: Header=BB4_1998 Depth=2
	s_and_not1_saveexec_b32 s10, s27
; %bb.2122:                             ;   in Loop: Header=BB4_1998 Depth=2
	v_or_b32_e32 v93, 0x7b, v17
; %bb.2123:                             ;   in Loop: Header=BB4_1998 Depth=2
	s_or_b32 exec_lo, exec_lo, s10
                                        ; implicit-def: $vgpr19
.LBB4_2124:                             ;   in Loop: Header=BB4_1998 Depth=2
	s_and_not1_saveexec_b32 s10, s26
	s_cbranch_execz .LBB4_2130
; %bb.2125:                             ;   in Loop: Header=BB4_1998 Depth=2
	s_mov_b32 s26, exec_lo
                                        ; implicit-def: $vgpr93
	v_cmpx_ne_u64_e32 0, v[64:65]
	s_xor_b32 s26, exec_lo, s26
; %bb.2126:                             ;   in Loop: Header=BB4_1998 Depth=2
	v_lshrrev_b32_e32 v17, 24, v19
                                        ; implicit-def: $vgpr19
	s_delay_alu instid0(VALU_DEP_1)
	v_or_b32_e32 v93, 0x7f, v17
; %bb.2127:                             ;   in Loop: Header=BB4_1998 Depth=2
	s_and_not1_saveexec_b32 s26, s26
; %bb.2128:                             ;   in Loop: Header=BB4_1998 Depth=2
	v_cmp_lt_i32_e32 vcc_lo, -1, v19
	v_cndmask_b32_e64 v93, -4, 0x7c, vcc_lo
; %bb.2129:                             ;   in Loop: Header=BB4_1998 Depth=2
	s_or_b32 exec_lo, exec_lo, s26
.LBB4_2130:                             ;   in Loop: Header=BB4_1998 Depth=2
	s_delay_alu instid0(SALU_CYCLE_1)
	s_or_b32 exec_lo, exec_lo, s10
	v_dual_mov_b32 v17, 0 :: v_dual_mov_b32 v19, 0
	s_mov_b32 s10, exec_lo
	v_cmpx_ne_u16_e32 0, v90
	s_cbranch_execz .LBB4_2140
; %bb.2131:                             ;   in Loop: Header=BB4_1998 Depth=2
	v_bfrev_b32_e32 v19, 1
	s_mov_b32 s26, exec_lo
	v_cmpx_ne_u16_e32 0xff80, v90
	s_cbranch_execz .LBB4_2139
; %bb.2132:                             ;   in Loop: Header=BB4_1998 Depth=2
	v_and_b32_e32 v19, 0x7c, v90
	v_and_b32_e32 v21, 3, v90
	s_delay_alu instid0(VALU_DEP_2) | instskip(SKIP_1) | instid1(SALU_CYCLE_1)
	v_cmp_ne_u32_e32 vcc_lo, 0x7c, v19
                                        ; implicit-def: $vgpr19
	s_and_saveexec_b32 s27, vcc_lo
	s_xor_b32 s27, exec_lo, s27
	s_cbranch_execz .LBB4_2136
; %bb.2133:                             ;   in Loop: Header=BB4_1998 Depth=2
	v_and_b32_e32 v19, 0xff, v90
	s_mov_b32 s28, exec_lo
	s_delay_alu instid0(VALU_DEP_1) | instskip(NEXT) | instid1(VALU_DEP_1)
	v_bfe_u32 v19, v19, 2, 5
	v_cmpx_eq_u32_e32 0, v19
	s_cbranch_execz .LBB4_2135
; %bb.2134:                             ;   in Loop: Header=BB4_1998 Depth=2
	v_clz_i32_u32_e32 v19, v21
	s_delay_alu instid0(VALU_DEP_1) | instskip(SKIP_1) | instid1(VALU_DEP_2)
	v_min_u32_e32 v19, 32, v19
	v_mov_b32_e32 v91, v65
	v_subrev_nc_u32_e32 v21, 29, v19
	v_sub_nc_u32_e32 v19, 30, v19
	s_delay_alu instid0(VALU_DEP_2) | instskip(NEXT) | instid1(VALU_DEP_1)
	v_lshlrev_b64_e32 v[82:83], v21, v[90:91]
	v_and_b32_e32 v21, 3, v82
.LBB4_2135:                             ;   in Loop: Header=BB4_1998 Depth=2
	s_or_b32 exec_lo, exec_lo, s28
	v_bfe_i32 v23, v90, 0, 16
                                        ; implicit-def: $vgpr90
	s_delay_alu instid0(VALU_DEP_1) | instskip(NEXT) | instid1(VALU_DEP_1)
	v_and_b32_e32 v23, 0x80000000, v23
	v_lshl_add_u32 v19, v19, 23, v23
	s_delay_alu instid0(VALU_DEP_1) | instskip(NEXT) | instid1(VALU_DEP_1)
	v_lshl_or_b32 v19, v21, 21, v19
                                        ; implicit-def: $vgpr21
	v_add_nc_u32_e32 v19, 0x38000000, v19
.LBB4_2136:                             ;   in Loop: Header=BB4_1998 Depth=2
	s_and_not1_saveexec_b32 s27, s27
; %bb.2137:                             ;   in Loop: Header=BB4_1998 Depth=2
	v_cmp_lt_i16_e32 vcc_lo, -1, v90
	v_cndmask_b32_e32 v19, 0xff800000, v126, vcc_lo
	v_cmp_eq_u32_e32 vcc_lo, 0, v21
	s_delay_alu instid0(VALU_DEP_2)
	v_cndmask_b32_e32 v19, 0x7f800001, v19, vcc_lo
; %bb.2138:                             ;   in Loop: Header=BB4_1998 Depth=2
	s_or_b32 exec_lo, exec_lo, s27
.LBB4_2139:                             ;   in Loop: Header=BB4_1998 Depth=2
	s_delay_alu instid0(SALU_CYCLE_1)
	s_or_b32 exec_lo, exec_lo, s26
.LBB4_2140:                             ;   in Loop: Header=BB4_1998 Depth=2
	s_delay_alu instid0(SALU_CYCLE_1) | instskip(NEXT) | instid1(SALU_CYCLE_1)
	s_or_b32 exec_lo, exec_lo, s10
	s_mov_b32 s10, exec_lo
	s_wait_loadcnt_dscnt 0xc0c
	v_cmpx_ne_u16_e32 0, v88
	s_cbranch_execz .LBB4_2150
; %bb.2141:                             ;   in Loop: Header=BB4_1998 Depth=2
	v_bfrev_b32_e32 v17, 1
	s_mov_b32 s26, exec_lo
	v_cmpx_ne_u16_e32 0xff80, v88
	s_cbranch_execz .LBB4_2149
; %bb.2142:                             ;   in Loop: Header=BB4_1998 Depth=2
	v_and_b32_e32 v17, 0x7c, v88
	v_and_b32_e32 v21, 3, v88
	s_delay_alu instid0(VALU_DEP_2) | instskip(SKIP_1) | instid1(SALU_CYCLE_1)
	v_cmp_ne_u32_e32 vcc_lo, 0x7c, v17
                                        ; implicit-def: $vgpr17
	s_and_saveexec_b32 s27, vcc_lo
	s_xor_b32 s27, exec_lo, s27
	s_cbranch_execz .LBB4_2146
; %bb.2143:                             ;   in Loop: Header=BB4_1998 Depth=2
	v_and_b32_e32 v17, 0xff, v88
	s_mov_b32 s28, exec_lo
	s_delay_alu instid0(VALU_DEP_1) | instskip(NEXT) | instid1(VALU_DEP_1)
	v_bfe_u32 v17, v17, 2, 5
	v_cmpx_eq_u32_e32 0, v17
	s_cbranch_execz .LBB4_2145
; %bb.2144:                             ;   in Loop: Header=BB4_1998 Depth=2
	v_clz_i32_u32_e32 v17, v21
	s_delay_alu instid0(VALU_DEP_1) | instskip(SKIP_1) | instid1(VALU_DEP_2)
	v_min_u32_e32 v17, 32, v17
	v_mov_b32_e32 v89, v65
	v_subrev_nc_u32_e32 v21, 29, v17
	v_sub_nc_u32_e32 v17, 30, v17
	s_delay_alu instid0(VALU_DEP_2) | instskip(NEXT) | instid1(VALU_DEP_1)
	v_lshlrev_b64_e32 v[82:83], v21, v[88:89]
	v_and_b32_e32 v21, 3, v82
.LBB4_2145:                             ;   in Loop: Header=BB4_1998 Depth=2
	s_or_b32 exec_lo, exec_lo, s28
	v_bfe_i32 v23, v88, 0, 16
                                        ; implicit-def: $vgpr88
	s_delay_alu instid0(VALU_DEP_1) | instskip(NEXT) | instid1(VALU_DEP_1)
	v_and_b32_e32 v23, 0x80000000, v23
	v_lshl_add_u32 v17, v17, 23, v23
	s_delay_alu instid0(VALU_DEP_1) | instskip(NEXT) | instid1(VALU_DEP_1)
	v_lshl_or_b32 v17, v21, 21, v17
                                        ; implicit-def: $vgpr21
	v_add_nc_u32_e32 v17, 0x38000000, v17
.LBB4_2146:                             ;   in Loop: Header=BB4_1998 Depth=2
	s_and_not1_saveexec_b32 s27, s27
; %bb.2147:                             ;   in Loop: Header=BB4_1998 Depth=2
	v_cmp_lt_i16_e32 vcc_lo, -1, v88
	v_cndmask_b32_e32 v17, 0xff800000, v126, vcc_lo
	v_cmp_eq_u32_e32 vcc_lo, 0, v21
	s_delay_alu instid0(VALU_DEP_2)
	v_cndmask_b32_e32 v17, 0x7f800001, v17, vcc_lo
; %bb.2148:                             ;   in Loop: Header=BB4_1998 Depth=2
	s_or_b32 exec_lo, exec_lo, s27
.LBB4_2149:                             ;   in Loop: Header=BB4_1998 Depth=2
	s_delay_alu instid0(SALU_CYCLE_1)
	s_or_b32 exec_lo, exec_lo, s26
.LBB4_2150:                             ;   in Loop: Header=BB4_1998 Depth=2
	s_delay_alu instid0(SALU_CYCLE_1) | instskip(NEXT) | instid1(VALU_DEP_1)
	s_or_b32 exec_lo, exec_lo, s10
	v_dual_mul_f32 v19, v19, v17 :: v_dual_mov_b32 v83, v65
                                        ; implicit-def: $vgpr89
	s_mov_b32 s10, exec_lo
	s_delay_alu instid0(VALU_DEP_1) | instskip(SKIP_1) | instid1(VALU_DEP_2)
	v_and_b32_e32 v82, 0x7f800000, v19
	v_and_b32_e32 v64, 0x7fffff, v19
	v_cmpx_ne_u64_e32 0x7f800000, v[82:83]
	s_xor_b32 s26, exec_lo, s10
	s_cbranch_execz .LBB4_2168
; %bb.2151:                             ;   in Loop: Header=BB4_1998 Depth=2
	v_dual_mov_b32 v83, v65 :: v_dual_lshrrev_b32 v17, 24, v19
	v_and_b32_e32 v82, 0x7fffffff, v19
                                        ; implicit-def: $vgpr89
	s_mov_b32 s10, exec_lo
	s_delay_alu instid0(VALU_DEP_2) | instskip(NEXT) | instid1(VALU_DEP_2)
	v_and_b32_e32 v17, 0x80, v17
	v_cmpx_gt_u64_e32 0x47600001, v[82:83]
	s_xor_b32 s27, exec_lo, s10
	s_cbranch_execz .LBB4_2165
; %bb.2152:                             ;   in Loop: Header=BB4_1998 Depth=2
	v_mov_b32_e32 v89, 0
	s_mov_b32 s28, exec_lo
	v_cmpx_ne_u32_e32 0, v19
	s_cbranch_execz .LBB4_2164
; %bb.2153:                             ;   in Loop: Header=BB4_1998 Depth=2
	v_bfe_u32 v19, v19, 23, 8
	v_or_b32_e32 v25, 0x800000, v64
	s_delay_alu instid0(VALU_DEP_2) | instskip(SKIP_1) | instid1(VALU_DEP_2)
	v_sub_nc_u32_e32 v21, 0x71, v19
	v_cmp_gt_u32_e32 vcc_lo, 0x72, v19
	v_cndmask_b32_e32 v21, 0, v21, vcc_lo
	v_cmp_eq_u32_e32 vcc_lo, 0, v19
	s_delay_alu instid0(VALU_DEP_2) | instskip(NEXT) | instid1(VALU_DEP_1)
	v_cndmask_b32_e64 v21, v21, 0x70, vcc_lo
	v_dual_cndmask_b32 v64, v25, v64 :: v_dual_add_nc_u32 v23, 21, v21
	s_delay_alu instid0(VALU_DEP_1) | instskip(NEXT) | instid1(VALU_DEP_2)
	v_lshrrev_b64 v[88:89], v21, v[64:65]
	v_lshlrev_b64_e64 v[82:83], v23, -1
	v_add_nc_u32_e32 v23, 20, v21
	s_delay_alu instid0(VALU_DEP_1) | instskip(NEXT) | instid1(VALU_DEP_3)
	v_lshlrev_b64_e64 v[90:91], v23, 1
	v_bfi_b32 v83, v83, 0, 0
	s_delay_alu instid0(VALU_DEP_4) | instskip(NEXT) | instid1(VALU_DEP_1)
	v_bfi_b32 v82, v82, 0, v64
	v_cmp_eq_u64_e64 s10, v[82:83], v[90:91]
	v_mov_b64_e32 v[90:91], v[88:89]
	s_and_saveexec_b32 s29, s10
; %bb.2154:                             ;   in Loop: Header=BB4_1998 Depth=2
	v_bfe_u32 v64, v88, 21, 1
	s_delay_alu instid0(VALU_DEP_1) | instskip(NEXT) | instid1(VALU_DEP_1)
	v_add_nc_u64_e32 v[82:83], v[88:89], v[64:65]
	v_add_nc_u64_e32 v[90:91], -1, v[82:83]
; %bb.2155:                             ;   in Loop: Header=BB4_1998 Depth=2
	s_or_b32 exec_lo, exec_lo, s29
	v_add_nc_u32_e32 v19, 0xffffff81, v19
	v_lshrrev_b32_e32 v23, 23, v88
	s_mov_b32 s10, exec_lo
	s_delay_alu instid0(VALU_DEP_2) | instskip(NEXT) | instid1(VALU_DEP_1)
	v_cndmask_b32_e64 v19, v19, 0xffffff82, vcc_lo
	v_add3_u32 v21, v21, v19, v23
	v_and_b32_e32 v19, 0x1fffff, v90
	s_delay_alu instid0(VALU_DEP_1) | instskip(NEXT) | instid1(VALU_DEP_1)
	v_dual_add_nc_u32 v23, 14, v21 :: v_dual_add_nc_u32 v64, v19, v88
                                        ; implicit-def: $vgpr88_vgpr89
                                        ; implicit-def: $vgpr19
	v_cmpx_ne_u32_e32 0, v23
	s_xor_b32 s10, exec_lo, s10
; %bb.2156:                             ;   in Loop: Header=BB4_1998 Depth=2
	s_delay_alu instid0(VALU_DEP_2) | instskip(SKIP_2) | instid1(VALU_DEP_2)
	v_cmp_lt_u64_e32 vcc_lo, 0xffffff, v[64:65]
	v_add_nc_u32_e32 v19, 15, v21
	v_cndmask_b32_e64 v21, 0, 1, vcc_lo
	v_cndmask_b32_e32 v19, v23, v19, vcc_lo
	s_delay_alu instid0(VALU_DEP_2)
	v_lshrrev_b64 v[88:89], v21, v[64:65]
; %bb.2157:                             ;   in Loop: Header=BB4_1998 Depth=2
	s_and_not1_saveexec_b32 s10, s10
; %bb.2158:                             ;   in Loop: Header=BB4_1998 Depth=2
	v_mov_b64_e32 v[88:89], v[64:65]
	v_bfe_u32 v19, v64, 23, 1
; %bb.2159:                             ;   in Loop: Header=BB4_1998 Depth=2
	s_or_b32 exec_lo, exec_lo, s10
	s_delay_alu instid0(VALU_DEP_2) | instskip(NEXT) | instid1(VALU_DEP_2)
	v_lshrrev_b64 v[82:83], 21, v[88:89]
	v_cmp_gt_i32_e32 vcc_lo, 32, v19
	v_cmp_ne_u32_e64 s10, 0, v19
	s_delay_alu instid0(VALU_DEP_3) | instskip(NEXT) | instid1(VALU_DEP_1)
	v_dual_cndmask_b32 v89, 0, v83 :: v_dual_cndmask_b32 v88, 3, v82
	v_cmp_ne_u64_e32 vcc_lo, 0, v[88:89]
                                        ; implicit-def: $vgpr89
	s_or_b32 s10, s10, vcc_lo
	s_delay_alu instid0(SALU_CYCLE_1) | instskip(NEXT) | instid1(SALU_CYCLE_1)
	s_and_saveexec_b32 s29, s10
	s_xor_b32 s10, exec_lo, s29
; %bb.2160:                             ;   in Loop: Header=BB4_1998 Depth=2
	v_min_i32_e32 v19, 31, v19
	s_delay_alu instid0(VALU_DEP_1) | instskip(NEXT) | instid1(VALU_DEP_1)
	v_lshl_or_b32 v17, v19, 2, v17
	v_and_or_b32 v89, v88, 3, v17
                                        ; implicit-def: $vgpr17
; %bb.2161:                             ;   in Loop: Header=BB4_1998 Depth=2
	s_and_not1_saveexec_b32 s10, s10
; %bb.2162:                             ;   in Loop: Header=BB4_1998 Depth=2
	v_mov_b32_e32 v89, v17
; %bb.2163:                             ;   in Loop: Header=BB4_1998 Depth=2
	s_or_b32 exec_lo, exec_lo, s10
.LBB4_2164:                             ;   in Loop: Header=BB4_1998 Depth=2
	s_delay_alu instid0(SALU_CYCLE_1)
	s_or_b32 exec_lo, exec_lo, s28
                                        ; implicit-def: $vgpr17
.LBB4_2165:                             ;   in Loop: Header=BB4_1998 Depth=2
	s_and_not1_saveexec_b32 s10, s27
; %bb.2166:                             ;   in Loop: Header=BB4_1998 Depth=2
	v_or_b32_e32 v89, 0x7b, v17
; %bb.2167:                             ;   in Loop: Header=BB4_1998 Depth=2
	s_or_b32 exec_lo, exec_lo, s10
                                        ; implicit-def: $vgpr19
.LBB4_2168:                             ;   in Loop: Header=BB4_1998 Depth=2
	s_and_not1_saveexec_b32 s10, s26
	s_cbranch_execz .LBB4_2174
; %bb.2169:                             ;   in Loop: Header=BB4_1998 Depth=2
	s_mov_b32 s26, exec_lo
                                        ; implicit-def: $vgpr89
	v_cmpx_ne_u64_e32 0, v[64:65]
	s_xor_b32 s26, exec_lo, s26
; %bb.2170:                             ;   in Loop: Header=BB4_1998 Depth=2
	v_lshrrev_b32_e32 v17, 24, v19
                                        ; implicit-def: $vgpr19
	s_delay_alu instid0(VALU_DEP_1)
	v_or_b32_e32 v89, 0x7f, v17
; %bb.2171:                             ;   in Loop: Header=BB4_1998 Depth=2
	s_and_not1_saveexec_b32 s26, s26
; %bb.2172:                             ;   in Loop: Header=BB4_1998 Depth=2
	v_cmp_lt_i32_e32 vcc_lo, -1, v19
	v_cndmask_b32_e64 v89, -4, 0x7c, vcc_lo
; %bb.2173:                             ;   in Loop: Header=BB4_1998 Depth=2
	s_or_b32 exec_lo, exec_lo, s26
.LBB4_2174:                             ;   in Loop: Header=BB4_1998 Depth=2
	s_delay_alu instid0(SALU_CYCLE_1)
	s_or_b32 exec_lo, exec_lo, s10
	v_dual_mov_b32 v17, 0 :: v_dual_mov_b32 v19, 0
	s_mov_b32 s10, exec_lo
	v_cmpx_ne_u16_e32 0, v78
	s_cbranch_execz .LBB4_2184
; %bb.2175:                             ;   in Loop: Header=BB4_1998 Depth=2
	v_bfrev_b32_e32 v19, 1
	s_mov_b32 s26, exec_lo
	v_cmpx_ne_u16_e32 0xff80, v78
	s_cbranch_execz .LBB4_2183
; %bb.2176:                             ;   in Loop: Header=BB4_1998 Depth=2
	v_and_b32_e32 v19, 0x7c, v78
	v_and_b32_e32 v21, 3, v78
	s_delay_alu instid0(VALU_DEP_2) | instskip(SKIP_1) | instid1(SALU_CYCLE_1)
	v_cmp_ne_u32_e32 vcc_lo, 0x7c, v19
                                        ; implicit-def: $vgpr19
	s_and_saveexec_b32 s27, vcc_lo
	s_xor_b32 s27, exec_lo, s27
	s_cbranch_execz .LBB4_2180
; %bb.2177:                             ;   in Loop: Header=BB4_1998 Depth=2
	v_and_b32_e32 v19, 0xff, v78
	s_mov_b32 s28, exec_lo
	s_delay_alu instid0(VALU_DEP_1) | instskip(NEXT) | instid1(VALU_DEP_1)
	v_bfe_u32 v19, v19, 2, 5
	v_cmpx_eq_u32_e32 0, v19
	s_cbranch_execz .LBB4_2179
; %bb.2178:                             ;   in Loop: Header=BB4_1998 Depth=2
	v_clz_i32_u32_e32 v19, v21
	s_delay_alu instid0(VALU_DEP_1) | instskip(SKIP_1) | instid1(VALU_DEP_2)
	v_min_u32_e32 v19, 32, v19
	v_mov_b32_e32 v79, v65
	v_subrev_nc_u32_e32 v21, 29, v19
	v_sub_nc_u32_e32 v19, 30, v19
	s_delay_alu instid0(VALU_DEP_2) | instskip(NEXT) | instid1(VALU_DEP_1)
	v_lshlrev_b64_e32 v[82:83], v21, v[78:79]
	v_and_b32_e32 v21, 3, v82
.LBB4_2179:                             ;   in Loop: Header=BB4_1998 Depth=2
	s_or_b32 exec_lo, exec_lo, s28
	v_bfe_i32 v23, v78, 0, 16
                                        ; implicit-def: $vgpr78
	s_delay_alu instid0(VALU_DEP_1) | instskip(NEXT) | instid1(VALU_DEP_1)
	v_and_b32_e32 v23, 0x80000000, v23
	v_lshl_add_u32 v19, v19, 23, v23
	s_delay_alu instid0(VALU_DEP_1) | instskip(NEXT) | instid1(VALU_DEP_1)
	v_lshl_or_b32 v19, v21, 21, v19
                                        ; implicit-def: $vgpr21
	v_add_nc_u32_e32 v19, 0x38000000, v19
.LBB4_2180:                             ;   in Loop: Header=BB4_1998 Depth=2
	s_and_not1_saveexec_b32 s27, s27
; %bb.2181:                             ;   in Loop: Header=BB4_1998 Depth=2
	v_cmp_lt_i16_e32 vcc_lo, -1, v78
	v_cndmask_b32_e32 v19, 0xff800000, v126, vcc_lo
	v_cmp_eq_u32_e32 vcc_lo, 0, v21
	s_delay_alu instid0(VALU_DEP_2)
	v_cndmask_b32_e32 v19, 0x7f800001, v19, vcc_lo
; %bb.2182:                             ;   in Loop: Header=BB4_1998 Depth=2
	s_or_b32 exec_lo, exec_lo, s27
.LBB4_2183:                             ;   in Loop: Header=BB4_1998 Depth=2
	s_delay_alu instid0(SALU_CYCLE_1)
	s_or_b32 exec_lo, exec_lo, s26
.LBB4_2184:                             ;   in Loop: Header=BB4_1998 Depth=2
	s_delay_alu instid0(SALU_CYCLE_1) | instskip(NEXT) | instid1(SALU_CYCLE_1)
	s_or_b32 exec_lo, exec_lo, s10
	s_mov_b32 s10, exec_lo
	s_wait_loadcnt_dscnt 0xb0b
	v_cmpx_ne_u16_e32 0, v76
	s_cbranch_execz .LBB4_2194
; %bb.2185:                             ;   in Loop: Header=BB4_1998 Depth=2
	v_bfrev_b32_e32 v17, 1
	s_mov_b32 s26, exec_lo
	v_cmpx_ne_u16_e32 0xff80, v76
	s_cbranch_execz .LBB4_2193
; %bb.2186:                             ;   in Loop: Header=BB4_1998 Depth=2
	v_and_b32_e32 v17, 0x7c, v76
	v_and_b32_e32 v21, 3, v76
	s_delay_alu instid0(VALU_DEP_2) | instskip(SKIP_1) | instid1(SALU_CYCLE_1)
	v_cmp_ne_u32_e32 vcc_lo, 0x7c, v17
                                        ; implicit-def: $vgpr17
	s_and_saveexec_b32 s27, vcc_lo
	s_xor_b32 s27, exec_lo, s27
	s_cbranch_execz .LBB4_2190
; %bb.2187:                             ;   in Loop: Header=BB4_1998 Depth=2
	v_and_b32_e32 v17, 0xff, v76
	s_mov_b32 s28, exec_lo
	s_delay_alu instid0(VALU_DEP_1) | instskip(NEXT) | instid1(VALU_DEP_1)
	v_bfe_u32 v17, v17, 2, 5
	v_cmpx_eq_u32_e32 0, v17
	s_cbranch_execz .LBB4_2189
; %bb.2188:                             ;   in Loop: Header=BB4_1998 Depth=2
	v_clz_i32_u32_e32 v17, v21
	s_delay_alu instid0(VALU_DEP_1) | instskip(SKIP_1) | instid1(VALU_DEP_2)
	v_min_u32_e32 v17, 32, v17
	v_mov_b32_e32 v77, v65
	v_subrev_nc_u32_e32 v21, 29, v17
	v_sub_nc_u32_e32 v17, 30, v17
	s_delay_alu instid0(VALU_DEP_2) | instskip(NEXT) | instid1(VALU_DEP_1)
	v_lshlrev_b64_e32 v[82:83], v21, v[76:77]
	v_and_b32_e32 v21, 3, v82
.LBB4_2189:                             ;   in Loop: Header=BB4_1998 Depth=2
	s_or_b32 exec_lo, exec_lo, s28
	v_bfe_i32 v23, v76, 0, 16
                                        ; implicit-def: $vgpr76
	s_delay_alu instid0(VALU_DEP_1) | instskip(NEXT) | instid1(VALU_DEP_1)
	v_and_b32_e32 v23, 0x80000000, v23
	v_lshl_add_u32 v17, v17, 23, v23
	s_delay_alu instid0(VALU_DEP_1) | instskip(NEXT) | instid1(VALU_DEP_1)
	v_lshl_or_b32 v17, v21, 21, v17
                                        ; implicit-def: $vgpr21
	v_add_nc_u32_e32 v17, 0x38000000, v17
.LBB4_2190:                             ;   in Loop: Header=BB4_1998 Depth=2
	s_and_not1_saveexec_b32 s27, s27
; %bb.2191:                             ;   in Loop: Header=BB4_1998 Depth=2
	v_cmp_lt_i16_e32 vcc_lo, -1, v76
	v_cndmask_b32_e32 v17, 0xff800000, v126, vcc_lo
	v_cmp_eq_u32_e32 vcc_lo, 0, v21
	s_delay_alu instid0(VALU_DEP_2)
	v_cndmask_b32_e32 v17, 0x7f800001, v17, vcc_lo
; %bb.2192:                             ;   in Loop: Header=BB4_1998 Depth=2
	s_or_b32 exec_lo, exec_lo, s27
.LBB4_2193:                             ;   in Loop: Header=BB4_1998 Depth=2
	s_delay_alu instid0(SALU_CYCLE_1)
	s_or_b32 exec_lo, exec_lo, s26
.LBB4_2194:                             ;   in Loop: Header=BB4_1998 Depth=2
	s_delay_alu instid0(SALU_CYCLE_1) | instskip(NEXT) | instid1(VALU_DEP_1)
	s_or_b32 exec_lo, exec_lo, s10
	v_dual_mul_f32 v19, v19, v17 :: v_dual_mov_b32 v83, v65
                                        ; implicit-def: $vgpr77
	s_mov_b32 s10, exec_lo
	s_delay_alu instid0(VALU_DEP_1) | instskip(SKIP_1) | instid1(VALU_DEP_2)
	v_and_b32_e32 v82, 0x7f800000, v19
	v_and_b32_e32 v64, 0x7fffff, v19
	v_cmpx_ne_u64_e32 0x7f800000, v[82:83]
	s_xor_b32 s26, exec_lo, s10
	s_cbranch_execz .LBB4_2212
; %bb.2195:                             ;   in Loop: Header=BB4_1998 Depth=2
	v_dual_mov_b32 v83, v65 :: v_dual_lshrrev_b32 v17, 24, v19
	v_and_b32_e32 v82, 0x7fffffff, v19
                                        ; implicit-def: $vgpr77
	s_mov_b32 s10, exec_lo
	s_delay_alu instid0(VALU_DEP_2) | instskip(NEXT) | instid1(VALU_DEP_2)
	v_and_b32_e32 v17, 0x80, v17
	v_cmpx_gt_u64_e32 0x47600001, v[82:83]
	s_xor_b32 s27, exec_lo, s10
	s_cbranch_execz .LBB4_2209
; %bb.2196:                             ;   in Loop: Header=BB4_1998 Depth=2
	v_mov_b32_e32 v77, 0
	s_mov_b32 s28, exec_lo
	v_cmpx_ne_u32_e32 0, v19
	s_cbranch_execz .LBB4_2208
; %bb.2197:                             ;   in Loop: Header=BB4_1998 Depth=2
	v_bfe_u32 v19, v19, 23, 8
	v_or_b32_e32 v25, 0x800000, v64
	s_delay_alu instid0(VALU_DEP_2) | instskip(SKIP_1) | instid1(VALU_DEP_2)
	v_sub_nc_u32_e32 v21, 0x71, v19
	v_cmp_gt_u32_e32 vcc_lo, 0x72, v19
	v_cndmask_b32_e32 v21, 0, v21, vcc_lo
	v_cmp_eq_u32_e32 vcc_lo, 0, v19
	s_delay_alu instid0(VALU_DEP_2) | instskip(NEXT) | instid1(VALU_DEP_1)
	v_cndmask_b32_e64 v21, v21, 0x70, vcc_lo
	v_dual_cndmask_b32 v64, v25, v64 :: v_dual_add_nc_u32 v23, 21, v21
	s_delay_alu instid0(VALU_DEP_1) | instskip(NEXT) | instid1(VALU_DEP_2)
	v_lshrrev_b64 v[76:77], v21, v[64:65]
	v_lshlrev_b64_e64 v[82:83], v23, -1
	v_add_nc_u32_e32 v23, 20, v21
	s_delay_alu instid0(VALU_DEP_1) | instskip(NEXT) | instid1(VALU_DEP_3)
	v_lshlrev_b64_e64 v[78:79], v23, 1
	v_bfi_b32 v83, v83, 0, 0
	s_delay_alu instid0(VALU_DEP_4) | instskip(NEXT) | instid1(VALU_DEP_1)
	v_bfi_b32 v82, v82, 0, v64
	v_cmp_eq_u64_e64 s10, v[82:83], v[78:79]
	v_mov_b64_e32 v[78:79], v[76:77]
	s_and_saveexec_b32 s29, s10
; %bb.2198:                             ;   in Loop: Header=BB4_1998 Depth=2
	v_bfe_u32 v64, v76, 21, 1
	s_delay_alu instid0(VALU_DEP_1) | instskip(NEXT) | instid1(VALU_DEP_1)
	v_add_nc_u64_e32 v[82:83], v[76:77], v[64:65]
	v_add_nc_u64_e32 v[78:79], -1, v[82:83]
; %bb.2199:                             ;   in Loop: Header=BB4_1998 Depth=2
	s_or_b32 exec_lo, exec_lo, s29
	v_add_nc_u32_e32 v19, 0xffffff81, v19
	v_lshrrev_b32_e32 v23, 23, v76
	s_mov_b32 s10, exec_lo
	s_delay_alu instid0(VALU_DEP_2) | instskip(NEXT) | instid1(VALU_DEP_1)
	v_cndmask_b32_e64 v19, v19, 0xffffff82, vcc_lo
	v_add3_u32 v21, v21, v19, v23
	v_and_b32_e32 v19, 0x1fffff, v78
	s_delay_alu instid0(VALU_DEP_1) | instskip(NEXT) | instid1(VALU_DEP_1)
	v_dual_add_nc_u32 v23, 14, v21 :: v_dual_add_nc_u32 v64, v19, v76
                                        ; implicit-def: $vgpr76_vgpr77
                                        ; implicit-def: $vgpr19
	v_cmpx_ne_u32_e32 0, v23
	s_xor_b32 s10, exec_lo, s10
; %bb.2200:                             ;   in Loop: Header=BB4_1998 Depth=2
	s_delay_alu instid0(VALU_DEP_2) | instskip(SKIP_2) | instid1(VALU_DEP_2)
	v_cmp_lt_u64_e32 vcc_lo, 0xffffff, v[64:65]
	v_add_nc_u32_e32 v19, 15, v21
	v_cndmask_b32_e64 v21, 0, 1, vcc_lo
	v_cndmask_b32_e32 v19, v23, v19, vcc_lo
	s_delay_alu instid0(VALU_DEP_2)
	v_lshrrev_b64 v[76:77], v21, v[64:65]
; %bb.2201:                             ;   in Loop: Header=BB4_1998 Depth=2
	s_and_not1_saveexec_b32 s10, s10
; %bb.2202:                             ;   in Loop: Header=BB4_1998 Depth=2
	v_mov_b64_e32 v[76:77], v[64:65]
	v_bfe_u32 v19, v64, 23, 1
; %bb.2203:                             ;   in Loop: Header=BB4_1998 Depth=2
	s_or_b32 exec_lo, exec_lo, s10
	s_delay_alu instid0(VALU_DEP_2) | instskip(NEXT) | instid1(VALU_DEP_2)
	v_lshrrev_b64 v[82:83], 21, v[76:77]
	v_cmp_gt_i32_e32 vcc_lo, 32, v19
	v_cmp_ne_u32_e64 s10, 0, v19
	s_delay_alu instid0(VALU_DEP_3) | instskip(NEXT) | instid1(VALU_DEP_1)
	v_dual_cndmask_b32 v77, 0, v83 :: v_dual_cndmask_b32 v76, 3, v82
	v_cmp_ne_u64_e32 vcc_lo, 0, v[76:77]
                                        ; implicit-def: $vgpr77
	s_or_b32 s10, s10, vcc_lo
	s_delay_alu instid0(SALU_CYCLE_1) | instskip(NEXT) | instid1(SALU_CYCLE_1)
	s_and_saveexec_b32 s29, s10
	s_xor_b32 s10, exec_lo, s29
; %bb.2204:                             ;   in Loop: Header=BB4_1998 Depth=2
	v_min_i32_e32 v19, 31, v19
	s_delay_alu instid0(VALU_DEP_1) | instskip(NEXT) | instid1(VALU_DEP_1)
	v_lshl_or_b32 v17, v19, 2, v17
	v_and_or_b32 v77, v76, 3, v17
                                        ; implicit-def: $vgpr17
; %bb.2205:                             ;   in Loop: Header=BB4_1998 Depth=2
	s_and_not1_saveexec_b32 s10, s10
; %bb.2206:                             ;   in Loop: Header=BB4_1998 Depth=2
	v_mov_b32_e32 v77, v17
; %bb.2207:                             ;   in Loop: Header=BB4_1998 Depth=2
	s_or_b32 exec_lo, exec_lo, s10
.LBB4_2208:                             ;   in Loop: Header=BB4_1998 Depth=2
	s_delay_alu instid0(SALU_CYCLE_1)
	s_or_b32 exec_lo, exec_lo, s28
                                        ; implicit-def: $vgpr17
.LBB4_2209:                             ;   in Loop: Header=BB4_1998 Depth=2
	s_and_not1_saveexec_b32 s10, s27
; %bb.2210:                             ;   in Loop: Header=BB4_1998 Depth=2
	v_or_b32_e32 v77, 0x7b, v17
; %bb.2211:                             ;   in Loop: Header=BB4_1998 Depth=2
	s_or_b32 exec_lo, exec_lo, s10
                                        ; implicit-def: $vgpr19
.LBB4_2212:                             ;   in Loop: Header=BB4_1998 Depth=2
	s_and_not1_saveexec_b32 s10, s26
	s_cbranch_execz .LBB4_2218
; %bb.2213:                             ;   in Loop: Header=BB4_1998 Depth=2
	s_mov_b32 s26, exec_lo
                                        ; implicit-def: $vgpr77
	v_cmpx_ne_u64_e32 0, v[64:65]
	s_xor_b32 s26, exec_lo, s26
; %bb.2214:                             ;   in Loop: Header=BB4_1998 Depth=2
	v_lshrrev_b32_e32 v17, 24, v19
                                        ; implicit-def: $vgpr19
	s_delay_alu instid0(VALU_DEP_1)
	v_or_b32_e32 v77, 0x7f, v17
; %bb.2215:                             ;   in Loop: Header=BB4_1998 Depth=2
	s_and_not1_saveexec_b32 s26, s26
; %bb.2216:                             ;   in Loop: Header=BB4_1998 Depth=2
	v_cmp_lt_i32_e32 vcc_lo, -1, v19
	v_cndmask_b32_e64 v77, -4, 0x7c, vcc_lo
; %bb.2217:                             ;   in Loop: Header=BB4_1998 Depth=2
	s_or_b32 exec_lo, exec_lo, s26
.LBB4_2218:                             ;   in Loop: Header=BB4_1998 Depth=2
	s_delay_alu instid0(SALU_CYCLE_1)
	s_or_b32 exec_lo, exec_lo, s10
	v_dual_mov_b32 v17, 0 :: v_dual_mov_b32 v19, 0
	s_mov_b32 s10, exec_lo
	v_cmpx_ne_u16_e32 0, v74
	s_cbranch_execz .LBB4_2228
; %bb.2219:                             ;   in Loop: Header=BB4_1998 Depth=2
	v_bfrev_b32_e32 v19, 1
	s_mov_b32 s26, exec_lo
	v_cmpx_ne_u16_e32 0xff80, v74
	s_cbranch_execz .LBB4_2227
; %bb.2220:                             ;   in Loop: Header=BB4_1998 Depth=2
	v_and_b32_e32 v19, 0x7c, v74
	v_and_b32_e32 v21, 3, v74
	s_delay_alu instid0(VALU_DEP_2) | instskip(SKIP_1) | instid1(SALU_CYCLE_1)
	v_cmp_ne_u32_e32 vcc_lo, 0x7c, v19
                                        ; implicit-def: $vgpr19
	s_and_saveexec_b32 s27, vcc_lo
	s_xor_b32 s27, exec_lo, s27
	s_cbranch_execz .LBB4_2224
; %bb.2221:                             ;   in Loop: Header=BB4_1998 Depth=2
	v_and_b32_e32 v19, 0xff, v74
	s_mov_b32 s28, exec_lo
	s_delay_alu instid0(VALU_DEP_1) | instskip(NEXT) | instid1(VALU_DEP_1)
	v_bfe_u32 v19, v19, 2, 5
	v_cmpx_eq_u32_e32 0, v19
	s_cbranch_execz .LBB4_2223
; %bb.2222:                             ;   in Loop: Header=BB4_1998 Depth=2
	v_clz_i32_u32_e32 v19, v21
	s_delay_alu instid0(VALU_DEP_1) | instskip(SKIP_1) | instid1(VALU_DEP_2)
	v_min_u32_e32 v19, 32, v19
	v_mov_b32_e32 v75, v65
	v_subrev_nc_u32_e32 v21, 29, v19
	v_sub_nc_u32_e32 v19, 30, v19
	s_delay_alu instid0(VALU_DEP_2) | instskip(NEXT) | instid1(VALU_DEP_1)
	v_lshlrev_b64_e32 v[82:83], v21, v[74:75]
	v_and_b32_e32 v21, 3, v82
.LBB4_2223:                             ;   in Loop: Header=BB4_1998 Depth=2
	s_or_b32 exec_lo, exec_lo, s28
	v_bfe_i32 v23, v74, 0, 16
                                        ; implicit-def: $vgpr74
	s_delay_alu instid0(VALU_DEP_1) | instskip(NEXT) | instid1(VALU_DEP_1)
	v_and_b32_e32 v23, 0x80000000, v23
	v_lshl_add_u32 v19, v19, 23, v23
	s_delay_alu instid0(VALU_DEP_1) | instskip(NEXT) | instid1(VALU_DEP_1)
	v_lshl_or_b32 v19, v21, 21, v19
                                        ; implicit-def: $vgpr21
	v_add_nc_u32_e32 v19, 0x38000000, v19
.LBB4_2224:                             ;   in Loop: Header=BB4_1998 Depth=2
	s_and_not1_saveexec_b32 s27, s27
; %bb.2225:                             ;   in Loop: Header=BB4_1998 Depth=2
	v_cmp_lt_i16_e32 vcc_lo, -1, v74
	v_cndmask_b32_e32 v19, 0xff800000, v126, vcc_lo
	v_cmp_eq_u32_e32 vcc_lo, 0, v21
	s_delay_alu instid0(VALU_DEP_2)
	v_cndmask_b32_e32 v19, 0x7f800001, v19, vcc_lo
; %bb.2226:                             ;   in Loop: Header=BB4_1998 Depth=2
	s_or_b32 exec_lo, exec_lo, s27
.LBB4_2227:                             ;   in Loop: Header=BB4_1998 Depth=2
	s_delay_alu instid0(SALU_CYCLE_1)
	s_or_b32 exec_lo, exec_lo, s26
.LBB4_2228:                             ;   in Loop: Header=BB4_1998 Depth=2
	s_delay_alu instid0(SALU_CYCLE_1) | instskip(NEXT) | instid1(SALU_CYCLE_1)
	s_or_b32 exec_lo, exec_lo, s10
	s_mov_b32 s10, exec_lo
	s_wait_loadcnt_dscnt 0xa0a
	v_cmpx_ne_u16_e32 0, v72
	s_cbranch_execz .LBB4_2238
; %bb.2229:                             ;   in Loop: Header=BB4_1998 Depth=2
	v_bfrev_b32_e32 v17, 1
	s_mov_b32 s26, exec_lo
	v_cmpx_ne_u16_e32 0xff80, v72
	s_cbranch_execz .LBB4_2237
; %bb.2230:                             ;   in Loop: Header=BB4_1998 Depth=2
	v_and_b32_e32 v17, 0x7c, v72
	v_and_b32_e32 v21, 3, v72
	s_delay_alu instid0(VALU_DEP_2) | instskip(SKIP_1) | instid1(SALU_CYCLE_1)
	v_cmp_ne_u32_e32 vcc_lo, 0x7c, v17
                                        ; implicit-def: $vgpr17
	s_and_saveexec_b32 s27, vcc_lo
	s_xor_b32 s27, exec_lo, s27
	s_cbranch_execz .LBB4_2234
; %bb.2231:                             ;   in Loop: Header=BB4_1998 Depth=2
	v_and_b32_e32 v17, 0xff, v72
	s_mov_b32 s28, exec_lo
	s_delay_alu instid0(VALU_DEP_1) | instskip(NEXT) | instid1(VALU_DEP_1)
	v_bfe_u32 v17, v17, 2, 5
	v_cmpx_eq_u32_e32 0, v17
	s_cbranch_execz .LBB4_2233
; %bb.2232:                             ;   in Loop: Header=BB4_1998 Depth=2
	v_clz_i32_u32_e32 v17, v21
	s_delay_alu instid0(VALU_DEP_1) | instskip(SKIP_1) | instid1(VALU_DEP_2)
	v_min_u32_e32 v17, 32, v17
	v_mov_b32_e32 v73, v65
	v_subrev_nc_u32_e32 v21, 29, v17
	v_sub_nc_u32_e32 v17, 30, v17
	s_delay_alu instid0(VALU_DEP_2) | instskip(NEXT) | instid1(VALU_DEP_1)
	v_lshlrev_b64_e32 v[82:83], v21, v[72:73]
	v_and_b32_e32 v21, 3, v82
.LBB4_2233:                             ;   in Loop: Header=BB4_1998 Depth=2
	s_or_b32 exec_lo, exec_lo, s28
	v_bfe_i32 v23, v72, 0, 16
                                        ; implicit-def: $vgpr72
	s_delay_alu instid0(VALU_DEP_1) | instskip(NEXT) | instid1(VALU_DEP_1)
	v_and_b32_e32 v23, 0x80000000, v23
	v_lshl_add_u32 v17, v17, 23, v23
	s_delay_alu instid0(VALU_DEP_1) | instskip(NEXT) | instid1(VALU_DEP_1)
	v_lshl_or_b32 v17, v21, 21, v17
                                        ; implicit-def: $vgpr21
	v_add_nc_u32_e32 v17, 0x38000000, v17
.LBB4_2234:                             ;   in Loop: Header=BB4_1998 Depth=2
	s_and_not1_saveexec_b32 s27, s27
; %bb.2235:                             ;   in Loop: Header=BB4_1998 Depth=2
	v_cmp_lt_i16_e32 vcc_lo, -1, v72
	v_cndmask_b32_e32 v17, 0xff800000, v126, vcc_lo
	v_cmp_eq_u32_e32 vcc_lo, 0, v21
	s_delay_alu instid0(VALU_DEP_2)
	v_cndmask_b32_e32 v17, 0x7f800001, v17, vcc_lo
; %bb.2236:                             ;   in Loop: Header=BB4_1998 Depth=2
	s_or_b32 exec_lo, exec_lo, s27
.LBB4_2237:                             ;   in Loop: Header=BB4_1998 Depth=2
	s_delay_alu instid0(SALU_CYCLE_1)
	s_or_b32 exec_lo, exec_lo, s26
.LBB4_2238:                             ;   in Loop: Header=BB4_1998 Depth=2
	s_delay_alu instid0(SALU_CYCLE_1) | instskip(NEXT) | instid1(VALU_DEP_1)
	s_or_b32 exec_lo, exec_lo, s10
	v_dual_mul_f32 v19, v19, v17 :: v_dual_mov_b32 v83, v65
                                        ; implicit-def: $vgpr73
	s_mov_b32 s10, exec_lo
	s_delay_alu instid0(VALU_DEP_1) | instskip(SKIP_1) | instid1(VALU_DEP_2)
	v_and_b32_e32 v82, 0x7f800000, v19
	v_and_b32_e32 v64, 0x7fffff, v19
	v_cmpx_ne_u64_e32 0x7f800000, v[82:83]
	s_xor_b32 s26, exec_lo, s10
	s_cbranch_execz .LBB4_2256
; %bb.2239:                             ;   in Loop: Header=BB4_1998 Depth=2
	v_dual_mov_b32 v83, v65 :: v_dual_lshrrev_b32 v17, 24, v19
	v_and_b32_e32 v82, 0x7fffffff, v19
                                        ; implicit-def: $vgpr73
	s_mov_b32 s10, exec_lo
	s_delay_alu instid0(VALU_DEP_2) | instskip(NEXT) | instid1(VALU_DEP_2)
	v_and_b32_e32 v17, 0x80, v17
	v_cmpx_gt_u64_e32 0x47600001, v[82:83]
	s_xor_b32 s27, exec_lo, s10
	s_cbranch_execz .LBB4_2253
; %bb.2240:                             ;   in Loop: Header=BB4_1998 Depth=2
	v_mov_b32_e32 v73, 0
	s_mov_b32 s28, exec_lo
	v_cmpx_ne_u32_e32 0, v19
	s_cbranch_execz .LBB4_2252
; %bb.2241:                             ;   in Loop: Header=BB4_1998 Depth=2
	v_bfe_u32 v19, v19, 23, 8
	v_or_b32_e32 v25, 0x800000, v64
	s_delay_alu instid0(VALU_DEP_2) | instskip(SKIP_1) | instid1(VALU_DEP_2)
	v_sub_nc_u32_e32 v21, 0x71, v19
	v_cmp_gt_u32_e32 vcc_lo, 0x72, v19
	v_cndmask_b32_e32 v21, 0, v21, vcc_lo
	v_cmp_eq_u32_e32 vcc_lo, 0, v19
	s_delay_alu instid0(VALU_DEP_2) | instskip(NEXT) | instid1(VALU_DEP_1)
	v_cndmask_b32_e64 v21, v21, 0x70, vcc_lo
	v_dual_cndmask_b32 v64, v25, v64 :: v_dual_add_nc_u32 v23, 21, v21
	s_delay_alu instid0(VALU_DEP_1) | instskip(NEXT) | instid1(VALU_DEP_2)
	v_lshrrev_b64 v[72:73], v21, v[64:65]
	v_lshlrev_b64_e64 v[82:83], v23, -1
	v_add_nc_u32_e32 v23, 20, v21
	s_delay_alu instid0(VALU_DEP_1) | instskip(NEXT) | instid1(VALU_DEP_3)
	v_lshlrev_b64_e64 v[74:75], v23, 1
	v_bfi_b32 v83, v83, 0, 0
	s_delay_alu instid0(VALU_DEP_4) | instskip(NEXT) | instid1(VALU_DEP_1)
	v_bfi_b32 v82, v82, 0, v64
	v_cmp_eq_u64_e64 s10, v[82:83], v[74:75]
	v_mov_b64_e32 v[74:75], v[72:73]
	s_and_saveexec_b32 s29, s10
; %bb.2242:                             ;   in Loop: Header=BB4_1998 Depth=2
	v_bfe_u32 v64, v72, 21, 1
	s_delay_alu instid0(VALU_DEP_1) | instskip(NEXT) | instid1(VALU_DEP_1)
	v_add_nc_u64_e32 v[82:83], v[72:73], v[64:65]
	v_add_nc_u64_e32 v[74:75], -1, v[82:83]
; %bb.2243:                             ;   in Loop: Header=BB4_1998 Depth=2
	s_or_b32 exec_lo, exec_lo, s29
	v_add_nc_u32_e32 v19, 0xffffff81, v19
	v_lshrrev_b32_e32 v23, 23, v72
	s_mov_b32 s10, exec_lo
	s_delay_alu instid0(VALU_DEP_2) | instskip(NEXT) | instid1(VALU_DEP_1)
	v_cndmask_b32_e64 v19, v19, 0xffffff82, vcc_lo
	v_add3_u32 v21, v21, v19, v23
	v_and_b32_e32 v19, 0x1fffff, v74
	s_delay_alu instid0(VALU_DEP_1) | instskip(NEXT) | instid1(VALU_DEP_1)
	v_dual_add_nc_u32 v23, 14, v21 :: v_dual_add_nc_u32 v64, v19, v72
                                        ; implicit-def: $vgpr72_vgpr73
                                        ; implicit-def: $vgpr19
	v_cmpx_ne_u32_e32 0, v23
	s_xor_b32 s10, exec_lo, s10
; %bb.2244:                             ;   in Loop: Header=BB4_1998 Depth=2
	s_delay_alu instid0(VALU_DEP_2) | instskip(SKIP_2) | instid1(VALU_DEP_2)
	v_cmp_lt_u64_e32 vcc_lo, 0xffffff, v[64:65]
	v_add_nc_u32_e32 v19, 15, v21
	v_cndmask_b32_e64 v21, 0, 1, vcc_lo
	v_cndmask_b32_e32 v19, v23, v19, vcc_lo
	s_delay_alu instid0(VALU_DEP_2)
	v_lshrrev_b64 v[72:73], v21, v[64:65]
; %bb.2245:                             ;   in Loop: Header=BB4_1998 Depth=2
	s_and_not1_saveexec_b32 s10, s10
; %bb.2246:                             ;   in Loop: Header=BB4_1998 Depth=2
	v_mov_b64_e32 v[72:73], v[64:65]
	v_bfe_u32 v19, v64, 23, 1
; %bb.2247:                             ;   in Loop: Header=BB4_1998 Depth=2
	s_or_b32 exec_lo, exec_lo, s10
	s_delay_alu instid0(VALU_DEP_2) | instskip(NEXT) | instid1(VALU_DEP_2)
	v_lshrrev_b64 v[82:83], 21, v[72:73]
	v_cmp_gt_i32_e32 vcc_lo, 32, v19
	v_cmp_ne_u32_e64 s10, 0, v19
	s_delay_alu instid0(VALU_DEP_3) | instskip(NEXT) | instid1(VALU_DEP_1)
	v_dual_cndmask_b32 v73, 0, v83 :: v_dual_cndmask_b32 v72, 3, v82
	v_cmp_ne_u64_e32 vcc_lo, 0, v[72:73]
                                        ; implicit-def: $vgpr73
	s_or_b32 s10, s10, vcc_lo
	s_delay_alu instid0(SALU_CYCLE_1) | instskip(NEXT) | instid1(SALU_CYCLE_1)
	s_and_saveexec_b32 s29, s10
	s_xor_b32 s10, exec_lo, s29
; %bb.2248:                             ;   in Loop: Header=BB4_1998 Depth=2
	v_min_i32_e32 v19, 31, v19
	s_delay_alu instid0(VALU_DEP_1) | instskip(NEXT) | instid1(VALU_DEP_1)
	v_lshl_or_b32 v17, v19, 2, v17
	v_and_or_b32 v73, v72, 3, v17
                                        ; implicit-def: $vgpr17
; %bb.2249:                             ;   in Loop: Header=BB4_1998 Depth=2
	s_and_not1_saveexec_b32 s10, s10
; %bb.2250:                             ;   in Loop: Header=BB4_1998 Depth=2
	v_mov_b32_e32 v73, v17
; %bb.2251:                             ;   in Loop: Header=BB4_1998 Depth=2
	s_or_b32 exec_lo, exec_lo, s10
.LBB4_2252:                             ;   in Loop: Header=BB4_1998 Depth=2
	s_delay_alu instid0(SALU_CYCLE_1)
	s_or_b32 exec_lo, exec_lo, s28
                                        ; implicit-def: $vgpr17
.LBB4_2253:                             ;   in Loop: Header=BB4_1998 Depth=2
	s_and_not1_saveexec_b32 s10, s27
; %bb.2254:                             ;   in Loop: Header=BB4_1998 Depth=2
	v_or_b32_e32 v73, 0x7b, v17
; %bb.2255:                             ;   in Loop: Header=BB4_1998 Depth=2
	s_or_b32 exec_lo, exec_lo, s10
                                        ; implicit-def: $vgpr19
.LBB4_2256:                             ;   in Loop: Header=BB4_1998 Depth=2
	s_and_not1_saveexec_b32 s10, s26
	s_cbranch_execz .LBB4_2262
; %bb.2257:                             ;   in Loop: Header=BB4_1998 Depth=2
	s_mov_b32 s26, exec_lo
                                        ; implicit-def: $vgpr73
	v_cmpx_ne_u64_e32 0, v[64:65]
	s_xor_b32 s26, exec_lo, s26
; %bb.2258:                             ;   in Loop: Header=BB4_1998 Depth=2
	v_lshrrev_b32_e32 v17, 24, v19
                                        ; implicit-def: $vgpr19
	s_delay_alu instid0(VALU_DEP_1)
	v_or_b32_e32 v73, 0x7f, v17
; %bb.2259:                             ;   in Loop: Header=BB4_1998 Depth=2
	s_and_not1_saveexec_b32 s26, s26
; %bb.2260:                             ;   in Loop: Header=BB4_1998 Depth=2
	v_cmp_lt_i32_e32 vcc_lo, -1, v19
	v_cndmask_b32_e64 v73, -4, 0x7c, vcc_lo
; %bb.2261:                             ;   in Loop: Header=BB4_1998 Depth=2
	s_or_b32 exec_lo, exec_lo, s26
.LBB4_2262:                             ;   in Loop: Header=BB4_1998 Depth=2
	s_delay_alu instid0(SALU_CYCLE_1)
	s_or_b32 exec_lo, exec_lo, s10
	v_dual_mov_b32 v17, 0 :: v_dual_mov_b32 v19, 0
	s_mov_b32 s10, exec_lo
	v_cmpx_ne_u16_e32 0, v62
	s_cbranch_execz .LBB4_2272
; %bb.2263:                             ;   in Loop: Header=BB4_1998 Depth=2
	v_bfrev_b32_e32 v19, 1
	s_mov_b32 s26, exec_lo
	v_cmpx_ne_u16_e32 0xff80, v62
	s_cbranch_execz .LBB4_2271
; %bb.2264:                             ;   in Loop: Header=BB4_1998 Depth=2
	v_and_b32_e32 v19, 0x7c, v62
	v_and_b32_e32 v21, 3, v62
	s_delay_alu instid0(VALU_DEP_2) | instskip(SKIP_1) | instid1(SALU_CYCLE_1)
	v_cmp_ne_u32_e32 vcc_lo, 0x7c, v19
                                        ; implicit-def: $vgpr19
	s_and_saveexec_b32 s27, vcc_lo
	s_xor_b32 s27, exec_lo, s27
	s_cbranch_execz .LBB4_2268
; %bb.2265:                             ;   in Loop: Header=BB4_1998 Depth=2
	v_and_b32_e32 v19, 0xff, v62
	s_mov_b32 s28, exec_lo
	s_delay_alu instid0(VALU_DEP_1) | instskip(NEXT) | instid1(VALU_DEP_1)
	v_bfe_u32 v19, v19, 2, 5
	v_cmpx_eq_u32_e32 0, v19
	s_cbranch_execz .LBB4_2267
; %bb.2266:                             ;   in Loop: Header=BB4_1998 Depth=2
	v_clz_i32_u32_e32 v19, v21
	s_delay_alu instid0(VALU_DEP_1) | instskip(SKIP_1) | instid1(VALU_DEP_2)
	v_min_u32_e32 v19, 32, v19
	v_mov_b32_e32 v63, v65
	v_subrev_nc_u32_e32 v21, 29, v19
	v_sub_nc_u32_e32 v19, 30, v19
	s_delay_alu instid0(VALU_DEP_2) | instskip(NEXT) | instid1(VALU_DEP_1)
	v_lshlrev_b64_e32 v[82:83], v21, v[62:63]
	v_and_b32_e32 v21, 3, v82
.LBB4_2267:                             ;   in Loop: Header=BB4_1998 Depth=2
	s_or_b32 exec_lo, exec_lo, s28
	v_bfe_i32 v23, v62, 0, 16
                                        ; implicit-def: $vgpr62
	s_delay_alu instid0(VALU_DEP_1) | instskip(NEXT) | instid1(VALU_DEP_1)
	v_and_b32_e32 v23, 0x80000000, v23
	v_lshl_add_u32 v19, v19, 23, v23
	s_delay_alu instid0(VALU_DEP_1) | instskip(NEXT) | instid1(VALU_DEP_1)
	v_lshl_or_b32 v19, v21, 21, v19
                                        ; implicit-def: $vgpr21
	v_add_nc_u32_e32 v19, 0x38000000, v19
.LBB4_2268:                             ;   in Loop: Header=BB4_1998 Depth=2
	s_and_not1_saveexec_b32 s27, s27
; %bb.2269:                             ;   in Loop: Header=BB4_1998 Depth=2
	v_cmp_lt_i16_e32 vcc_lo, -1, v62
	v_cndmask_b32_e32 v19, 0xff800000, v126, vcc_lo
	v_cmp_eq_u32_e32 vcc_lo, 0, v21
	s_delay_alu instid0(VALU_DEP_2)
	v_cndmask_b32_e32 v19, 0x7f800001, v19, vcc_lo
; %bb.2270:                             ;   in Loop: Header=BB4_1998 Depth=2
	s_or_b32 exec_lo, exec_lo, s27
.LBB4_2271:                             ;   in Loop: Header=BB4_1998 Depth=2
	s_delay_alu instid0(SALU_CYCLE_1)
	s_or_b32 exec_lo, exec_lo, s26
.LBB4_2272:                             ;   in Loop: Header=BB4_1998 Depth=2
	s_delay_alu instid0(SALU_CYCLE_1) | instskip(NEXT) | instid1(SALU_CYCLE_1)
	s_or_b32 exec_lo, exec_lo, s10
	s_mov_b32 s10, exec_lo
	s_wait_loadcnt_dscnt 0x909
	v_cmpx_ne_u16_e32 0, v60
	s_cbranch_execz .LBB4_2282
; %bb.2273:                             ;   in Loop: Header=BB4_1998 Depth=2
	v_bfrev_b32_e32 v17, 1
	s_mov_b32 s26, exec_lo
	v_cmpx_ne_u16_e32 0xff80, v60
	s_cbranch_execz .LBB4_2281
; %bb.2274:                             ;   in Loop: Header=BB4_1998 Depth=2
	v_and_b32_e32 v17, 0x7c, v60
	v_and_b32_e32 v21, 3, v60
	s_delay_alu instid0(VALU_DEP_2) | instskip(SKIP_1) | instid1(SALU_CYCLE_1)
	v_cmp_ne_u32_e32 vcc_lo, 0x7c, v17
                                        ; implicit-def: $vgpr17
	s_and_saveexec_b32 s27, vcc_lo
	s_xor_b32 s27, exec_lo, s27
	s_cbranch_execz .LBB4_2278
; %bb.2275:                             ;   in Loop: Header=BB4_1998 Depth=2
	v_and_b32_e32 v17, 0xff, v60
	s_mov_b32 s28, exec_lo
	s_delay_alu instid0(VALU_DEP_1) | instskip(NEXT) | instid1(VALU_DEP_1)
	v_bfe_u32 v17, v17, 2, 5
	v_cmpx_eq_u32_e32 0, v17
	s_cbranch_execz .LBB4_2277
; %bb.2276:                             ;   in Loop: Header=BB4_1998 Depth=2
	v_clz_i32_u32_e32 v17, v21
	s_delay_alu instid0(VALU_DEP_1) | instskip(SKIP_1) | instid1(VALU_DEP_2)
	v_min_u32_e32 v17, 32, v17
	v_mov_b32_e32 v61, v65
	v_subrev_nc_u32_e32 v21, 29, v17
	v_sub_nc_u32_e32 v17, 30, v17
	s_delay_alu instid0(VALU_DEP_2) | instskip(NEXT) | instid1(VALU_DEP_1)
	v_lshlrev_b64_e32 v[82:83], v21, v[60:61]
	v_and_b32_e32 v21, 3, v82
.LBB4_2277:                             ;   in Loop: Header=BB4_1998 Depth=2
	s_or_b32 exec_lo, exec_lo, s28
	v_bfe_i32 v23, v60, 0, 16
                                        ; implicit-def: $vgpr60
	s_delay_alu instid0(VALU_DEP_1) | instskip(NEXT) | instid1(VALU_DEP_1)
	v_and_b32_e32 v23, 0x80000000, v23
	v_lshl_add_u32 v17, v17, 23, v23
	s_delay_alu instid0(VALU_DEP_1) | instskip(NEXT) | instid1(VALU_DEP_1)
	v_lshl_or_b32 v17, v21, 21, v17
                                        ; implicit-def: $vgpr21
	v_add_nc_u32_e32 v17, 0x38000000, v17
.LBB4_2278:                             ;   in Loop: Header=BB4_1998 Depth=2
	s_and_not1_saveexec_b32 s27, s27
; %bb.2279:                             ;   in Loop: Header=BB4_1998 Depth=2
	v_cmp_lt_i16_e32 vcc_lo, -1, v60
	v_cndmask_b32_e32 v17, 0xff800000, v126, vcc_lo
	v_cmp_eq_u32_e32 vcc_lo, 0, v21
	s_delay_alu instid0(VALU_DEP_2)
	v_cndmask_b32_e32 v17, 0x7f800001, v17, vcc_lo
; %bb.2280:                             ;   in Loop: Header=BB4_1998 Depth=2
	s_or_b32 exec_lo, exec_lo, s27
.LBB4_2281:                             ;   in Loop: Header=BB4_1998 Depth=2
	s_delay_alu instid0(SALU_CYCLE_1)
	s_or_b32 exec_lo, exec_lo, s26
.LBB4_2282:                             ;   in Loop: Header=BB4_1998 Depth=2
	s_delay_alu instid0(SALU_CYCLE_1) | instskip(NEXT) | instid1(VALU_DEP_1)
	s_or_b32 exec_lo, exec_lo, s10
	v_dual_mul_f32 v19, v19, v17 :: v_dual_mov_b32 v83, v65
                                        ; implicit-def: $vgpr61
	s_mov_b32 s10, exec_lo
	s_delay_alu instid0(VALU_DEP_1) | instskip(SKIP_1) | instid1(VALU_DEP_2)
	v_and_b32_e32 v82, 0x7f800000, v19
	v_and_b32_e32 v64, 0x7fffff, v19
	v_cmpx_ne_u64_e32 0x7f800000, v[82:83]
	s_xor_b32 s26, exec_lo, s10
	s_cbranch_execz .LBB4_2300
; %bb.2283:                             ;   in Loop: Header=BB4_1998 Depth=2
	v_dual_mov_b32 v83, v65 :: v_dual_lshrrev_b32 v17, 24, v19
	v_and_b32_e32 v82, 0x7fffffff, v19
                                        ; implicit-def: $vgpr61
	s_mov_b32 s10, exec_lo
	s_delay_alu instid0(VALU_DEP_2) | instskip(NEXT) | instid1(VALU_DEP_2)
	v_and_b32_e32 v17, 0x80, v17
	v_cmpx_gt_u64_e32 0x47600001, v[82:83]
	s_xor_b32 s27, exec_lo, s10
	s_cbranch_execz .LBB4_2297
; %bb.2284:                             ;   in Loop: Header=BB4_1998 Depth=2
	v_mov_b32_e32 v61, 0
	s_mov_b32 s28, exec_lo
	v_cmpx_ne_u32_e32 0, v19
	s_cbranch_execz .LBB4_2296
; %bb.2285:                             ;   in Loop: Header=BB4_1998 Depth=2
	v_bfe_u32 v19, v19, 23, 8
	v_or_b32_e32 v25, 0x800000, v64
	s_delay_alu instid0(VALU_DEP_2) | instskip(SKIP_1) | instid1(VALU_DEP_2)
	v_sub_nc_u32_e32 v21, 0x71, v19
	v_cmp_gt_u32_e32 vcc_lo, 0x72, v19
	v_cndmask_b32_e32 v21, 0, v21, vcc_lo
	v_cmp_eq_u32_e32 vcc_lo, 0, v19
	s_delay_alu instid0(VALU_DEP_2) | instskip(NEXT) | instid1(VALU_DEP_1)
	v_cndmask_b32_e64 v21, v21, 0x70, vcc_lo
	v_dual_cndmask_b32 v64, v25, v64 :: v_dual_add_nc_u32 v23, 21, v21
	s_delay_alu instid0(VALU_DEP_1) | instskip(NEXT) | instid1(VALU_DEP_2)
	v_lshrrev_b64 v[60:61], v21, v[64:65]
	v_lshlrev_b64_e64 v[82:83], v23, -1
	v_add_nc_u32_e32 v23, 20, v21
	s_delay_alu instid0(VALU_DEP_1) | instskip(NEXT) | instid1(VALU_DEP_3)
	v_lshlrev_b64_e64 v[62:63], v23, 1
	v_bfi_b32 v83, v83, 0, 0
	s_delay_alu instid0(VALU_DEP_4) | instskip(NEXT) | instid1(VALU_DEP_1)
	v_bfi_b32 v82, v82, 0, v64
	v_cmp_eq_u64_e64 s10, v[82:83], v[62:63]
	v_mov_b64_e32 v[62:63], v[60:61]
	s_and_saveexec_b32 s29, s10
; %bb.2286:                             ;   in Loop: Header=BB4_1998 Depth=2
	v_bfe_u32 v64, v60, 21, 1
	s_delay_alu instid0(VALU_DEP_1) | instskip(NEXT) | instid1(VALU_DEP_1)
	v_add_nc_u64_e32 v[82:83], v[60:61], v[64:65]
	v_add_nc_u64_e32 v[62:63], -1, v[82:83]
; %bb.2287:                             ;   in Loop: Header=BB4_1998 Depth=2
	s_or_b32 exec_lo, exec_lo, s29
	v_add_nc_u32_e32 v19, 0xffffff81, v19
	v_lshrrev_b32_e32 v23, 23, v60
	s_mov_b32 s10, exec_lo
	s_delay_alu instid0(VALU_DEP_2) | instskip(NEXT) | instid1(VALU_DEP_1)
	v_cndmask_b32_e64 v19, v19, 0xffffff82, vcc_lo
	v_add3_u32 v21, v21, v19, v23
	v_and_b32_e32 v19, 0x1fffff, v62
	s_delay_alu instid0(VALU_DEP_1) | instskip(NEXT) | instid1(VALU_DEP_1)
	v_dual_add_nc_u32 v23, 14, v21 :: v_dual_add_nc_u32 v64, v19, v60
                                        ; implicit-def: $vgpr60_vgpr61
                                        ; implicit-def: $vgpr19
	v_cmpx_ne_u32_e32 0, v23
	s_xor_b32 s10, exec_lo, s10
; %bb.2288:                             ;   in Loop: Header=BB4_1998 Depth=2
	s_delay_alu instid0(VALU_DEP_2) | instskip(SKIP_2) | instid1(VALU_DEP_2)
	v_cmp_lt_u64_e32 vcc_lo, 0xffffff, v[64:65]
	v_add_nc_u32_e32 v19, 15, v21
	v_cndmask_b32_e64 v21, 0, 1, vcc_lo
	v_cndmask_b32_e32 v19, v23, v19, vcc_lo
	s_delay_alu instid0(VALU_DEP_2)
	v_lshrrev_b64 v[60:61], v21, v[64:65]
; %bb.2289:                             ;   in Loop: Header=BB4_1998 Depth=2
	s_and_not1_saveexec_b32 s10, s10
; %bb.2290:                             ;   in Loop: Header=BB4_1998 Depth=2
	v_mov_b64_e32 v[60:61], v[64:65]
	v_bfe_u32 v19, v64, 23, 1
; %bb.2291:                             ;   in Loop: Header=BB4_1998 Depth=2
	s_or_b32 exec_lo, exec_lo, s10
	s_delay_alu instid0(VALU_DEP_2) | instskip(NEXT) | instid1(VALU_DEP_2)
	v_lshrrev_b64 v[82:83], 21, v[60:61]
	v_cmp_gt_i32_e32 vcc_lo, 32, v19
	v_cmp_ne_u32_e64 s10, 0, v19
	s_delay_alu instid0(VALU_DEP_3) | instskip(NEXT) | instid1(VALU_DEP_1)
	v_dual_cndmask_b32 v61, 0, v83 :: v_dual_cndmask_b32 v60, 3, v82
	v_cmp_ne_u64_e32 vcc_lo, 0, v[60:61]
                                        ; implicit-def: $vgpr61
	s_or_b32 s10, s10, vcc_lo
	s_delay_alu instid0(SALU_CYCLE_1) | instskip(NEXT) | instid1(SALU_CYCLE_1)
	s_and_saveexec_b32 s29, s10
	s_xor_b32 s10, exec_lo, s29
; %bb.2292:                             ;   in Loop: Header=BB4_1998 Depth=2
	v_min_i32_e32 v19, 31, v19
	s_delay_alu instid0(VALU_DEP_1) | instskip(NEXT) | instid1(VALU_DEP_1)
	v_lshl_or_b32 v17, v19, 2, v17
	v_and_or_b32 v61, v60, 3, v17
                                        ; implicit-def: $vgpr17
; %bb.2293:                             ;   in Loop: Header=BB4_1998 Depth=2
	s_and_not1_saveexec_b32 s10, s10
; %bb.2294:                             ;   in Loop: Header=BB4_1998 Depth=2
	v_mov_b32_e32 v61, v17
; %bb.2295:                             ;   in Loop: Header=BB4_1998 Depth=2
	s_or_b32 exec_lo, exec_lo, s10
.LBB4_2296:                             ;   in Loop: Header=BB4_1998 Depth=2
	s_delay_alu instid0(SALU_CYCLE_1)
	s_or_b32 exec_lo, exec_lo, s28
                                        ; implicit-def: $vgpr17
.LBB4_2297:                             ;   in Loop: Header=BB4_1998 Depth=2
	s_and_not1_saveexec_b32 s10, s27
; %bb.2298:                             ;   in Loop: Header=BB4_1998 Depth=2
	v_or_b32_e32 v61, 0x7b, v17
; %bb.2299:                             ;   in Loop: Header=BB4_1998 Depth=2
	s_or_b32 exec_lo, exec_lo, s10
                                        ; implicit-def: $vgpr19
.LBB4_2300:                             ;   in Loop: Header=BB4_1998 Depth=2
	s_and_not1_saveexec_b32 s10, s26
	s_cbranch_execz .LBB4_2306
; %bb.2301:                             ;   in Loop: Header=BB4_1998 Depth=2
	s_mov_b32 s26, exec_lo
                                        ; implicit-def: $vgpr61
	v_cmpx_ne_u64_e32 0, v[64:65]
	s_xor_b32 s26, exec_lo, s26
; %bb.2302:                             ;   in Loop: Header=BB4_1998 Depth=2
	v_lshrrev_b32_e32 v17, 24, v19
                                        ; implicit-def: $vgpr19
	s_delay_alu instid0(VALU_DEP_1)
	v_or_b32_e32 v61, 0x7f, v17
; %bb.2303:                             ;   in Loop: Header=BB4_1998 Depth=2
	s_and_not1_saveexec_b32 s26, s26
; %bb.2304:                             ;   in Loop: Header=BB4_1998 Depth=2
	v_cmp_lt_i32_e32 vcc_lo, -1, v19
	v_cndmask_b32_e64 v61, -4, 0x7c, vcc_lo
; %bb.2305:                             ;   in Loop: Header=BB4_1998 Depth=2
	s_or_b32 exec_lo, exec_lo, s26
.LBB4_2306:                             ;   in Loop: Header=BB4_1998 Depth=2
	s_delay_alu instid0(SALU_CYCLE_1)
	s_or_b32 exec_lo, exec_lo, s10
	v_dual_mov_b32 v17, 0 :: v_dual_mov_b32 v19, 0
	s_mov_b32 s10, exec_lo
	v_cmpx_ne_u16_e32 0, v58
	s_cbranch_execz .LBB4_2316
; %bb.2307:                             ;   in Loop: Header=BB4_1998 Depth=2
	v_bfrev_b32_e32 v19, 1
	s_mov_b32 s26, exec_lo
	v_cmpx_ne_u16_e32 0xff80, v58
	s_cbranch_execz .LBB4_2315
; %bb.2308:                             ;   in Loop: Header=BB4_1998 Depth=2
	v_and_b32_e32 v19, 0x7c, v58
	v_and_b32_e32 v21, 3, v58
	s_delay_alu instid0(VALU_DEP_2) | instskip(SKIP_1) | instid1(SALU_CYCLE_1)
	v_cmp_ne_u32_e32 vcc_lo, 0x7c, v19
                                        ; implicit-def: $vgpr19
	s_and_saveexec_b32 s27, vcc_lo
	s_xor_b32 s27, exec_lo, s27
	s_cbranch_execz .LBB4_2312
; %bb.2309:                             ;   in Loop: Header=BB4_1998 Depth=2
	v_and_b32_e32 v19, 0xff, v58
	s_mov_b32 s28, exec_lo
	s_delay_alu instid0(VALU_DEP_1) | instskip(NEXT) | instid1(VALU_DEP_1)
	v_bfe_u32 v19, v19, 2, 5
	v_cmpx_eq_u32_e32 0, v19
	s_cbranch_execz .LBB4_2311
; %bb.2310:                             ;   in Loop: Header=BB4_1998 Depth=2
	v_clz_i32_u32_e32 v19, v21
	s_delay_alu instid0(VALU_DEP_1) | instskip(SKIP_1) | instid1(VALU_DEP_2)
	v_min_u32_e32 v19, 32, v19
	v_mov_b32_e32 v59, v65
	v_subrev_nc_u32_e32 v21, 29, v19
	v_sub_nc_u32_e32 v19, 30, v19
	s_delay_alu instid0(VALU_DEP_2) | instskip(NEXT) | instid1(VALU_DEP_1)
	v_lshlrev_b64_e32 v[82:83], v21, v[58:59]
	v_and_b32_e32 v21, 3, v82
.LBB4_2311:                             ;   in Loop: Header=BB4_1998 Depth=2
	s_or_b32 exec_lo, exec_lo, s28
	v_bfe_i32 v23, v58, 0, 16
                                        ; implicit-def: $vgpr58
	s_delay_alu instid0(VALU_DEP_1) | instskip(NEXT) | instid1(VALU_DEP_1)
	v_and_b32_e32 v23, 0x80000000, v23
	v_lshl_add_u32 v19, v19, 23, v23
	s_delay_alu instid0(VALU_DEP_1) | instskip(NEXT) | instid1(VALU_DEP_1)
	v_lshl_or_b32 v19, v21, 21, v19
                                        ; implicit-def: $vgpr21
	v_add_nc_u32_e32 v19, 0x38000000, v19
.LBB4_2312:                             ;   in Loop: Header=BB4_1998 Depth=2
	s_and_not1_saveexec_b32 s27, s27
; %bb.2313:                             ;   in Loop: Header=BB4_1998 Depth=2
	v_cmp_lt_i16_e32 vcc_lo, -1, v58
	v_cndmask_b32_e32 v19, 0xff800000, v126, vcc_lo
	v_cmp_eq_u32_e32 vcc_lo, 0, v21
	s_delay_alu instid0(VALU_DEP_2)
	v_cndmask_b32_e32 v19, 0x7f800001, v19, vcc_lo
; %bb.2314:                             ;   in Loop: Header=BB4_1998 Depth=2
	s_or_b32 exec_lo, exec_lo, s27
.LBB4_2315:                             ;   in Loop: Header=BB4_1998 Depth=2
	s_delay_alu instid0(SALU_CYCLE_1)
	s_or_b32 exec_lo, exec_lo, s26
.LBB4_2316:                             ;   in Loop: Header=BB4_1998 Depth=2
	s_delay_alu instid0(SALU_CYCLE_1) | instskip(NEXT) | instid1(SALU_CYCLE_1)
	s_or_b32 exec_lo, exec_lo, s10
	s_mov_b32 s10, exec_lo
	s_wait_loadcnt_dscnt 0x808
	v_cmpx_ne_u16_e32 0, v56
	s_cbranch_execz .LBB4_2326
; %bb.2317:                             ;   in Loop: Header=BB4_1998 Depth=2
	v_bfrev_b32_e32 v17, 1
	s_mov_b32 s26, exec_lo
	v_cmpx_ne_u16_e32 0xff80, v56
	s_cbranch_execz .LBB4_2325
; %bb.2318:                             ;   in Loop: Header=BB4_1998 Depth=2
	v_and_b32_e32 v17, 0x7c, v56
	v_and_b32_e32 v21, 3, v56
	s_delay_alu instid0(VALU_DEP_2) | instskip(SKIP_1) | instid1(SALU_CYCLE_1)
	v_cmp_ne_u32_e32 vcc_lo, 0x7c, v17
                                        ; implicit-def: $vgpr17
	s_and_saveexec_b32 s27, vcc_lo
	s_xor_b32 s27, exec_lo, s27
	s_cbranch_execz .LBB4_2322
; %bb.2319:                             ;   in Loop: Header=BB4_1998 Depth=2
	v_and_b32_e32 v17, 0xff, v56
	s_mov_b32 s28, exec_lo
	s_delay_alu instid0(VALU_DEP_1) | instskip(NEXT) | instid1(VALU_DEP_1)
	v_bfe_u32 v17, v17, 2, 5
	v_cmpx_eq_u32_e32 0, v17
	s_cbranch_execz .LBB4_2321
; %bb.2320:                             ;   in Loop: Header=BB4_1998 Depth=2
	v_clz_i32_u32_e32 v17, v21
	s_delay_alu instid0(VALU_DEP_1) | instskip(SKIP_1) | instid1(VALU_DEP_2)
	v_min_u32_e32 v17, 32, v17
	v_mov_b32_e32 v57, v65
	v_subrev_nc_u32_e32 v21, 29, v17
	v_sub_nc_u32_e32 v17, 30, v17
	s_delay_alu instid0(VALU_DEP_2) | instskip(NEXT) | instid1(VALU_DEP_1)
	v_lshlrev_b64_e32 v[82:83], v21, v[56:57]
	v_and_b32_e32 v21, 3, v82
.LBB4_2321:                             ;   in Loop: Header=BB4_1998 Depth=2
	s_or_b32 exec_lo, exec_lo, s28
	v_bfe_i32 v23, v56, 0, 16
                                        ; implicit-def: $vgpr56
	s_delay_alu instid0(VALU_DEP_1) | instskip(NEXT) | instid1(VALU_DEP_1)
	v_and_b32_e32 v23, 0x80000000, v23
	v_lshl_add_u32 v17, v17, 23, v23
	s_delay_alu instid0(VALU_DEP_1) | instskip(NEXT) | instid1(VALU_DEP_1)
	v_lshl_or_b32 v17, v21, 21, v17
                                        ; implicit-def: $vgpr21
	v_add_nc_u32_e32 v17, 0x38000000, v17
.LBB4_2322:                             ;   in Loop: Header=BB4_1998 Depth=2
	s_and_not1_saveexec_b32 s27, s27
; %bb.2323:                             ;   in Loop: Header=BB4_1998 Depth=2
	v_cmp_lt_i16_e32 vcc_lo, -1, v56
	v_cndmask_b32_e32 v17, 0xff800000, v126, vcc_lo
	v_cmp_eq_u32_e32 vcc_lo, 0, v21
	s_delay_alu instid0(VALU_DEP_2)
	v_cndmask_b32_e32 v17, 0x7f800001, v17, vcc_lo
; %bb.2324:                             ;   in Loop: Header=BB4_1998 Depth=2
	s_or_b32 exec_lo, exec_lo, s27
.LBB4_2325:                             ;   in Loop: Header=BB4_1998 Depth=2
	s_delay_alu instid0(SALU_CYCLE_1)
	s_or_b32 exec_lo, exec_lo, s26
.LBB4_2326:                             ;   in Loop: Header=BB4_1998 Depth=2
	s_delay_alu instid0(SALU_CYCLE_1) | instskip(NEXT) | instid1(VALU_DEP_1)
	s_or_b32 exec_lo, exec_lo, s10
	v_dual_mul_f32 v19, v19, v17 :: v_dual_mov_b32 v83, v65
                                        ; implicit-def: $vgpr57
	s_mov_b32 s10, exec_lo
	s_delay_alu instid0(VALU_DEP_1) | instskip(SKIP_1) | instid1(VALU_DEP_2)
	v_and_b32_e32 v82, 0x7f800000, v19
	v_and_b32_e32 v64, 0x7fffff, v19
	v_cmpx_ne_u64_e32 0x7f800000, v[82:83]
	s_xor_b32 s26, exec_lo, s10
	s_cbranch_execz .LBB4_2344
; %bb.2327:                             ;   in Loop: Header=BB4_1998 Depth=2
	v_dual_mov_b32 v83, v65 :: v_dual_lshrrev_b32 v17, 24, v19
	v_and_b32_e32 v82, 0x7fffffff, v19
                                        ; implicit-def: $vgpr57
	s_mov_b32 s10, exec_lo
	s_delay_alu instid0(VALU_DEP_2) | instskip(NEXT) | instid1(VALU_DEP_2)
	v_and_b32_e32 v17, 0x80, v17
	v_cmpx_gt_u64_e32 0x47600001, v[82:83]
	s_xor_b32 s27, exec_lo, s10
	s_cbranch_execz .LBB4_2341
; %bb.2328:                             ;   in Loop: Header=BB4_1998 Depth=2
	v_mov_b32_e32 v57, 0
	s_mov_b32 s28, exec_lo
	v_cmpx_ne_u32_e32 0, v19
	s_cbranch_execz .LBB4_2340
; %bb.2329:                             ;   in Loop: Header=BB4_1998 Depth=2
	v_bfe_u32 v19, v19, 23, 8
	v_or_b32_e32 v25, 0x800000, v64
	s_delay_alu instid0(VALU_DEP_2) | instskip(SKIP_1) | instid1(VALU_DEP_2)
	v_sub_nc_u32_e32 v21, 0x71, v19
	v_cmp_gt_u32_e32 vcc_lo, 0x72, v19
	v_cndmask_b32_e32 v21, 0, v21, vcc_lo
	v_cmp_eq_u32_e32 vcc_lo, 0, v19
	s_delay_alu instid0(VALU_DEP_2) | instskip(NEXT) | instid1(VALU_DEP_1)
	v_cndmask_b32_e64 v21, v21, 0x70, vcc_lo
	v_dual_cndmask_b32 v64, v25, v64 :: v_dual_add_nc_u32 v23, 21, v21
	s_delay_alu instid0(VALU_DEP_1) | instskip(NEXT) | instid1(VALU_DEP_2)
	v_lshrrev_b64 v[56:57], v21, v[64:65]
	v_lshlrev_b64_e64 v[82:83], v23, -1
	v_add_nc_u32_e32 v23, 20, v21
	s_delay_alu instid0(VALU_DEP_1) | instskip(NEXT) | instid1(VALU_DEP_3)
	v_lshlrev_b64_e64 v[58:59], v23, 1
	v_bfi_b32 v83, v83, 0, 0
	s_delay_alu instid0(VALU_DEP_4) | instskip(NEXT) | instid1(VALU_DEP_1)
	v_bfi_b32 v82, v82, 0, v64
	v_cmp_eq_u64_e64 s10, v[82:83], v[58:59]
	v_mov_b64_e32 v[58:59], v[56:57]
	s_and_saveexec_b32 s29, s10
; %bb.2330:                             ;   in Loop: Header=BB4_1998 Depth=2
	v_bfe_u32 v64, v56, 21, 1
	s_delay_alu instid0(VALU_DEP_1) | instskip(NEXT) | instid1(VALU_DEP_1)
	v_add_nc_u64_e32 v[82:83], v[56:57], v[64:65]
	v_add_nc_u64_e32 v[58:59], -1, v[82:83]
; %bb.2331:                             ;   in Loop: Header=BB4_1998 Depth=2
	s_or_b32 exec_lo, exec_lo, s29
	v_add_nc_u32_e32 v19, 0xffffff81, v19
	v_lshrrev_b32_e32 v23, 23, v56
	s_mov_b32 s10, exec_lo
	s_delay_alu instid0(VALU_DEP_2) | instskip(NEXT) | instid1(VALU_DEP_1)
	v_cndmask_b32_e64 v19, v19, 0xffffff82, vcc_lo
	v_add3_u32 v21, v21, v19, v23
	v_and_b32_e32 v19, 0x1fffff, v58
	s_delay_alu instid0(VALU_DEP_1) | instskip(NEXT) | instid1(VALU_DEP_1)
	v_dual_add_nc_u32 v23, 14, v21 :: v_dual_add_nc_u32 v64, v19, v56
                                        ; implicit-def: $vgpr56_vgpr57
                                        ; implicit-def: $vgpr19
	v_cmpx_ne_u32_e32 0, v23
	s_xor_b32 s10, exec_lo, s10
; %bb.2332:                             ;   in Loop: Header=BB4_1998 Depth=2
	s_delay_alu instid0(VALU_DEP_2) | instskip(SKIP_2) | instid1(VALU_DEP_2)
	v_cmp_lt_u64_e32 vcc_lo, 0xffffff, v[64:65]
	v_add_nc_u32_e32 v19, 15, v21
	v_cndmask_b32_e64 v21, 0, 1, vcc_lo
	v_cndmask_b32_e32 v19, v23, v19, vcc_lo
	s_delay_alu instid0(VALU_DEP_2)
	v_lshrrev_b64 v[56:57], v21, v[64:65]
; %bb.2333:                             ;   in Loop: Header=BB4_1998 Depth=2
	s_and_not1_saveexec_b32 s10, s10
; %bb.2334:                             ;   in Loop: Header=BB4_1998 Depth=2
	v_mov_b64_e32 v[56:57], v[64:65]
	v_bfe_u32 v19, v64, 23, 1
; %bb.2335:                             ;   in Loop: Header=BB4_1998 Depth=2
	s_or_b32 exec_lo, exec_lo, s10
	s_delay_alu instid0(VALU_DEP_2) | instskip(NEXT) | instid1(VALU_DEP_2)
	v_lshrrev_b64 v[82:83], 21, v[56:57]
	v_cmp_gt_i32_e32 vcc_lo, 32, v19
	v_cmp_ne_u32_e64 s10, 0, v19
	s_delay_alu instid0(VALU_DEP_3) | instskip(NEXT) | instid1(VALU_DEP_1)
	v_dual_cndmask_b32 v57, 0, v83 :: v_dual_cndmask_b32 v56, 3, v82
	v_cmp_ne_u64_e32 vcc_lo, 0, v[56:57]
                                        ; implicit-def: $vgpr57
	s_or_b32 s10, s10, vcc_lo
	s_delay_alu instid0(SALU_CYCLE_1) | instskip(NEXT) | instid1(SALU_CYCLE_1)
	s_and_saveexec_b32 s29, s10
	s_xor_b32 s10, exec_lo, s29
; %bb.2336:                             ;   in Loop: Header=BB4_1998 Depth=2
	v_min_i32_e32 v19, 31, v19
	s_delay_alu instid0(VALU_DEP_1) | instskip(NEXT) | instid1(VALU_DEP_1)
	v_lshl_or_b32 v17, v19, 2, v17
	v_and_or_b32 v57, v56, 3, v17
                                        ; implicit-def: $vgpr17
; %bb.2337:                             ;   in Loop: Header=BB4_1998 Depth=2
	s_and_not1_saveexec_b32 s10, s10
; %bb.2338:                             ;   in Loop: Header=BB4_1998 Depth=2
	v_mov_b32_e32 v57, v17
; %bb.2339:                             ;   in Loop: Header=BB4_1998 Depth=2
	s_or_b32 exec_lo, exec_lo, s10
.LBB4_2340:                             ;   in Loop: Header=BB4_1998 Depth=2
	s_delay_alu instid0(SALU_CYCLE_1)
	s_or_b32 exec_lo, exec_lo, s28
                                        ; implicit-def: $vgpr17
.LBB4_2341:                             ;   in Loop: Header=BB4_1998 Depth=2
	s_and_not1_saveexec_b32 s10, s27
; %bb.2342:                             ;   in Loop: Header=BB4_1998 Depth=2
	v_or_b32_e32 v57, 0x7b, v17
; %bb.2343:                             ;   in Loop: Header=BB4_1998 Depth=2
	s_or_b32 exec_lo, exec_lo, s10
                                        ; implicit-def: $vgpr19
.LBB4_2344:                             ;   in Loop: Header=BB4_1998 Depth=2
	s_and_not1_saveexec_b32 s10, s26
	s_cbranch_execz .LBB4_2350
; %bb.2345:                             ;   in Loop: Header=BB4_1998 Depth=2
	s_mov_b32 s26, exec_lo
                                        ; implicit-def: $vgpr57
	v_cmpx_ne_u64_e32 0, v[64:65]
	s_xor_b32 s26, exec_lo, s26
; %bb.2346:                             ;   in Loop: Header=BB4_1998 Depth=2
	v_lshrrev_b32_e32 v17, 24, v19
                                        ; implicit-def: $vgpr19
	s_delay_alu instid0(VALU_DEP_1)
	v_or_b32_e32 v57, 0x7f, v17
; %bb.2347:                             ;   in Loop: Header=BB4_1998 Depth=2
	s_and_not1_saveexec_b32 s26, s26
; %bb.2348:                             ;   in Loop: Header=BB4_1998 Depth=2
	v_cmp_lt_i32_e32 vcc_lo, -1, v19
	v_cndmask_b32_e64 v57, -4, 0x7c, vcc_lo
; %bb.2349:                             ;   in Loop: Header=BB4_1998 Depth=2
	s_or_b32 exec_lo, exec_lo, s26
.LBB4_2350:                             ;   in Loop: Header=BB4_1998 Depth=2
	s_delay_alu instid0(SALU_CYCLE_1)
	s_or_b32 exec_lo, exec_lo, s10
	v_dual_mov_b32 v17, 0 :: v_dual_mov_b32 v19, 0
	s_mov_b32 s10, exec_lo
	v_cmpx_ne_u16_e32 0, v46
	s_cbranch_execz .LBB4_2360
; %bb.2351:                             ;   in Loop: Header=BB4_1998 Depth=2
	v_bfrev_b32_e32 v19, 1
	s_mov_b32 s26, exec_lo
	v_cmpx_ne_u16_e32 0xff80, v46
	s_cbranch_execz .LBB4_2359
; %bb.2352:                             ;   in Loop: Header=BB4_1998 Depth=2
	v_and_b32_e32 v19, 0x7c, v46
	v_and_b32_e32 v21, 3, v46
	s_delay_alu instid0(VALU_DEP_2) | instskip(SKIP_1) | instid1(SALU_CYCLE_1)
	v_cmp_ne_u32_e32 vcc_lo, 0x7c, v19
                                        ; implicit-def: $vgpr19
	s_and_saveexec_b32 s27, vcc_lo
	s_xor_b32 s27, exec_lo, s27
	s_cbranch_execz .LBB4_2356
; %bb.2353:                             ;   in Loop: Header=BB4_1998 Depth=2
	v_and_b32_e32 v19, 0xff, v46
	s_mov_b32 s28, exec_lo
	s_delay_alu instid0(VALU_DEP_1) | instskip(NEXT) | instid1(VALU_DEP_1)
	v_bfe_u32 v19, v19, 2, 5
	v_cmpx_eq_u32_e32 0, v19
	s_cbranch_execz .LBB4_2355
; %bb.2354:                             ;   in Loop: Header=BB4_1998 Depth=2
	v_clz_i32_u32_e32 v19, v21
	s_delay_alu instid0(VALU_DEP_1) | instskip(SKIP_1) | instid1(VALU_DEP_2)
	v_min_u32_e32 v19, 32, v19
	v_mov_b32_e32 v47, v65
	v_subrev_nc_u32_e32 v21, 29, v19
	v_sub_nc_u32_e32 v19, 30, v19
	s_delay_alu instid0(VALU_DEP_2) | instskip(NEXT) | instid1(VALU_DEP_1)
	v_lshlrev_b64_e32 v[82:83], v21, v[46:47]
	v_and_b32_e32 v21, 3, v82
.LBB4_2355:                             ;   in Loop: Header=BB4_1998 Depth=2
	s_or_b32 exec_lo, exec_lo, s28
	v_bfe_i32 v23, v46, 0, 16
                                        ; implicit-def: $vgpr46
	s_delay_alu instid0(VALU_DEP_1) | instskip(NEXT) | instid1(VALU_DEP_1)
	v_and_b32_e32 v23, 0x80000000, v23
	v_lshl_add_u32 v19, v19, 23, v23
	s_delay_alu instid0(VALU_DEP_1) | instskip(NEXT) | instid1(VALU_DEP_1)
	v_lshl_or_b32 v19, v21, 21, v19
                                        ; implicit-def: $vgpr21
	v_add_nc_u32_e32 v19, 0x38000000, v19
.LBB4_2356:                             ;   in Loop: Header=BB4_1998 Depth=2
	s_and_not1_saveexec_b32 s27, s27
; %bb.2357:                             ;   in Loop: Header=BB4_1998 Depth=2
	v_cmp_lt_i16_e32 vcc_lo, -1, v46
	v_cndmask_b32_e32 v19, 0xff800000, v126, vcc_lo
	v_cmp_eq_u32_e32 vcc_lo, 0, v21
	s_delay_alu instid0(VALU_DEP_2)
	v_cndmask_b32_e32 v19, 0x7f800001, v19, vcc_lo
; %bb.2358:                             ;   in Loop: Header=BB4_1998 Depth=2
	s_or_b32 exec_lo, exec_lo, s27
.LBB4_2359:                             ;   in Loop: Header=BB4_1998 Depth=2
	s_delay_alu instid0(SALU_CYCLE_1)
	s_or_b32 exec_lo, exec_lo, s26
.LBB4_2360:                             ;   in Loop: Header=BB4_1998 Depth=2
	s_delay_alu instid0(SALU_CYCLE_1) | instskip(NEXT) | instid1(SALU_CYCLE_1)
	s_or_b32 exec_lo, exec_lo, s10
	s_mov_b32 s10, exec_lo
	s_wait_loadcnt_dscnt 0x707
	v_cmpx_ne_u16_e32 0, v44
	s_cbranch_execz .LBB4_2370
; %bb.2361:                             ;   in Loop: Header=BB4_1998 Depth=2
	v_bfrev_b32_e32 v17, 1
	s_mov_b32 s26, exec_lo
	v_cmpx_ne_u16_e32 0xff80, v44
	s_cbranch_execz .LBB4_2369
; %bb.2362:                             ;   in Loop: Header=BB4_1998 Depth=2
	v_and_b32_e32 v17, 0x7c, v44
	v_and_b32_e32 v21, 3, v44
	s_delay_alu instid0(VALU_DEP_2) | instskip(SKIP_1) | instid1(SALU_CYCLE_1)
	v_cmp_ne_u32_e32 vcc_lo, 0x7c, v17
                                        ; implicit-def: $vgpr17
	s_and_saveexec_b32 s27, vcc_lo
	s_xor_b32 s27, exec_lo, s27
	s_cbranch_execz .LBB4_2366
; %bb.2363:                             ;   in Loop: Header=BB4_1998 Depth=2
	v_and_b32_e32 v17, 0xff, v44
	s_mov_b32 s28, exec_lo
	s_delay_alu instid0(VALU_DEP_1) | instskip(NEXT) | instid1(VALU_DEP_1)
	v_bfe_u32 v17, v17, 2, 5
	v_cmpx_eq_u32_e32 0, v17
	s_cbranch_execz .LBB4_2365
; %bb.2364:                             ;   in Loop: Header=BB4_1998 Depth=2
	v_clz_i32_u32_e32 v17, v21
	s_delay_alu instid0(VALU_DEP_1) | instskip(SKIP_1) | instid1(VALU_DEP_2)
	v_min_u32_e32 v17, 32, v17
	v_mov_b32_e32 v45, v65
	v_subrev_nc_u32_e32 v21, 29, v17
	v_sub_nc_u32_e32 v17, 30, v17
	s_delay_alu instid0(VALU_DEP_2) | instskip(NEXT) | instid1(VALU_DEP_1)
	v_lshlrev_b64_e32 v[82:83], v21, v[44:45]
	v_and_b32_e32 v21, 3, v82
.LBB4_2365:                             ;   in Loop: Header=BB4_1998 Depth=2
	s_or_b32 exec_lo, exec_lo, s28
	v_bfe_i32 v23, v44, 0, 16
                                        ; implicit-def: $vgpr44
	s_delay_alu instid0(VALU_DEP_1) | instskip(NEXT) | instid1(VALU_DEP_1)
	v_and_b32_e32 v23, 0x80000000, v23
	v_lshl_add_u32 v17, v17, 23, v23
	s_delay_alu instid0(VALU_DEP_1) | instskip(NEXT) | instid1(VALU_DEP_1)
	v_lshl_or_b32 v17, v21, 21, v17
                                        ; implicit-def: $vgpr21
	v_add_nc_u32_e32 v17, 0x38000000, v17
.LBB4_2366:                             ;   in Loop: Header=BB4_1998 Depth=2
	s_and_not1_saveexec_b32 s27, s27
; %bb.2367:                             ;   in Loop: Header=BB4_1998 Depth=2
	v_cmp_lt_i16_e32 vcc_lo, -1, v44
	v_cndmask_b32_e32 v17, 0xff800000, v126, vcc_lo
	v_cmp_eq_u32_e32 vcc_lo, 0, v21
	s_delay_alu instid0(VALU_DEP_2)
	v_cndmask_b32_e32 v17, 0x7f800001, v17, vcc_lo
; %bb.2368:                             ;   in Loop: Header=BB4_1998 Depth=2
	s_or_b32 exec_lo, exec_lo, s27
.LBB4_2369:                             ;   in Loop: Header=BB4_1998 Depth=2
	s_delay_alu instid0(SALU_CYCLE_1)
	s_or_b32 exec_lo, exec_lo, s26
.LBB4_2370:                             ;   in Loop: Header=BB4_1998 Depth=2
	s_delay_alu instid0(SALU_CYCLE_1) | instskip(NEXT) | instid1(VALU_DEP_1)
	s_or_b32 exec_lo, exec_lo, s10
	v_dual_mul_f32 v19, v19, v17 :: v_dual_mov_b32 v83, v65
                                        ; implicit-def: $vgpr45
	s_mov_b32 s10, exec_lo
	s_delay_alu instid0(VALU_DEP_1) | instskip(SKIP_1) | instid1(VALU_DEP_2)
	v_and_b32_e32 v82, 0x7f800000, v19
	v_and_b32_e32 v64, 0x7fffff, v19
	v_cmpx_ne_u64_e32 0x7f800000, v[82:83]
	s_xor_b32 s26, exec_lo, s10
	s_cbranch_execz .LBB4_2388
; %bb.2371:                             ;   in Loop: Header=BB4_1998 Depth=2
	v_dual_mov_b32 v83, v65 :: v_dual_lshrrev_b32 v17, 24, v19
	v_and_b32_e32 v82, 0x7fffffff, v19
                                        ; implicit-def: $vgpr45
	s_mov_b32 s10, exec_lo
	s_delay_alu instid0(VALU_DEP_2) | instskip(NEXT) | instid1(VALU_DEP_2)
	v_and_b32_e32 v17, 0x80, v17
	v_cmpx_gt_u64_e32 0x47600001, v[82:83]
	s_xor_b32 s27, exec_lo, s10
	s_cbranch_execz .LBB4_2385
; %bb.2372:                             ;   in Loop: Header=BB4_1998 Depth=2
	v_mov_b32_e32 v45, 0
	s_mov_b32 s28, exec_lo
	v_cmpx_ne_u32_e32 0, v19
	s_cbranch_execz .LBB4_2384
; %bb.2373:                             ;   in Loop: Header=BB4_1998 Depth=2
	v_bfe_u32 v19, v19, 23, 8
	v_or_b32_e32 v25, 0x800000, v64
	s_delay_alu instid0(VALU_DEP_2) | instskip(SKIP_1) | instid1(VALU_DEP_2)
	v_sub_nc_u32_e32 v21, 0x71, v19
	v_cmp_gt_u32_e32 vcc_lo, 0x72, v19
	v_cndmask_b32_e32 v21, 0, v21, vcc_lo
	v_cmp_eq_u32_e32 vcc_lo, 0, v19
	s_delay_alu instid0(VALU_DEP_2) | instskip(NEXT) | instid1(VALU_DEP_1)
	v_cndmask_b32_e64 v21, v21, 0x70, vcc_lo
	v_dual_cndmask_b32 v64, v25, v64 :: v_dual_add_nc_u32 v23, 21, v21
	s_delay_alu instid0(VALU_DEP_1) | instskip(NEXT) | instid1(VALU_DEP_2)
	v_lshrrev_b64 v[44:45], v21, v[64:65]
	v_lshlrev_b64_e64 v[82:83], v23, -1
	v_add_nc_u32_e32 v23, 20, v21
	s_delay_alu instid0(VALU_DEP_1) | instskip(NEXT) | instid1(VALU_DEP_3)
	v_lshlrev_b64_e64 v[46:47], v23, 1
	v_bfi_b32 v83, v83, 0, 0
	s_delay_alu instid0(VALU_DEP_4) | instskip(NEXT) | instid1(VALU_DEP_1)
	v_bfi_b32 v82, v82, 0, v64
	v_cmp_eq_u64_e64 s10, v[82:83], v[46:47]
	v_mov_b64_e32 v[46:47], v[44:45]
	s_and_saveexec_b32 s29, s10
; %bb.2374:                             ;   in Loop: Header=BB4_1998 Depth=2
	v_bfe_u32 v64, v44, 21, 1
	s_delay_alu instid0(VALU_DEP_1) | instskip(NEXT) | instid1(VALU_DEP_1)
	v_add_nc_u64_e32 v[82:83], v[44:45], v[64:65]
	v_add_nc_u64_e32 v[46:47], -1, v[82:83]
; %bb.2375:                             ;   in Loop: Header=BB4_1998 Depth=2
	s_or_b32 exec_lo, exec_lo, s29
	v_add_nc_u32_e32 v19, 0xffffff81, v19
	v_lshrrev_b32_e32 v23, 23, v44
	s_mov_b32 s10, exec_lo
	s_delay_alu instid0(VALU_DEP_2) | instskip(NEXT) | instid1(VALU_DEP_1)
	v_cndmask_b32_e64 v19, v19, 0xffffff82, vcc_lo
	v_add3_u32 v21, v21, v19, v23
	v_and_b32_e32 v19, 0x1fffff, v46
	s_delay_alu instid0(VALU_DEP_1) | instskip(NEXT) | instid1(VALU_DEP_1)
	v_dual_add_nc_u32 v23, 14, v21 :: v_dual_add_nc_u32 v64, v19, v44
                                        ; implicit-def: $vgpr44_vgpr45
                                        ; implicit-def: $vgpr19
	v_cmpx_ne_u32_e32 0, v23
	s_xor_b32 s10, exec_lo, s10
; %bb.2376:                             ;   in Loop: Header=BB4_1998 Depth=2
	s_delay_alu instid0(VALU_DEP_2) | instskip(SKIP_2) | instid1(VALU_DEP_2)
	v_cmp_lt_u64_e32 vcc_lo, 0xffffff, v[64:65]
	v_add_nc_u32_e32 v19, 15, v21
	v_cndmask_b32_e64 v21, 0, 1, vcc_lo
	v_cndmask_b32_e32 v19, v23, v19, vcc_lo
	s_delay_alu instid0(VALU_DEP_2)
	v_lshrrev_b64 v[44:45], v21, v[64:65]
; %bb.2377:                             ;   in Loop: Header=BB4_1998 Depth=2
	s_and_not1_saveexec_b32 s10, s10
; %bb.2378:                             ;   in Loop: Header=BB4_1998 Depth=2
	v_mov_b64_e32 v[44:45], v[64:65]
	v_bfe_u32 v19, v64, 23, 1
; %bb.2379:                             ;   in Loop: Header=BB4_1998 Depth=2
	s_or_b32 exec_lo, exec_lo, s10
	s_delay_alu instid0(VALU_DEP_2) | instskip(NEXT) | instid1(VALU_DEP_2)
	v_lshrrev_b64 v[82:83], 21, v[44:45]
	v_cmp_gt_i32_e32 vcc_lo, 32, v19
	v_cmp_ne_u32_e64 s10, 0, v19
	s_delay_alu instid0(VALU_DEP_3) | instskip(NEXT) | instid1(VALU_DEP_1)
	v_dual_cndmask_b32 v45, 0, v83 :: v_dual_cndmask_b32 v44, 3, v82
	v_cmp_ne_u64_e32 vcc_lo, 0, v[44:45]
                                        ; implicit-def: $vgpr45
	s_or_b32 s10, s10, vcc_lo
	s_delay_alu instid0(SALU_CYCLE_1) | instskip(NEXT) | instid1(SALU_CYCLE_1)
	s_and_saveexec_b32 s29, s10
	s_xor_b32 s10, exec_lo, s29
; %bb.2380:                             ;   in Loop: Header=BB4_1998 Depth=2
	v_min_i32_e32 v19, 31, v19
	s_delay_alu instid0(VALU_DEP_1) | instskip(NEXT) | instid1(VALU_DEP_1)
	v_lshl_or_b32 v17, v19, 2, v17
	v_and_or_b32 v45, v44, 3, v17
                                        ; implicit-def: $vgpr17
; %bb.2381:                             ;   in Loop: Header=BB4_1998 Depth=2
	s_and_not1_saveexec_b32 s10, s10
; %bb.2382:                             ;   in Loop: Header=BB4_1998 Depth=2
	v_mov_b32_e32 v45, v17
; %bb.2383:                             ;   in Loop: Header=BB4_1998 Depth=2
	s_or_b32 exec_lo, exec_lo, s10
.LBB4_2384:                             ;   in Loop: Header=BB4_1998 Depth=2
	s_delay_alu instid0(SALU_CYCLE_1)
	s_or_b32 exec_lo, exec_lo, s28
                                        ; implicit-def: $vgpr17
.LBB4_2385:                             ;   in Loop: Header=BB4_1998 Depth=2
	s_and_not1_saveexec_b32 s10, s27
; %bb.2386:                             ;   in Loop: Header=BB4_1998 Depth=2
	v_or_b32_e32 v45, 0x7b, v17
; %bb.2387:                             ;   in Loop: Header=BB4_1998 Depth=2
	s_or_b32 exec_lo, exec_lo, s10
                                        ; implicit-def: $vgpr19
.LBB4_2388:                             ;   in Loop: Header=BB4_1998 Depth=2
	s_and_not1_saveexec_b32 s10, s26
	s_cbranch_execz .LBB4_2394
; %bb.2389:                             ;   in Loop: Header=BB4_1998 Depth=2
	s_mov_b32 s26, exec_lo
                                        ; implicit-def: $vgpr45
	v_cmpx_ne_u64_e32 0, v[64:65]
	s_xor_b32 s26, exec_lo, s26
; %bb.2390:                             ;   in Loop: Header=BB4_1998 Depth=2
	v_lshrrev_b32_e32 v17, 24, v19
                                        ; implicit-def: $vgpr19
	s_delay_alu instid0(VALU_DEP_1)
	v_or_b32_e32 v45, 0x7f, v17
; %bb.2391:                             ;   in Loop: Header=BB4_1998 Depth=2
	s_and_not1_saveexec_b32 s26, s26
; %bb.2392:                             ;   in Loop: Header=BB4_1998 Depth=2
	v_cmp_lt_i32_e32 vcc_lo, -1, v19
	v_cndmask_b32_e64 v45, -4, 0x7c, vcc_lo
; %bb.2393:                             ;   in Loop: Header=BB4_1998 Depth=2
	s_or_b32 exec_lo, exec_lo, s26
.LBB4_2394:                             ;   in Loop: Header=BB4_1998 Depth=2
	s_delay_alu instid0(SALU_CYCLE_1)
	s_or_b32 exec_lo, exec_lo, s10
	v_dual_mov_b32 v17, 0 :: v_dual_mov_b32 v19, 0
	s_mov_b32 s10, exec_lo
	v_cmpx_ne_u16_e32 0, v42
	s_cbranch_execz .LBB4_2404
; %bb.2395:                             ;   in Loop: Header=BB4_1998 Depth=2
	v_bfrev_b32_e32 v19, 1
	s_mov_b32 s26, exec_lo
	v_cmpx_ne_u16_e32 0xff80, v42
	s_cbranch_execz .LBB4_2403
; %bb.2396:                             ;   in Loop: Header=BB4_1998 Depth=2
	v_and_b32_e32 v19, 0x7c, v42
	v_and_b32_e32 v21, 3, v42
	s_delay_alu instid0(VALU_DEP_2) | instskip(SKIP_1) | instid1(SALU_CYCLE_1)
	v_cmp_ne_u32_e32 vcc_lo, 0x7c, v19
                                        ; implicit-def: $vgpr19
	s_and_saveexec_b32 s27, vcc_lo
	s_xor_b32 s27, exec_lo, s27
	s_cbranch_execz .LBB4_2400
; %bb.2397:                             ;   in Loop: Header=BB4_1998 Depth=2
	v_and_b32_e32 v19, 0xff, v42
	s_mov_b32 s28, exec_lo
	s_delay_alu instid0(VALU_DEP_1) | instskip(NEXT) | instid1(VALU_DEP_1)
	v_bfe_u32 v19, v19, 2, 5
	v_cmpx_eq_u32_e32 0, v19
	s_cbranch_execz .LBB4_2399
; %bb.2398:                             ;   in Loop: Header=BB4_1998 Depth=2
	v_clz_i32_u32_e32 v19, v21
	s_delay_alu instid0(VALU_DEP_1) | instskip(SKIP_1) | instid1(VALU_DEP_2)
	v_min_u32_e32 v19, 32, v19
	v_mov_b32_e32 v43, v65
	v_subrev_nc_u32_e32 v21, 29, v19
	v_sub_nc_u32_e32 v19, 30, v19
	s_delay_alu instid0(VALU_DEP_2) | instskip(NEXT) | instid1(VALU_DEP_1)
	v_lshlrev_b64_e32 v[82:83], v21, v[42:43]
	v_and_b32_e32 v21, 3, v82
.LBB4_2399:                             ;   in Loop: Header=BB4_1998 Depth=2
	s_or_b32 exec_lo, exec_lo, s28
	v_bfe_i32 v23, v42, 0, 16
                                        ; implicit-def: $vgpr42
	s_delay_alu instid0(VALU_DEP_1) | instskip(NEXT) | instid1(VALU_DEP_1)
	v_and_b32_e32 v23, 0x80000000, v23
	v_lshl_add_u32 v19, v19, 23, v23
	s_delay_alu instid0(VALU_DEP_1) | instskip(NEXT) | instid1(VALU_DEP_1)
	v_lshl_or_b32 v19, v21, 21, v19
                                        ; implicit-def: $vgpr21
	v_add_nc_u32_e32 v19, 0x38000000, v19
.LBB4_2400:                             ;   in Loop: Header=BB4_1998 Depth=2
	s_and_not1_saveexec_b32 s27, s27
; %bb.2401:                             ;   in Loop: Header=BB4_1998 Depth=2
	v_cmp_lt_i16_e32 vcc_lo, -1, v42
	v_cndmask_b32_e32 v19, 0xff800000, v126, vcc_lo
	v_cmp_eq_u32_e32 vcc_lo, 0, v21
	s_delay_alu instid0(VALU_DEP_2)
	v_cndmask_b32_e32 v19, 0x7f800001, v19, vcc_lo
; %bb.2402:                             ;   in Loop: Header=BB4_1998 Depth=2
	s_or_b32 exec_lo, exec_lo, s27
.LBB4_2403:                             ;   in Loop: Header=BB4_1998 Depth=2
	s_delay_alu instid0(SALU_CYCLE_1)
	s_or_b32 exec_lo, exec_lo, s26
.LBB4_2404:                             ;   in Loop: Header=BB4_1998 Depth=2
	s_delay_alu instid0(SALU_CYCLE_1) | instskip(NEXT) | instid1(SALU_CYCLE_1)
	s_or_b32 exec_lo, exec_lo, s10
	s_mov_b32 s10, exec_lo
	s_wait_loadcnt_dscnt 0x606
	v_cmpx_ne_u16_e32 0, v40
	s_cbranch_execz .LBB4_2414
; %bb.2405:                             ;   in Loop: Header=BB4_1998 Depth=2
	v_bfrev_b32_e32 v17, 1
	s_mov_b32 s26, exec_lo
	v_cmpx_ne_u16_e32 0xff80, v40
	s_cbranch_execz .LBB4_2413
; %bb.2406:                             ;   in Loop: Header=BB4_1998 Depth=2
	v_and_b32_e32 v17, 0x7c, v40
	v_and_b32_e32 v21, 3, v40
	s_delay_alu instid0(VALU_DEP_2) | instskip(SKIP_1) | instid1(SALU_CYCLE_1)
	v_cmp_ne_u32_e32 vcc_lo, 0x7c, v17
                                        ; implicit-def: $vgpr17
	s_and_saveexec_b32 s27, vcc_lo
	s_xor_b32 s27, exec_lo, s27
	s_cbranch_execz .LBB4_2410
; %bb.2407:                             ;   in Loop: Header=BB4_1998 Depth=2
	v_and_b32_e32 v17, 0xff, v40
	s_mov_b32 s28, exec_lo
	s_delay_alu instid0(VALU_DEP_1) | instskip(NEXT) | instid1(VALU_DEP_1)
	v_bfe_u32 v17, v17, 2, 5
	v_cmpx_eq_u32_e32 0, v17
	s_cbranch_execz .LBB4_2409
; %bb.2408:                             ;   in Loop: Header=BB4_1998 Depth=2
	v_clz_i32_u32_e32 v17, v21
	s_delay_alu instid0(VALU_DEP_1) | instskip(SKIP_1) | instid1(VALU_DEP_2)
	v_min_u32_e32 v17, 32, v17
	v_mov_b32_e32 v41, v65
	v_subrev_nc_u32_e32 v21, 29, v17
	v_sub_nc_u32_e32 v17, 30, v17
	s_delay_alu instid0(VALU_DEP_2) | instskip(NEXT) | instid1(VALU_DEP_1)
	v_lshlrev_b64_e32 v[82:83], v21, v[40:41]
	v_and_b32_e32 v21, 3, v82
.LBB4_2409:                             ;   in Loop: Header=BB4_1998 Depth=2
	s_or_b32 exec_lo, exec_lo, s28
	v_bfe_i32 v23, v40, 0, 16
                                        ; implicit-def: $vgpr40
	s_delay_alu instid0(VALU_DEP_1) | instskip(NEXT) | instid1(VALU_DEP_1)
	v_and_b32_e32 v23, 0x80000000, v23
	v_lshl_add_u32 v17, v17, 23, v23
	s_delay_alu instid0(VALU_DEP_1) | instskip(NEXT) | instid1(VALU_DEP_1)
	v_lshl_or_b32 v17, v21, 21, v17
                                        ; implicit-def: $vgpr21
	v_add_nc_u32_e32 v17, 0x38000000, v17
.LBB4_2410:                             ;   in Loop: Header=BB4_1998 Depth=2
	s_and_not1_saveexec_b32 s27, s27
; %bb.2411:                             ;   in Loop: Header=BB4_1998 Depth=2
	v_cmp_lt_i16_e32 vcc_lo, -1, v40
	v_cndmask_b32_e32 v17, 0xff800000, v126, vcc_lo
	v_cmp_eq_u32_e32 vcc_lo, 0, v21
	s_delay_alu instid0(VALU_DEP_2)
	v_cndmask_b32_e32 v17, 0x7f800001, v17, vcc_lo
; %bb.2412:                             ;   in Loop: Header=BB4_1998 Depth=2
	s_or_b32 exec_lo, exec_lo, s27
.LBB4_2413:                             ;   in Loop: Header=BB4_1998 Depth=2
	s_delay_alu instid0(SALU_CYCLE_1)
	s_or_b32 exec_lo, exec_lo, s26
.LBB4_2414:                             ;   in Loop: Header=BB4_1998 Depth=2
	s_delay_alu instid0(SALU_CYCLE_1) | instskip(NEXT) | instid1(VALU_DEP_1)
	s_or_b32 exec_lo, exec_lo, s10
	v_dual_mul_f32 v19, v19, v17 :: v_dual_mov_b32 v83, v65
                                        ; implicit-def: $vgpr41
	s_mov_b32 s10, exec_lo
	s_delay_alu instid0(VALU_DEP_1) | instskip(SKIP_1) | instid1(VALU_DEP_2)
	v_and_b32_e32 v82, 0x7f800000, v19
	v_and_b32_e32 v64, 0x7fffff, v19
	v_cmpx_ne_u64_e32 0x7f800000, v[82:83]
	s_xor_b32 s26, exec_lo, s10
	s_cbranch_execz .LBB4_2432
; %bb.2415:                             ;   in Loop: Header=BB4_1998 Depth=2
	v_dual_mov_b32 v83, v65 :: v_dual_lshrrev_b32 v17, 24, v19
	v_and_b32_e32 v82, 0x7fffffff, v19
                                        ; implicit-def: $vgpr41
	s_mov_b32 s10, exec_lo
	s_delay_alu instid0(VALU_DEP_2) | instskip(NEXT) | instid1(VALU_DEP_2)
	v_and_b32_e32 v17, 0x80, v17
	v_cmpx_gt_u64_e32 0x47600001, v[82:83]
	s_xor_b32 s27, exec_lo, s10
	s_cbranch_execz .LBB4_2429
; %bb.2416:                             ;   in Loop: Header=BB4_1998 Depth=2
	v_mov_b32_e32 v41, 0
	s_mov_b32 s28, exec_lo
	v_cmpx_ne_u32_e32 0, v19
	s_cbranch_execz .LBB4_2428
; %bb.2417:                             ;   in Loop: Header=BB4_1998 Depth=2
	v_bfe_u32 v19, v19, 23, 8
	v_or_b32_e32 v25, 0x800000, v64
	s_delay_alu instid0(VALU_DEP_2) | instskip(SKIP_1) | instid1(VALU_DEP_2)
	v_sub_nc_u32_e32 v21, 0x71, v19
	v_cmp_gt_u32_e32 vcc_lo, 0x72, v19
	v_cndmask_b32_e32 v21, 0, v21, vcc_lo
	v_cmp_eq_u32_e32 vcc_lo, 0, v19
	s_delay_alu instid0(VALU_DEP_2) | instskip(NEXT) | instid1(VALU_DEP_1)
	v_cndmask_b32_e64 v21, v21, 0x70, vcc_lo
	v_dual_cndmask_b32 v64, v25, v64 :: v_dual_add_nc_u32 v23, 21, v21
	s_delay_alu instid0(VALU_DEP_1) | instskip(NEXT) | instid1(VALU_DEP_2)
	v_lshrrev_b64 v[40:41], v21, v[64:65]
	v_lshlrev_b64_e64 v[82:83], v23, -1
	v_add_nc_u32_e32 v23, 20, v21
	s_delay_alu instid0(VALU_DEP_1) | instskip(NEXT) | instid1(VALU_DEP_3)
	v_lshlrev_b64_e64 v[42:43], v23, 1
	v_bfi_b32 v83, v83, 0, 0
	s_delay_alu instid0(VALU_DEP_4) | instskip(NEXT) | instid1(VALU_DEP_1)
	v_bfi_b32 v82, v82, 0, v64
	v_cmp_eq_u64_e64 s10, v[82:83], v[42:43]
	v_mov_b64_e32 v[42:43], v[40:41]
	s_and_saveexec_b32 s29, s10
; %bb.2418:                             ;   in Loop: Header=BB4_1998 Depth=2
	v_bfe_u32 v64, v40, 21, 1
	s_delay_alu instid0(VALU_DEP_1) | instskip(NEXT) | instid1(VALU_DEP_1)
	v_add_nc_u64_e32 v[82:83], v[40:41], v[64:65]
	v_add_nc_u64_e32 v[42:43], -1, v[82:83]
; %bb.2419:                             ;   in Loop: Header=BB4_1998 Depth=2
	s_or_b32 exec_lo, exec_lo, s29
	v_add_nc_u32_e32 v19, 0xffffff81, v19
	v_lshrrev_b32_e32 v23, 23, v40
	s_mov_b32 s10, exec_lo
	s_delay_alu instid0(VALU_DEP_2) | instskip(NEXT) | instid1(VALU_DEP_1)
	v_cndmask_b32_e64 v19, v19, 0xffffff82, vcc_lo
	v_add3_u32 v21, v21, v19, v23
	v_and_b32_e32 v19, 0x1fffff, v42
	s_delay_alu instid0(VALU_DEP_1) | instskip(NEXT) | instid1(VALU_DEP_1)
	v_dual_add_nc_u32 v23, 14, v21 :: v_dual_add_nc_u32 v64, v19, v40
                                        ; implicit-def: $vgpr40_vgpr41
                                        ; implicit-def: $vgpr19
	v_cmpx_ne_u32_e32 0, v23
	s_xor_b32 s10, exec_lo, s10
; %bb.2420:                             ;   in Loop: Header=BB4_1998 Depth=2
	s_delay_alu instid0(VALU_DEP_2) | instskip(SKIP_2) | instid1(VALU_DEP_2)
	v_cmp_lt_u64_e32 vcc_lo, 0xffffff, v[64:65]
	v_add_nc_u32_e32 v19, 15, v21
	v_cndmask_b32_e64 v21, 0, 1, vcc_lo
	v_cndmask_b32_e32 v19, v23, v19, vcc_lo
	s_delay_alu instid0(VALU_DEP_2)
	v_lshrrev_b64 v[40:41], v21, v[64:65]
; %bb.2421:                             ;   in Loop: Header=BB4_1998 Depth=2
	s_and_not1_saveexec_b32 s10, s10
; %bb.2422:                             ;   in Loop: Header=BB4_1998 Depth=2
	v_mov_b64_e32 v[40:41], v[64:65]
	v_bfe_u32 v19, v64, 23, 1
; %bb.2423:                             ;   in Loop: Header=BB4_1998 Depth=2
	s_or_b32 exec_lo, exec_lo, s10
	s_delay_alu instid0(VALU_DEP_2) | instskip(NEXT) | instid1(VALU_DEP_2)
	v_lshrrev_b64 v[82:83], 21, v[40:41]
	v_cmp_gt_i32_e32 vcc_lo, 32, v19
	v_cmp_ne_u32_e64 s10, 0, v19
	s_delay_alu instid0(VALU_DEP_3) | instskip(NEXT) | instid1(VALU_DEP_1)
	v_dual_cndmask_b32 v41, 0, v83 :: v_dual_cndmask_b32 v40, 3, v82
	v_cmp_ne_u64_e32 vcc_lo, 0, v[40:41]
                                        ; implicit-def: $vgpr41
	s_or_b32 s10, s10, vcc_lo
	s_delay_alu instid0(SALU_CYCLE_1) | instskip(NEXT) | instid1(SALU_CYCLE_1)
	s_and_saveexec_b32 s29, s10
	s_xor_b32 s10, exec_lo, s29
; %bb.2424:                             ;   in Loop: Header=BB4_1998 Depth=2
	v_min_i32_e32 v19, 31, v19
	s_delay_alu instid0(VALU_DEP_1) | instskip(NEXT) | instid1(VALU_DEP_1)
	v_lshl_or_b32 v17, v19, 2, v17
	v_and_or_b32 v41, v40, 3, v17
                                        ; implicit-def: $vgpr17
; %bb.2425:                             ;   in Loop: Header=BB4_1998 Depth=2
	s_and_not1_saveexec_b32 s10, s10
; %bb.2426:                             ;   in Loop: Header=BB4_1998 Depth=2
	v_mov_b32_e32 v41, v17
; %bb.2427:                             ;   in Loop: Header=BB4_1998 Depth=2
	s_or_b32 exec_lo, exec_lo, s10
.LBB4_2428:                             ;   in Loop: Header=BB4_1998 Depth=2
	s_delay_alu instid0(SALU_CYCLE_1)
	s_or_b32 exec_lo, exec_lo, s28
                                        ; implicit-def: $vgpr17
.LBB4_2429:                             ;   in Loop: Header=BB4_1998 Depth=2
	s_and_not1_saveexec_b32 s10, s27
; %bb.2430:                             ;   in Loop: Header=BB4_1998 Depth=2
	v_or_b32_e32 v41, 0x7b, v17
; %bb.2431:                             ;   in Loop: Header=BB4_1998 Depth=2
	s_or_b32 exec_lo, exec_lo, s10
                                        ; implicit-def: $vgpr19
.LBB4_2432:                             ;   in Loop: Header=BB4_1998 Depth=2
	s_and_not1_saveexec_b32 s10, s26
	s_cbranch_execz .LBB4_2438
; %bb.2433:                             ;   in Loop: Header=BB4_1998 Depth=2
	s_mov_b32 s26, exec_lo
                                        ; implicit-def: $vgpr41
	v_cmpx_ne_u64_e32 0, v[64:65]
	s_xor_b32 s26, exec_lo, s26
; %bb.2434:                             ;   in Loop: Header=BB4_1998 Depth=2
	v_lshrrev_b32_e32 v17, 24, v19
                                        ; implicit-def: $vgpr19
	s_delay_alu instid0(VALU_DEP_1)
	v_or_b32_e32 v41, 0x7f, v17
; %bb.2435:                             ;   in Loop: Header=BB4_1998 Depth=2
	s_and_not1_saveexec_b32 s26, s26
; %bb.2436:                             ;   in Loop: Header=BB4_1998 Depth=2
	v_cmp_lt_i32_e32 vcc_lo, -1, v19
	v_cndmask_b32_e64 v41, -4, 0x7c, vcc_lo
; %bb.2437:                             ;   in Loop: Header=BB4_1998 Depth=2
	s_or_b32 exec_lo, exec_lo, s26
.LBB4_2438:                             ;   in Loop: Header=BB4_1998 Depth=2
	s_delay_alu instid0(SALU_CYCLE_1)
	s_or_b32 exec_lo, exec_lo, s10
	v_dual_mov_b32 v17, 0 :: v_dual_mov_b32 v19, 0
	s_mov_b32 s10, exec_lo
	v_cmpx_ne_u16_e32 0, v118
	s_cbranch_execz .LBB4_2448
; %bb.2439:                             ;   in Loop: Header=BB4_1998 Depth=2
	v_bfrev_b32_e32 v19, 1
	s_mov_b32 s26, exec_lo
	v_cmpx_ne_u16_e32 0xff80, v118
	s_cbranch_execz .LBB4_2447
; %bb.2440:                             ;   in Loop: Header=BB4_1998 Depth=2
	v_and_b32_e32 v19, 0x7c, v118
	v_and_b32_e32 v21, 3, v118
	s_delay_alu instid0(VALU_DEP_2) | instskip(SKIP_1) | instid1(SALU_CYCLE_1)
	v_cmp_ne_u32_e32 vcc_lo, 0x7c, v19
                                        ; implicit-def: $vgpr19
	s_and_saveexec_b32 s27, vcc_lo
	s_xor_b32 s27, exec_lo, s27
	s_cbranch_execz .LBB4_2444
; %bb.2441:                             ;   in Loop: Header=BB4_1998 Depth=2
	v_and_b32_e32 v19, 0xff, v118
	s_mov_b32 s28, exec_lo
	s_delay_alu instid0(VALU_DEP_1) | instskip(NEXT) | instid1(VALU_DEP_1)
	v_bfe_u32 v19, v19, 2, 5
	v_cmpx_eq_u32_e32 0, v19
	s_cbranch_execz .LBB4_2443
; %bb.2442:                             ;   in Loop: Header=BB4_1998 Depth=2
	v_clz_i32_u32_e32 v19, v21
	s_delay_alu instid0(VALU_DEP_1) | instskip(SKIP_1) | instid1(VALU_DEP_2)
	v_min_u32_e32 v19, 32, v19
	v_mov_b32_e32 v119, v65
	v_subrev_nc_u32_e32 v21, 29, v19
	v_sub_nc_u32_e32 v19, 30, v19
	s_delay_alu instid0(VALU_DEP_2) | instskip(NEXT) | instid1(VALU_DEP_1)
	v_lshlrev_b64_e32 v[82:83], v21, v[118:119]
	v_and_b32_e32 v21, 3, v82
.LBB4_2443:                             ;   in Loop: Header=BB4_1998 Depth=2
	s_or_b32 exec_lo, exec_lo, s28
	v_bfe_i32 v23, v118, 0, 16
                                        ; implicit-def: $vgpr118
	s_delay_alu instid0(VALU_DEP_1) | instskip(NEXT) | instid1(VALU_DEP_1)
	v_and_b32_e32 v23, 0x80000000, v23
	v_lshl_add_u32 v19, v19, 23, v23
	s_delay_alu instid0(VALU_DEP_1) | instskip(NEXT) | instid1(VALU_DEP_1)
	v_lshl_or_b32 v19, v21, 21, v19
                                        ; implicit-def: $vgpr21
	v_add_nc_u32_e32 v19, 0x38000000, v19
.LBB4_2444:                             ;   in Loop: Header=BB4_1998 Depth=2
	s_and_not1_saveexec_b32 s27, s27
; %bb.2445:                             ;   in Loop: Header=BB4_1998 Depth=2
	v_cmp_lt_i16_e32 vcc_lo, -1, v118
	v_cndmask_b32_e32 v19, 0xff800000, v126, vcc_lo
	v_cmp_eq_u32_e32 vcc_lo, 0, v21
	s_delay_alu instid0(VALU_DEP_2)
	v_cndmask_b32_e32 v19, 0x7f800001, v19, vcc_lo
; %bb.2446:                             ;   in Loop: Header=BB4_1998 Depth=2
	s_or_b32 exec_lo, exec_lo, s27
.LBB4_2447:                             ;   in Loop: Header=BB4_1998 Depth=2
	s_delay_alu instid0(SALU_CYCLE_1)
	s_or_b32 exec_lo, exec_lo, s26
.LBB4_2448:                             ;   in Loop: Header=BB4_1998 Depth=2
	s_delay_alu instid0(SALU_CYCLE_1) | instskip(NEXT) | instid1(SALU_CYCLE_1)
	s_or_b32 exec_lo, exec_lo, s10
	s_mov_b32 s10, exec_lo
	s_wait_loadcnt_dscnt 0x505
	v_cmpx_ne_u16_e32 0, v116
	s_cbranch_execz .LBB4_2458
; %bb.2449:                             ;   in Loop: Header=BB4_1998 Depth=2
	v_bfrev_b32_e32 v17, 1
	s_mov_b32 s26, exec_lo
	v_cmpx_ne_u16_e32 0xff80, v116
	s_cbranch_execz .LBB4_2457
; %bb.2450:                             ;   in Loop: Header=BB4_1998 Depth=2
	v_and_b32_e32 v17, 0x7c, v116
	v_and_b32_e32 v21, 3, v116
	s_delay_alu instid0(VALU_DEP_2) | instskip(SKIP_1) | instid1(SALU_CYCLE_1)
	v_cmp_ne_u32_e32 vcc_lo, 0x7c, v17
                                        ; implicit-def: $vgpr17
	s_and_saveexec_b32 s27, vcc_lo
	s_xor_b32 s27, exec_lo, s27
	s_cbranch_execz .LBB4_2454
; %bb.2451:                             ;   in Loop: Header=BB4_1998 Depth=2
	v_and_b32_e32 v17, 0xff, v116
	s_mov_b32 s28, exec_lo
	s_delay_alu instid0(VALU_DEP_1) | instskip(NEXT) | instid1(VALU_DEP_1)
	v_bfe_u32 v17, v17, 2, 5
	v_cmpx_eq_u32_e32 0, v17
	s_cbranch_execz .LBB4_2453
; %bb.2452:                             ;   in Loop: Header=BB4_1998 Depth=2
	v_clz_i32_u32_e32 v17, v21
	s_delay_alu instid0(VALU_DEP_1) | instskip(SKIP_1) | instid1(VALU_DEP_2)
	v_min_u32_e32 v17, 32, v17
	v_mov_b32_e32 v117, v65
	v_subrev_nc_u32_e32 v21, 29, v17
	v_sub_nc_u32_e32 v17, 30, v17
	s_delay_alu instid0(VALU_DEP_2) | instskip(NEXT) | instid1(VALU_DEP_1)
	v_lshlrev_b64_e32 v[82:83], v21, v[116:117]
	v_and_b32_e32 v21, 3, v82
.LBB4_2453:                             ;   in Loop: Header=BB4_1998 Depth=2
	s_or_b32 exec_lo, exec_lo, s28
	v_bfe_i32 v23, v116, 0, 16
                                        ; implicit-def: $vgpr116
	s_delay_alu instid0(VALU_DEP_1) | instskip(NEXT) | instid1(VALU_DEP_1)
	v_and_b32_e32 v23, 0x80000000, v23
	v_lshl_add_u32 v17, v17, 23, v23
	s_delay_alu instid0(VALU_DEP_1) | instskip(NEXT) | instid1(VALU_DEP_1)
	v_lshl_or_b32 v17, v21, 21, v17
                                        ; implicit-def: $vgpr21
	v_add_nc_u32_e32 v17, 0x38000000, v17
.LBB4_2454:                             ;   in Loop: Header=BB4_1998 Depth=2
	s_and_not1_saveexec_b32 s27, s27
; %bb.2455:                             ;   in Loop: Header=BB4_1998 Depth=2
	v_cmp_lt_i16_e32 vcc_lo, -1, v116
	v_cndmask_b32_e32 v17, 0xff800000, v126, vcc_lo
	v_cmp_eq_u32_e32 vcc_lo, 0, v21
	s_delay_alu instid0(VALU_DEP_2)
	v_cndmask_b32_e32 v17, 0x7f800001, v17, vcc_lo
; %bb.2456:                             ;   in Loop: Header=BB4_1998 Depth=2
	s_or_b32 exec_lo, exec_lo, s27
.LBB4_2457:                             ;   in Loop: Header=BB4_1998 Depth=2
	s_delay_alu instid0(SALU_CYCLE_1)
	s_or_b32 exec_lo, exec_lo, s26
.LBB4_2458:                             ;   in Loop: Header=BB4_1998 Depth=2
	s_delay_alu instid0(SALU_CYCLE_1) | instskip(NEXT) | instid1(VALU_DEP_1)
	s_or_b32 exec_lo, exec_lo, s10
	v_dual_mul_f32 v19, v19, v17 :: v_dual_mov_b32 v83, v65
                                        ; implicit-def: $vgpr117
	s_mov_b32 s10, exec_lo
	s_delay_alu instid0(VALU_DEP_1) | instskip(SKIP_1) | instid1(VALU_DEP_2)
	v_and_b32_e32 v82, 0x7f800000, v19
	v_and_b32_e32 v64, 0x7fffff, v19
	v_cmpx_ne_u64_e32 0x7f800000, v[82:83]
	s_xor_b32 s26, exec_lo, s10
	s_cbranch_execz .LBB4_2476
; %bb.2459:                             ;   in Loop: Header=BB4_1998 Depth=2
	v_dual_mov_b32 v83, v65 :: v_dual_lshrrev_b32 v17, 24, v19
	v_and_b32_e32 v82, 0x7fffffff, v19
                                        ; implicit-def: $vgpr117
	s_mov_b32 s10, exec_lo
	s_delay_alu instid0(VALU_DEP_2) | instskip(NEXT) | instid1(VALU_DEP_2)
	v_and_b32_e32 v17, 0x80, v17
	v_cmpx_gt_u64_e32 0x47600001, v[82:83]
	s_xor_b32 s27, exec_lo, s10
	s_cbranch_execz .LBB4_2473
; %bb.2460:                             ;   in Loop: Header=BB4_1998 Depth=2
	v_mov_b32_e32 v117, 0
	s_mov_b32 s28, exec_lo
	v_cmpx_ne_u32_e32 0, v19
	s_cbranch_execz .LBB4_2472
; %bb.2461:                             ;   in Loop: Header=BB4_1998 Depth=2
	v_bfe_u32 v19, v19, 23, 8
	v_or_b32_e32 v25, 0x800000, v64
	s_delay_alu instid0(VALU_DEP_2) | instskip(SKIP_1) | instid1(VALU_DEP_2)
	v_sub_nc_u32_e32 v21, 0x71, v19
	v_cmp_gt_u32_e32 vcc_lo, 0x72, v19
	v_cndmask_b32_e32 v21, 0, v21, vcc_lo
	v_cmp_eq_u32_e32 vcc_lo, 0, v19
	s_delay_alu instid0(VALU_DEP_2) | instskip(NEXT) | instid1(VALU_DEP_1)
	v_cndmask_b32_e64 v21, v21, 0x70, vcc_lo
	v_dual_cndmask_b32 v64, v25, v64 :: v_dual_add_nc_u32 v23, 21, v21
	s_delay_alu instid0(VALU_DEP_1) | instskip(NEXT) | instid1(VALU_DEP_2)
	v_lshrrev_b64 v[116:117], v21, v[64:65]
	v_lshlrev_b64_e64 v[82:83], v23, -1
	v_add_nc_u32_e32 v23, 20, v21
	s_delay_alu instid0(VALU_DEP_1) | instskip(NEXT) | instid1(VALU_DEP_3)
	v_lshlrev_b64_e64 v[118:119], v23, 1
	v_bfi_b32 v83, v83, 0, 0
	s_delay_alu instid0(VALU_DEP_4) | instskip(NEXT) | instid1(VALU_DEP_1)
	v_bfi_b32 v82, v82, 0, v64
	v_cmp_eq_u64_e64 s10, v[82:83], v[118:119]
	v_mov_b64_e32 v[118:119], v[116:117]
	s_and_saveexec_b32 s29, s10
; %bb.2462:                             ;   in Loop: Header=BB4_1998 Depth=2
	v_bfe_u32 v64, v116, 21, 1
	s_delay_alu instid0(VALU_DEP_1) | instskip(NEXT) | instid1(VALU_DEP_1)
	v_add_nc_u64_e32 v[82:83], v[116:117], v[64:65]
	v_add_nc_u64_e32 v[118:119], -1, v[82:83]
; %bb.2463:                             ;   in Loop: Header=BB4_1998 Depth=2
	s_or_b32 exec_lo, exec_lo, s29
	v_add_nc_u32_e32 v19, 0xffffff81, v19
	v_lshrrev_b32_e32 v23, 23, v116
	s_mov_b32 s10, exec_lo
	s_delay_alu instid0(VALU_DEP_2) | instskip(NEXT) | instid1(VALU_DEP_1)
	v_cndmask_b32_e64 v19, v19, 0xffffff82, vcc_lo
	v_add3_u32 v21, v21, v19, v23
	v_and_b32_e32 v19, 0x1fffff, v118
	s_delay_alu instid0(VALU_DEP_1) | instskip(NEXT) | instid1(VALU_DEP_1)
	v_dual_add_nc_u32 v23, 14, v21 :: v_dual_add_nc_u32 v64, v19, v116
                                        ; implicit-def: $vgpr116_vgpr117
                                        ; implicit-def: $vgpr19
	v_cmpx_ne_u32_e32 0, v23
	s_xor_b32 s10, exec_lo, s10
; %bb.2464:                             ;   in Loop: Header=BB4_1998 Depth=2
	s_delay_alu instid0(VALU_DEP_2) | instskip(SKIP_2) | instid1(VALU_DEP_2)
	v_cmp_lt_u64_e32 vcc_lo, 0xffffff, v[64:65]
	v_add_nc_u32_e32 v19, 15, v21
	v_cndmask_b32_e64 v21, 0, 1, vcc_lo
	v_cndmask_b32_e32 v19, v23, v19, vcc_lo
	s_delay_alu instid0(VALU_DEP_2)
	v_lshrrev_b64 v[116:117], v21, v[64:65]
; %bb.2465:                             ;   in Loop: Header=BB4_1998 Depth=2
	s_and_not1_saveexec_b32 s10, s10
; %bb.2466:                             ;   in Loop: Header=BB4_1998 Depth=2
	v_mov_b64_e32 v[116:117], v[64:65]
	v_bfe_u32 v19, v64, 23, 1
; %bb.2467:                             ;   in Loop: Header=BB4_1998 Depth=2
	s_or_b32 exec_lo, exec_lo, s10
	s_delay_alu instid0(VALU_DEP_2) | instskip(NEXT) | instid1(VALU_DEP_2)
	v_lshrrev_b64 v[82:83], 21, v[116:117]
	v_cmp_gt_i32_e32 vcc_lo, 32, v19
	v_cmp_ne_u32_e64 s10, 0, v19
	s_delay_alu instid0(VALU_DEP_3) | instskip(NEXT) | instid1(VALU_DEP_1)
	v_dual_cndmask_b32 v117, 0, v83 :: v_dual_cndmask_b32 v116, 3, v82
	v_cmp_ne_u64_e32 vcc_lo, 0, v[116:117]
                                        ; implicit-def: $vgpr117
	s_or_b32 s10, s10, vcc_lo
	s_delay_alu instid0(SALU_CYCLE_1) | instskip(NEXT) | instid1(SALU_CYCLE_1)
	s_and_saveexec_b32 s29, s10
	s_xor_b32 s10, exec_lo, s29
; %bb.2468:                             ;   in Loop: Header=BB4_1998 Depth=2
	v_min_i32_e32 v19, 31, v19
	s_delay_alu instid0(VALU_DEP_1) | instskip(NEXT) | instid1(VALU_DEP_1)
	v_lshl_or_b32 v17, v19, 2, v17
	v_and_or_b32 v117, v116, 3, v17
                                        ; implicit-def: $vgpr17
; %bb.2469:                             ;   in Loop: Header=BB4_1998 Depth=2
	s_and_not1_saveexec_b32 s10, s10
; %bb.2470:                             ;   in Loop: Header=BB4_1998 Depth=2
	v_mov_b32_e32 v117, v17
; %bb.2471:                             ;   in Loop: Header=BB4_1998 Depth=2
	s_or_b32 exec_lo, exec_lo, s10
.LBB4_2472:                             ;   in Loop: Header=BB4_1998 Depth=2
	s_delay_alu instid0(SALU_CYCLE_1)
	s_or_b32 exec_lo, exec_lo, s28
                                        ; implicit-def: $vgpr17
.LBB4_2473:                             ;   in Loop: Header=BB4_1998 Depth=2
	s_and_not1_saveexec_b32 s10, s27
; %bb.2474:                             ;   in Loop: Header=BB4_1998 Depth=2
	v_or_b32_e32 v117, 0x7b, v17
; %bb.2475:                             ;   in Loop: Header=BB4_1998 Depth=2
	s_or_b32 exec_lo, exec_lo, s10
                                        ; implicit-def: $vgpr19
.LBB4_2476:                             ;   in Loop: Header=BB4_1998 Depth=2
	s_and_not1_saveexec_b32 s10, s26
	s_cbranch_execz .LBB4_2482
; %bb.2477:                             ;   in Loop: Header=BB4_1998 Depth=2
	s_mov_b32 s26, exec_lo
                                        ; implicit-def: $vgpr117
	v_cmpx_ne_u64_e32 0, v[64:65]
	s_xor_b32 s26, exec_lo, s26
; %bb.2478:                             ;   in Loop: Header=BB4_1998 Depth=2
	v_lshrrev_b32_e32 v17, 24, v19
                                        ; implicit-def: $vgpr19
	s_delay_alu instid0(VALU_DEP_1)
	v_or_b32_e32 v117, 0x7f, v17
; %bb.2479:                             ;   in Loop: Header=BB4_1998 Depth=2
	s_and_not1_saveexec_b32 s26, s26
; %bb.2480:                             ;   in Loop: Header=BB4_1998 Depth=2
	v_cmp_lt_i32_e32 vcc_lo, -1, v19
	v_cndmask_b32_e64 v117, -4, 0x7c, vcc_lo
; %bb.2481:                             ;   in Loop: Header=BB4_1998 Depth=2
	s_or_b32 exec_lo, exec_lo, s26
.LBB4_2482:                             ;   in Loop: Header=BB4_1998 Depth=2
	s_delay_alu instid0(SALU_CYCLE_1)
	s_or_b32 exec_lo, exec_lo, s10
	v_dual_mov_b32 v17, 0 :: v_dual_mov_b32 v19, 0
	s_mov_b32 s10, exec_lo
	v_cmpx_ne_u16_e32 0, v114
	s_cbranch_execz .LBB4_2492
; %bb.2483:                             ;   in Loop: Header=BB4_1998 Depth=2
	v_bfrev_b32_e32 v19, 1
	s_mov_b32 s26, exec_lo
	v_cmpx_ne_u16_e32 0xff80, v114
	s_cbranch_execz .LBB4_2491
; %bb.2484:                             ;   in Loop: Header=BB4_1998 Depth=2
	v_and_b32_e32 v19, 0x7c, v114
	v_and_b32_e32 v21, 3, v114
	s_delay_alu instid0(VALU_DEP_2) | instskip(SKIP_1) | instid1(SALU_CYCLE_1)
	v_cmp_ne_u32_e32 vcc_lo, 0x7c, v19
                                        ; implicit-def: $vgpr19
	s_and_saveexec_b32 s27, vcc_lo
	s_xor_b32 s27, exec_lo, s27
	s_cbranch_execz .LBB4_2488
; %bb.2485:                             ;   in Loop: Header=BB4_1998 Depth=2
	v_and_b32_e32 v19, 0xff, v114
	s_mov_b32 s28, exec_lo
	s_delay_alu instid0(VALU_DEP_1) | instskip(NEXT) | instid1(VALU_DEP_1)
	v_bfe_u32 v19, v19, 2, 5
	v_cmpx_eq_u32_e32 0, v19
	s_cbranch_execz .LBB4_2487
; %bb.2486:                             ;   in Loop: Header=BB4_1998 Depth=2
	v_clz_i32_u32_e32 v19, v21
	s_delay_alu instid0(VALU_DEP_1) | instskip(SKIP_1) | instid1(VALU_DEP_2)
	v_min_u32_e32 v19, 32, v19
	v_mov_b32_e32 v115, v65
	v_subrev_nc_u32_e32 v21, 29, v19
	v_sub_nc_u32_e32 v19, 30, v19
	s_delay_alu instid0(VALU_DEP_2) | instskip(NEXT) | instid1(VALU_DEP_1)
	v_lshlrev_b64_e32 v[82:83], v21, v[114:115]
	v_and_b32_e32 v21, 3, v82
.LBB4_2487:                             ;   in Loop: Header=BB4_1998 Depth=2
	s_or_b32 exec_lo, exec_lo, s28
	v_bfe_i32 v23, v114, 0, 16
                                        ; implicit-def: $vgpr114
	s_delay_alu instid0(VALU_DEP_1) | instskip(NEXT) | instid1(VALU_DEP_1)
	v_and_b32_e32 v23, 0x80000000, v23
	v_lshl_add_u32 v19, v19, 23, v23
	s_delay_alu instid0(VALU_DEP_1) | instskip(NEXT) | instid1(VALU_DEP_1)
	v_lshl_or_b32 v19, v21, 21, v19
                                        ; implicit-def: $vgpr21
	v_add_nc_u32_e32 v19, 0x38000000, v19
.LBB4_2488:                             ;   in Loop: Header=BB4_1998 Depth=2
	s_and_not1_saveexec_b32 s27, s27
; %bb.2489:                             ;   in Loop: Header=BB4_1998 Depth=2
	v_cmp_lt_i16_e32 vcc_lo, -1, v114
	v_cndmask_b32_e32 v19, 0xff800000, v126, vcc_lo
	v_cmp_eq_u32_e32 vcc_lo, 0, v21
	s_delay_alu instid0(VALU_DEP_2)
	v_cndmask_b32_e32 v19, 0x7f800001, v19, vcc_lo
; %bb.2490:                             ;   in Loop: Header=BB4_1998 Depth=2
	s_or_b32 exec_lo, exec_lo, s27
.LBB4_2491:                             ;   in Loop: Header=BB4_1998 Depth=2
	s_delay_alu instid0(SALU_CYCLE_1)
	s_or_b32 exec_lo, exec_lo, s26
.LBB4_2492:                             ;   in Loop: Header=BB4_1998 Depth=2
	s_delay_alu instid0(SALU_CYCLE_1) | instskip(NEXT) | instid1(SALU_CYCLE_1)
	s_or_b32 exec_lo, exec_lo, s10
	s_mov_b32 s10, exec_lo
	s_wait_loadcnt_dscnt 0x404
	v_cmpx_ne_u16_e32 0, v112
	s_cbranch_execz .LBB4_2502
; %bb.2493:                             ;   in Loop: Header=BB4_1998 Depth=2
	v_bfrev_b32_e32 v17, 1
	s_mov_b32 s26, exec_lo
	v_cmpx_ne_u16_e32 0xff80, v112
	s_cbranch_execz .LBB4_2501
; %bb.2494:                             ;   in Loop: Header=BB4_1998 Depth=2
	v_and_b32_e32 v17, 0x7c, v112
	v_and_b32_e32 v21, 3, v112
	s_delay_alu instid0(VALU_DEP_2) | instskip(SKIP_1) | instid1(SALU_CYCLE_1)
	v_cmp_ne_u32_e32 vcc_lo, 0x7c, v17
                                        ; implicit-def: $vgpr17
	s_and_saveexec_b32 s27, vcc_lo
	s_xor_b32 s27, exec_lo, s27
	s_cbranch_execz .LBB4_2498
; %bb.2495:                             ;   in Loop: Header=BB4_1998 Depth=2
	v_and_b32_e32 v17, 0xff, v112
	s_mov_b32 s28, exec_lo
	s_delay_alu instid0(VALU_DEP_1) | instskip(NEXT) | instid1(VALU_DEP_1)
	v_bfe_u32 v17, v17, 2, 5
	v_cmpx_eq_u32_e32 0, v17
	s_cbranch_execz .LBB4_2497
; %bb.2496:                             ;   in Loop: Header=BB4_1998 Depth=2
	v_clz_i32_u32_e32 v17, v21
	s_delay_alu instid0(VALU_DEP_1) | instskip(SKIP_1) | instid1(VALU_DEP_2)
	v_min_u32_e32 v17, 32, v17
	v_mov_b32_e32 v113, v65
	v_subrev_nc_u32_e32 v21, 29, v17
	v_sub_nc_u32_e32 v17, 30, v17
	s_delay_alu instid0(VALU_DEP_2) | instskip(NEXT) | instid1(VALU_DEP_1)
	v_lshlrev_b64_e32 v[82:83], v21, v[112:113]
	v_and_b32_e32 v21, 3, v82
.LBB4_2497:                             ;   in Loop: Header=BB4_1998 Depth=2
	s_or_b32 exec_lo, exec_lo, s28
	v_bfe_i32 v23, v112, 0, 16
                                        ; implicit-def: $vgpr112
	s_delay_alu instid0(VALU_DEP_1) | instskip(NEXT) | instid1(VALU_DEP_1)
	v_and_b32_e32 v23, 0x80000000, v23
	v_lshl_add_u32 v17, v17, 23, v23
	s_delay_alu instid0(VALU_DEP_1) | instskip(NEXT) | instid1(VALU_DEP_1)
	v_lshl_or_b32 v17, v21, 21, v17
                                        ; implicit-def: $vgpr21
	v_add_nc_u32_e32 v17, 0x38000000, v17
.LBB4_2498:                             ;   in Loop: Header=BB4_1998 Depth=2
	s_and_not1_saveexec_b32 s27, s27
; %bb.2499:                             ;   in Loop: Header=BB4_1998 Depth=2
	v_cmp_lt_i16_e32 vcc_lo, -1, v112
	v_cndmask_b32_e32 v17, 0xff800000, v126, vcc_lo
	v_cmp_eq_u32_e32 vcc_lo, 0, v21
	s_delay_alu instid0(VALU_DEP_2)
	v_cndmask_b32_e32 v17, 0x7f800001, v17, vcc_lo
; %bb.2500:                             ;   in Loop: Header=BB4_1998 Depth=2
	s_or_b32 exec_lo, exec_lo, s27
.LBB4_2501:                             ;   in Loop: Header=BB4_1998 Depth=2
	s_delay_alu instid0(SALU_CYCLE_1)
	s_or_b32 exec_lo, exec_lo, s26
.LBB4_2502:                             ;   in Loop: Header=BB4_1998 Depth=2
	s_delay_alu instid0(SALU_CYCLE_1) | instskip(NEXT) | instid1(VALU_DEP_1)
	s_or_b32 exec_lo, exec_lo, s10
	v_dual_mul_f32 v19, v19, v17 :: v_dual_mov_b32 v83, v65
                                        ; implicit-def: $vgpr113
	s_mov_b32 s10, exec_lo
	s_delay_alu instid0(VALU_DEP_1) | instskip(SKIP_1) | instid1(VALU_DEP_2)
	v_and_b32_e32 v82, 0x7f800000, v19
	v_and_b32_e32 v64, 0x7fffff, v19
	v_cmpx_ne_u64_e32 0x7f800000, v[82:83]
	s_xor_b32 s26, exec_lo, s10
	s_cbranch_execz .LBB4_2520
; %bb.2503:                             ;   in Loop: Header=BB4_1998 Depth=2
	v_dual_mov_b32 v83, v65 :: v_dual_lshrrev_b32 v17, 24, v19
	v_and_b32_e32 v82, 0x7fffffff, v19
                                        ; implicit-def: $vgpr113
	s_mov_b32 s10, exec_lo
	s_delay_alu instid0(VALU_DEP_2) | instskip(NEXT) | instid1(VALU_DEP_2)
	v_and_b32_e32 v17, 0x80, v17
	v_cmpx_gt_u64_e32 0x47600001, v[82:83]
	s_xor_b32 s27, exec_lo, s10
	s_cbranch_execz .LBB4_2517
; %bb.2504:                             ;   in Loop: Header=BB4_1998 Depth=2
	v_mov_b32_e32 v113, 0
	s_mov_b32 s28, exec_lo
	v_cmpx_ne_u32_e32 0, v19
	s_cbranch_execz .LBB4_2516
; %bb.2505:                             ;   in Loop: Header=BB4_1998 Depth=2
	v_bfe_u32 v19, v19, 23, 8
	v_or_b32_e32 v25, 0x800000, v64
	s_delay_alu instid0(VALU_DEP_2) | instskip(SKIP_1) | instid1(VALU_DEP_2)
	v_sub_nc_u32_e32 v21, 0x71, v19
	v_cmp_gt_u32_e32 vcc_lo, 0x72, v19
	v_cndmask_b32_e32 v21, 0, v21, vcc_lo
	v_cmp_eq_u32_e32 vcc_lo, 0, v19
	s_delay_alu instid0(VALU_DEP_2) | instskip(NEXT) | instid1(VALU_DEP_1)
	v_cndmask_b32_e64 v21, v21, 0x70, vcc_lo
	v_dual_cndmask_b32 v64, v25, v64 :: v_dual_add_nc_u32 v23, 21, v21
	s_delay_alu instid0(VALU_DEP_1) | instskip(NEXT) | instid1(VALU_DEP_2)
	v_lshrrev_b64 v[112:113], v21, v[64:65]
	v_lshlrev_b64_e64 v[82:83], v23, -1
	v_add_nc_u32_e32 v23, 20, v21
	s_delay_alu instid0(VALU_DEP_1) | instskip(NEXT) | instid1(VALU_DEP_3)
	v_lshlrev_b64_e64 v[114:115], v23, 1
	v_bfi_b32 v83, v83, 0, 0
	s_delay_alu instid0(VALU_DEP_4) | instskip(NEXT) | instid1(VALU_DEP_1)
	v_bfi_b32 v82, v82, 0, v64
	v_cmp_eq_u64_e64 s10, v[82:83], v[114:115]
	v_mov_b64_e32 v[114:115], v[112:113]
	s_and_saveexec_b32 s29, s10
; %bb.2506:                             ;   in Loop: Header=BB4_1998 Depth=2
	v_bfe_u32 v64, v112, 21, 1
	s_delay_alu instid0(VALU_DEP_1) | instskip(NEXT) | instid1(VALU_DEP_1)
	v_add_nc_u64_e32 v[82:83], v[112:113], v[64:65]
	v_add_nc_u64_e32 v[114:115], -1, v[82:83]
; %bb.2507:                             ;   in Loop: Header=BB4_1998 Depth=2
	s_or_b32 exec_lo, exec_lo, s29
	v_add_nc_u32_e32 v19, 0xffffff81, v19
	v_lshrrev_b32_e32 v23, 23, v112
	s_mov_b32 s10, exec_lo
	s_delay_alu instid0(VALU_DEP_2) | instskip(NEXT) | instid1(VALU_DEP_1)
	v_cndmask_b32_e64 v19, v19, 0xffffff82, vcc_lo
	v_add3_u32 v21, v21, v19, v23
	v_and_b32_e32 v19, 0x1fffff, v114
	s_delay_alu instid0(VALU_DEP_1) | instskip(NEXT) | instid1(VALU_DEP_1)
	v_dual_add_nc_u32 v23, 14, v21 :: v_dual_add_nc_u32 v64, v19, v112
                                        ; implicit-def: $vgpr112_vgpr113
                                        ; implicit-def: $vgpr19
	v_cmpx_ne_u32_e32 0, v23
	s_xor_b32 s10, exec_lo, s10
; %bb.2508:                             ;   in Loop: Header=BB4_1998 Depth=2
	s_delay_alu instid0(VALU_DEP_2) | instskip(SKIP_2) | instid1(VALU_DEP_2)
	v_cmp_lt_u64_e32 vcc_lo, 0xffffff, v[64:65]
	v_add_nc_u32_e32 v19, 15, v21
	v_cndmask_b32_e64 v21, 0, 1, vcc_lo
	v_cndmask_b32_e32 v19, v23, v19, vcc_lo
	s_delay_alu instid0(VALU_DEP_2)
	v_lshrrev_b64 v[112:113], v21, v[64:65]
; %bb.2509:                             ;   in Loop: Header=BB4_1998 Depth=2
	s_and_not1_saveexec_b32 s10, s10
; %bb.2510:                             ;   in Loop: Header=BB4_1998 Depth=2
	v_mov_b64_e32 v[112:113], v[64:65]
	v_bfe_u32 v19, v64, 23, 1
; %bb.2511:                             ;   in Loop: Header=BB4_1998 Depth=2
	s_or_b32 exec_lo, exec_lo, s10
	s_delay_alu instid0(VALU_DEP_2) | instskip(NEXT) | instid1(VALU_DEP_2)
	v_lshrrev_b64 v[82:83], 21, v[112:113]
	v_cmp_gt_i32_e32 vcc_lo, 32, v19
	v_cmp_ne_u32_e64 s10, 0, v19
	s_delay_alu instid0(VALU_DEP_3) | instskip(NEXT) | instid1(VALU_DEP_1)
	v_dual_cndmask_b32 v113, 0, v83 :: v_dual_cndmask_b32 v112, 3, v82
	v_cmp_ne_u64_e32 vcc_lo, 0, v[112:113]
                                        ; implicit-def: $vgpr113
	s_or_b32 s10, s10, vcc_lo
	s_delay_alu instid0(SALU_CYCLE_1) | instskip(NEXT) | instid1(SALU_CYCLE_1)
	s_and_saveexec_b32 s29, s10
	s_xor_b32 s10, exec_lo, s29
; %bb.2512:                             ;   in Loop: Header=BB4_1998 Depth=2
	v_min_i32_e32 v19, 31, v19
	s_delay_alu instid0(VALU_DEP_1) | instskip(NEXT) | instid1(VALU_DEP_1)
	v_lshl_or_b32 v17, v19, 2, v17
	v_and_or_b32 v113, v112, 3, v17
                                        ; implicit-def: $vgpr17
; %bb.2513:                             ;   in Loop: Header=BB4_1998 Depth=2
	s_and_not1_saveexec_b32 s10, s10
; %bb.2514:                             ;   in Loop: Header=BB4_1998 Depth=2
	v_mov_b32_e32 v113, v17
; %bb.2515:                             ;   in Loop: Header=BB4_1998 Depth=2
	s_or_b32 exec_lo, exec_lo, s10
.LBB4_2516:                             ;   in Loop: Header=BB4_1998 Depth=2
	s_delay_alu instid0(SALU_CYCLE_1)
	s_or_b32 exec_lo, exec_lo, s28
                                        ; implicit-def: $vgpr17
.LBB4_2517:                             ;   in Loop: Header=BB4_1998 Depth=2
	s_and_not1_saveexec_b32 s10, s27
; %bb.2518:                             ;   in Loop: Header=BB4_1998 Depth=2
	v_or_b32_e32 v113, 0x7b, v17
; %bb.2519:                             ;   in Loop: Header=BB4_1998 Depth=2
	s_or_b32 exec_lo, exec_lo, s10
                                        ; implicit-def: $vgpr19
.LBB4_2520:                             ;   in Loop: Header=BB4_1998 Depth=2
	s_and_not1_saveexec_b32 s10, s26
	s_cbranch_execz .LBB4_2526
; %bb.2521:                             ;   in Loop: Header=BB4_1998 Depth=2
	s_mov_b32 s26, exec_lo
                                        ; implicit-def: $vgpr113
	v_cmpx_ne_u64_e32 0, v[64:65]
	s_xor_b32 s26, exec_lo, s26
; %bb.2522:                             ;   in Loop: Header=BB4_1998 Depth=2
	v_lshrrev_b32_e32 v17, 24, v19
                                        ; implicit-def: $vgpr19
	s_delay_alu instid0(VALU_DEP_1)
	v_or_b32_e32 v113, 0x7f, v17
; %bb.2523:                             ;   in Loop: Header=BB4_1998 Depth=2
	s_and_not1_saveexec_b32 s26, s26
; %bb.2524:                             ;   in Loop: Header=BB4_1998 Depth=2
	v_cmp_lt_i32_e32 vcc_lo, -1, v19
	v_cndmask_b32_e64 v113, -4, 0x7c, vcc_lo
; %bb.2525:                             ;   in Loop: Header=BB4_1998 Depth=2
	s_or_b32 exec_lo, exec_lo, s26
.LBB4_2526:                             ;   in Loop: Header=BB4_1998 Depth=2
	s_delay_alu instid0(SALU_CYCLE_1)
	s_or_b32 exec_lo, exec_lo, s10
	v_dual_mov_b32 v17, 0 :: v_dual_mov_b32 v19, 0
	s_mov_b32 s10, exec_lo
	v_cmpx_ne_u16_e32 0, v102
	s_cbranch_execz .LBB4_2536
; %bb.2527:                             ;   in Loop: Header=BB4_1998 Depth=2
	v_bfrev_b32_e32 v19, 1
	s_mov_b32 s26, exec_lo
	v_cmpx_ne_u16_e32 0xff80, v102
	s_cbranch_execz .LBB4_2535
; %bb.2528:                             ;   in Loop: Header=BB4_1998 Depth=2
	v_and_b32_e32 v19, 0x7c, v102
	v_and_b32_e32 v21, 3, v102
	s_delay_alu instid0(VALU_DEP_2) | instskip(SKIP_1) | instid1(SALU_CYCLE_1)
	v_cmp_ne_u32_e32 vcc_lo, 0x7c, v19
                                        ; implicit-def: $vgpr19
	s_and_saveexec_b32 s27, vcc_lo
	s_xor_b32 s27, exec_lo, s27
	s_cbranch_execz .LBB4_2532
; %bb.2529:                             ;   in Loop: Header=BB4_1998 Depth=2
	v_and_b32_e32 v19, 0xff, v102
	s_mov_b32 s28, exec_lo
	s_delay_alu instid0(VALU_DEP_1) | instskip(NEXT) | instid1(VALU_DEP_1)
	v_bfe_u32 v19, v19, 2, 5
	v_cmpx_eq_u32_e32 0, v19
	s_cbranch_execz .LBB4_2531
; %bb.2530:                             ;   in Loop: Header=BB4_1998 Depth=2
	v_clz_i32_u32_e32 v19, v21
	s_delay_alu instid0(VALU_DEP_1) | instskip(SKIP_1) | instid1(VALU_DEP_2)
	v_min_u32_e32 v19, 32, v19
	v_mov_b32_e32 v103, v65
	v_subrev_nc_u32_e32 v21, 29, v19
	v_sub_nc_u32_e32 v19, 30, v19
	s_delay_alu instid0(VALU_DEP_2) | instskip(NEXT) | instid1(VALU_DEP_1)
	v_lshlrev_b64_e32 v[82:83], v21, v[102:103]
	v_and_b32_e32 v21, 3, v82
.LBB4_2531:                             ;   in Loop: Header=BB4_1998 Depth=2
	s_or_b32 exec_lo, exec_lo, s28
	v_bfe_i32 v23, v102, 0, 16
                                        ; implicit-def: $vgpr102
	s_delay_alu instid0(VALU_DEP_1) | instskip(NEXT) | instid1(VALU_DEP_1)
	v_and_b32_e32 v23, 0x80000000, v23
	v_lshl_add_u32 v19, v19, 23, v23
	s_delay_alu instid0(VALU_DEP_1) | instskip(NEXT) | instid1(VALU_DEP_1)
	v_lshl_or_b32 v19, v21, 21, v19
                                        ; implicit-def: $vgpr21
	v_add_nc_u32_e32 v19, 0x38000000, v19
.LBB4_2532:                             ;   in Loop: Header=BB4_1998 Depth=2
	s_and_not1_saveexec_b32 s27, s27
; %bb.2533:                             ;   in Loop: Header=BB4_1998 Depth=2
	v_cmp_lt_i16_e32 vcc_lo, -1, v102
	v_cndmask_b32_e32 v19, 0xff800000, v126, vcc_lo
	v_cmp_eq_u32_e32 vcc_lo, 0, v21
	s_delay_alu instid0(VALU_DEP_2)
	v_cndmask_b32_e32 v19, 0x7f800001, v19, vcc_lo
; %bb.2534:                             ;   in Loop: Header=BB4_1998 Depth=2
	s_or_b32 exec_lo, exec_lo, s27
.LBB4_2535:                             ;   in Loop: Header=BB4_1998 Depth=2
	s_delay_alu instid0(SALU_CYCLE_1)
	s_or_b32 exec_lo, exec_lo, s26
.LBB4_2536:                             ;   in Loop: Header=BB4_1998 Depth=2
	s_delay_alu instid0(SALU_CYCLE_1) | instskip(NEXT) | instid1(SALU_CYCLE_1)
	s_or_b32 exec_lo, exec_lo, s10
	s_mov_b32 s10, exec_lo
	s_wait_loadcnt_dscnt 0x303
	v_cmpx_ne_u16_e32 0, v100
	s_cbranch_execz .LBB4_2546
; %bb.2537:                             ;   in Loop: Header=BB4_1998 Depth=2
	v_bfrev_b32_e32 v17, 1
	s_mov_b32 s26, exec_lo
	v_cmpx_ne_u16_e32 0xff80, v100
	s_cbranch_execz .LBB4_2545
; %bb.2538:                             ;   in Loop: Header=BB4_1998 Depth=2
	v_and_b32_e32 v17, 0x7c, v100
	v_and_b32_e32 v21, 3, v100
	s_delay_alu instid0(VALU_DEP_2) | instskip(SKIP_1) | instid1(SALU_CYCLE_1)
	v_cmp_ne_u32_e32 vcc_lo, 0x7c, v17
                                        ; implicit-def: $vgpr17
	s_and_saveexec_b32 s27, vcc_lo
	s_xor_b32 s27, exec_lo, s27
	s_cbranch_execz .LBB4_2542
; %bb.2539:                             ;   in Loop: Header=BB4_1998 Depth=2
	v_and_b32_e32 v17, 0xff, v100
	s_mov_b32 s28, exec_lo
	s_delay_alu instid0(VALU_DEP_1) | instskip(NEXT) | instid1(VALU_DEP_1)
	v_bfe_u32 v17, v17, 2, 5
	v_cmpx_eq_u32_e32 0, v17
	s_cbranch_execz .LBB4_2541
; %bb.2540:                             ;   in Loop: Header=BB4_1998 Depth=2
	v_clz_i32_u32_e32 v17, v21
	s_delay_alu instid0(VALU_DEP_1) | instskip(SKIP_1) | instid1(VALU_DEP_2)
	v_min_u32_e32 v17, 32, v17
	v_mov_b32_e32 v101, v65
	v_subrev_nc_u32_e32 v21, 29, v17
	v_sub_nc_u32_e32 v17, 30, v17
	s_delay_alu instid0(VALU_DEP_2) | instskip(NEXT) | instid1(VALU_DEP_1)
	v_lshlrev_b64_e32 v[82:83], v21, v[100:101]
	v_and_b32_e32 v21, 3, v82
.LBB4_2541:                             ;   in Loop: Header=BB4_1998 Depth=2
	s_or_b32 exec_lo, exec_lo, s28
	v_bfe_i32 v23, v100, 0, 16
                                        ; implicit-def: $vgpr100
	s_delay_alu instid0(VALU_DEP_1) | instskip(NEXT) | instid1(VALU_DEP_1)
	v_and_b32_e32 v23, 0x80000000, v23
	v_lshl_add_u32 v17, v17, 23, v23
	s_delay_alu instid0(VALU_DEP_1) | instskip(NEXT) | instid1(VALU_DEP_1)
	v_lshl_or_b32 v17, v21, 21, v17
                                        ; implicit-def: $vgpr21
	v_add_nc_u32_e32 v17, 0x38000000, v17
.LBB4_2542:                             ;   in Loop: Header=BB4_1998 Depth=2
	s_and_not1_saveexec_b32 s27, s27
; %bb.2543:                             ;   in Loop: Header=BB4_1998 Depth=2
	v_cmp_lt_i16_e32 vcc_lo, -1, v100
	v_cndmask_b32_e32 v17, 0xff800000, v126, vcc_lo
	v_cmp_eq_u32_e32 vcc_lo, 0, v21
	s_delay_alu instid0(VALU_DEP_2)
	v_cndmask_b32_e32 v17, 0x7f800001, v17, vcc_lo
; %bb.2544:                             ;   in Loop: Header=BB4_1998 Depth=2
	s_or_b32 exec_lo, exec_lo, s27
.LBB4_2545:                             ;   in Loop: Header=BB4_1998 Depth=2
	s_delay_alu instid0(SALU_CYCLE_1)
	s_or_b32 exec_lo, exec_lo, s26
.LBB4_2546:                             ;   in Loop: Header=BB4_1998 Depth=2
	s_delay_alu instid0(SALU_CYCLE_1) | instskip(NEXT) | instid1(VALU_DEP_1)
	s_or_b32 exec_lo, exec_lo, s10
	v_dual_mul_f32 v19, v19, v17 :: v_dual_mov_b32 v83, v65
                                        ; implicit-def: $vgpr101
	s_mov_b32 s10, exec_lo
	s_delay_alu instid0(VALU_DEP_1) | instskip(SKIP_1) | instid1(VALU_DEP_2)
	v_and_b32_e32 v82, 0x7f800000, v19
	v_and_b32_e32 v64, 0x7fffff, v19
	v_cmpx_ne_u64_e32 0x7f800000, v[82:83]
	s_xor_b32 s26, exec_lo, s10
	s_cbranch_execz .LBB4_2564
; %bb.2547:                             ;   in Loop: Header=BB4_1998 Depth=2
	v_dual_mov_b32 v83, v65 :: v_dual_lshrrev_b32 v17, 24, v19
	v_and_b32_e32 v82, 0x7fffffff, v19
                                        ; implicit-def: $vgpr101
	s_mov_b32 s10, exec_lo
	s_delay_alu instid0(VALU_DEP_2) | instskip(NEXT) | instid1(VALU_DEP_2)
	v_and_b32_e32 v17, 0x80, v17
	v_cmpx_gt_u64_e32 0x47600001, v[82:83]
	s_xor_b32 s27, exec_lo, s10
	s_cbranch_execz .LBB4_2561
; %bb.2548:                             ;   in Loop: Header=BB4_1998 Depth=2
	v_mov_b32_e32 v101, 0
	s_mov_b32 s28, exec_lo
	v_cmpx_ne_u32_e32 0, v19
	s_cbranch_execz .LBB4_2560
; %bb.2549:                             ;   in Loop: Header=BB4_1998 Depth=2
	v_bfe_u32 v19, v19, 23, 8
	v_or_b32_e32 v25, 0x800000, v64
	s_delay_alu instid0(VALU_DEP_2) | instskip(SKIP_1) | instid1(VALU_DEP_2)
	v_sub_nc_u32_e32 v21, 0x71, v19
	v_cmp_gt_u32_e32 vcc_lo, 0x72, v19
	v_cndmask_b32_e32 v21, 0, v21, vcc_lo
	v_cmp_eq_u32_e32 vcc_lo, 0, v19
	s_delay_alu instid0(VALU_DEP_2) | instskip(NEXT) | instid1(VALU_DEP_1)
	v_cndmask_b32_e64 v21, v21, 0x70, vcc_lo
	v_dual_cndmask_b32 v64, v25, v64 :: v_dual_add_nc_u32 v23, 21, v21
	s_delay_alu instid0(VALU_DEP_1) | instskip(NEXT) | instid1(VALU_DEP_2)
	v_lshrrev_b64 v[100:101], v21, v[64:65]
	v_lshlrev_b64_e64 v[82:83], v23, -1
	v_add_nc_u32_e32 v23, 20, v21
	s_delay_alu instid0(VALU_DEP_1) | instskip(NEXT) | instid1(VALU_DEP_3)
	v_lshlrev_b64_e64 v[102:103], v23, 1
	v_bfi_b32 v83, v83, 0, 0
	s_delay_alu instid0(VALU_DEP_4) | instskip(NEXT) | instid1(VALU_DEP_1)
	v_bfi_b32 v82, v82, 0, v64
	v_cmp_eq_u64_e64 s10, v[82:83], v[102:103]
	v_mov_b64_e32 v[102:103], v[100:101]
	s_and_saveexec_b32 s29, s10
; %bb.2550:                             ;   in Loop: Header=BB4_1998 Depth=2
	v_bfe_u32 v64, v100, 21, 1
	s_delay_alu instid0(VALU_DEP_1) | instskip(NEXT) | instid1(VALU_DEP_1)
	v_add_nc_u64_e32 v[82:83], v[100:101], v[64:65]
	v_add_nc_u64_e32 v[102:103], -1, v[82:83]
; %bb.2551:                             ;   in Loop: Header=BB4_1998 Depth=2
	s_or_b32 exec_lo, exec_lo, s29
	v_add_nc_u32_e32 v19, 0xffffff81, v19
	v_lshrrev_b32_e32 v23, 23, v100
	s_mov_b32 s10, exec_lo
	s_delay_alu instid0(VALU_DEP_2) | instskip(NEXT) | instid1(VALU_DEP_1)
	v_cndmask_b32_e64 v19, v19, 0xffffff82, vcc_lo
	v_add3_u32 v21, v21, v19, v23
	v_and_b32_e32 v19, 0x1fffff, v102
	s_delay_alu instid0(VALU_DEP_1) | instskip(NEXT) | instid1(VALU_DEP_1)
	v_dual_add_nc_u32 v23, 14, v21 :: v_dual_add_nc_u32 v64, v19, v100
                                        ; implicit-def: $vgpr100_vgpr101
                                        ; implicit-def: $vgpr19
	v_cmpx_ne_u32_e32 0, v23
	s_xor_b32 s10, exec_lo, s10
; %bb.2552:                             ;   in Loop: Header=BB4_1998 Depth=2
	s_delay_alu instid0(VALU_DEP_2) | instskip(SKIP_2) | instid1(VALU_DEP_2)
	v_cmp_lt_u64_e32 vcc_lo, 0xffffff, v[64:65]
	v_add_nc_u32_e32 v19, 15, v21
	v_cndmask_b32_e64 v21, 0, 1, vcc_lo
	v_cndmask_b32_e32 v19, v23, v19, vcc_lo
	s_delay_alu instid0(VALU_DEP_2)
	v_lshrrev_b64 v[100:101], v21, v[64:65]
; %bb.2553:                             ;   in Loop: Header=BB4_1998 Depth=2
	s_and_not1_saveexec_b32 s10, s10
; %bb.2554:                             ;   in Loop: Header=BB4_1998 Depth=2
	v_mov_b64_e32 v[100:101], v[64:65]
	v_bfe_u32 v19, v64, 23, 1
; %bb.2555:                             ;   in Loop: Header=BB4_1998 Depth=2
	s_or_b32 exec_lo, exec_lo, s10
	s_delay_alu instid0(VALU_DEP_2) | instskip(NEXT) | instid1(VALU_DEP_2)
	v_lshrrev_b64 v[82:83], 21, v[100:101]
	v_cmp_gt_i32_e32 vcc_lo, 32, v19
	v_cmp_ne_u32_e64 s10, 0, v19
	s_delay_alu instid0(VALU_DEP_3) | instskip(NEXT) | instid1(VALU_DEP_1)
	v_dual_cndmask_b32 v101, 0, v83 :: v_dual_cndmask_b32 v100, 3, v82
	v_cmp_ne_u64_e32 vcc_lo, 0, v[100:101]
                                        ; implicit-def: $vgpr101
	s_or_b32 s10, s10, vcc_lo
	s_delay_alu instid0(SALU_CYCLE_1) | instskip(NEXT) | instid1(SALU_CYCLE_1)
	s_and_saveexec_b32 s29, s10
	s_xor_b32 s10, exec_lo, s29
; %bb.2556:                             ;   in Loop: Header=BB4_1998 Depth=2
	v_min_i32_e32 v19, 31, v19
	s_delay_alu instid0(VALU_DEP_1) | instskip(NEXT) | instid1(VALU_DEP_1)
	v_lshl_or_b32 v17, v19, 2, v17
	v_and_or_b32 v101, v100, 3, v17
                                        ; implicit-def: $vgpr17
; %bb.2557:                             ;   in Loop: Header=BB4_1998 Depth=2
	s_and_not1_saveexec_b32 s10, s10
; %bb.2558:                             ;   in Loop: Header=BB4_1998 Depth=2
	v_mov_b32_e32 v101, v17
; %bb.2559:                             ;   in Loop: Header=BB4_1998 Depth=2
	s_or_b32 exec_lo, exec_lo, s10
.LBB4_2560:                             ;   in Loop: Header=BB4_1998 Depth=2
	s_delay_alu instid0(SALU_CYCLE_1)
	s_or_b32 exec_lo, exec_lo, s28
                                        ; implicit-def: $vgpr17
.LBB4_2561:                             ;   in Loop: Header=BB4_1998 Depth=2
	s_and_not1_saveexec_b32 s10, s27
; %bb.2562:                             ;   in Loop: Header=BB4_1998 Depth=2
	v_or_b32_e32 v101, 0x7b, v17
; %bb.2563:                             ;   in Loop: Header=BB4_1998 Depth=2
	s_or_b32 exec_lo, exec_lo, s10
                                        ; implicit-def: $vgpr19
.LBB4_2564:                             ;   in Loop: Header=BB4_1998 Depth=2
	s_and_not1_saveexec_b32 s10, s26
	s_cbranch_execz .LBB4_2570
; %bb.2565:                             ;   in Loop: Header=BB4_1998 Depth=2
	s_mov_b32 s26, exec_lo
                                        ; implicit-def: $vgpr101
	v_cmpx_ne_u64_e32 0, v[64:65]
	s_xor_b32 s26, exec_lo, s26
; %bb.2566:                             ;   in Loop: Header=BB4_1998 Depth=2
	v_lshrrev_b32_e32 v17, 24, v19
                                        ; implicit-def: $vgpr19
	s_delay_alu instid0(VALU_DEP_1)
	v_or_b32_e32 v101, 0x7f, v17
; %bb.2567:                             ;   in Loop: Header=BB4_1998 Depth=2
	s_and_not1_saveexec_b32 s26, s26
; %bb.2568:                             ;   in Loop: Header=BB4_1998 Depth=2
	v_cmp_lt_i32_e32 vcc_lo, -1, v19
	v_cndmask_b32_e64 v101, -4, 0x7c, vcc_lo
; %bb.2569:                             ;   in Loop: Header=BB4_1998 Depth=2
	s_or_b32 exec_lo, exec_lo, s26
.LBB4_2570:                             ;   in Loop: Header=BB4_1998 Depth=2
	s_delay_alu instid0(SALU_CYCLE_1)
	s_or_b32 exec_lo, exec_lo, s10
	v_dual_mov_b32 v17, 0 :: v_dual_mov_b32 v19, 0
	s_mov_b32 s10, exec_lo
	v_cmpx_ne_u16_e32 0, v98
	s_cbranch_execz .LBB4_2580
; %bb.2571:                             ;   in Loop: Header=BB4_1998 Depth=2
	v_bfrev_b32_e32 v19, 1
	s_mov_b32 s26, exec_lo
	v_cmpx_ne_u16_e32 0xff80, v98
	s_cbranch_execz .LBB4_2579
; %bb.2572:                             ;   in Loop: Header=BB4_1998 Depth=2
	v_and_b32_e32 v19, 0x7c, v98
	v_and_b32_e32 v21, 3, v98
	s_delay_alu instid0(VALU_DEP_2) | instskip(SKIP_1) | instid1(SALU_CYCLE_1)
	v_cmp_ne_u32_e32 vcc_lo, 0x7c, v19
                                        ; implicit-def: $vgpr19
	s_and_saveexec_b32 s27, vcc_lo
	s_xor_b32 s27, exec_lo, s27
	s_cbranch_execz .LBB4_2576
; %bb.2573:                             ;   in Loop: Header=BB4_1998 Depth=2
	v_and_b32_e32 v19, 0xff, v98
	s_mov_b32 s28, exec_lo
	s_delay_alu instid0(VALU_DEP_1) | instskip(NEXT) | instid1(VALU_DEP_1)
	v_bfe_u32 v19, v19, 2, 5
	v_cmpx_eq_u32_e32 0, v19
	s_cbranch_execz .LBB4_2575
; %bb.2574:                             ;   in Loop: Header=BB4_1998 Depth=2
	v_clz_i32_u32_e32 v19, v21
	s_delay_alu instid0(VALU_DEP_1) | instskip(SKIP_1) | instid1(VALU_DEP_2)
	v_min_u32_e32 v19, 32, v19
	v_mov_b32_e32 v99, v65
	v_subrev_nc_u32_e32 v21, 29, v19
	v_sub_nc_u32_e32 v19, 30, v19
	s_delay_alu instid0(VALU_DEP_2) | instskip(NEXT) | instid1(VALU_DEP_1)
	v_lshlrev_b64_e32 v[82:83], v21, v[98:99]
	v_and_b32_e32 v21, 3, v82
.LBB4_2575:                             ;   in Loop: Header=BB4_1998 Depth=2
	s_or_b32 exec_lo, exec_lo, s28
	v_bfe_i32 v23, v98, 0, 16
                                        ; implicit-def: $vgpr98
	s_delay_alu instid0(VALU_DEP_1) | instskip(NEXT) | instid1(VALU_DEP_1)
	v_and_b32_e32 v23, 0x80000000, v23
	v_lshl_add_u32 v19, v19, 23, v23
	s_delay_alu instid0(VALU_DEP_1) | instskip(NEXT) | instid1(VALU_DEP_1)
	v_lshl_or_b32 v19, v21, 21, v19
                                        ; implicit-def: $vgpr21
	v_add_nc_u32_e32 v19, 0x38000000, v19
.LBB4_2576:                             ;   in Loop: Header=BB4_1998 Depth=2
	s_and_not1_saveexec_b32 s27, s27
; %bb.2577:                             ;   in Loop: Header=BB4_1998 Depth=2
	v_cmp_lt_i16_e32 vcc_lo, -1, v98
	v_cndmask_b32_e32 v19, 0xff800000, v126, vcc_lo
	v_cmp_eq_u32_e32 vcc_lo, 0, v21
	s_delay_alu instid0(VALU_DEP_2)
	v_cndmask_b32_e32 v19, 0x7f800001, v19, vcc_lo
; %bb.2578:                             ;   in Loop: Header=BB4_1998 Depth=2
	s_or_b32 exec_lo, exec_lo, s27
.LBB4_2579:                             ;   in Loop: Header=BB4_1998 Depth=2
	s_delay_alu instid0(SALU_CYCLE_1)
	s_or_b32 exec_lo, exec_lo, s26
.LBB4_2580:                             ;   in Loop: Header=BB4_1998 Depth=2
	s_delay_alu instid0(SALU_CYCLE_1) | instskip(NEXT) | instid1(SALU_CYCLE_1)
	s_or_b32 exec_lo, exec_lo, s10
	s_mov_b32 s10, exec_lo
	s_wait_loadcnt_dscnt 0x202
	v_cmpx_ne_u16_e32 0, v24
	s_cbranch_execz .LBB4_2590
; %bb.2581:                             ;   in Loop: Header=BB4_1998 Depth=2
	v_bfrev_b32_e32 v17, 1
	s_mov_b32 s26, exec_lo
	v_cmpx_ne_u16_e32 0xff80, v24
	s_cbranch_execz .LBB4_2589
; %bb.2582:                             ;   in Loop: Header=BB4_1998 Depth=2
	v_and_b32_e32 v17, 0x7c, v24
	v_and_b32_e32 v21, 3, v24
	s_delay_alu instid0(VALU_DEP_2) | instskip(SKIP_1) | instid1(SALU_CYCLE_1)
	v_cmp_ne_u32_e32 vcc_lo, 0x7c, v17
                                        ; implicit-def: $vgpr17
	s_and_saveexec_b32 s27, vcc_lo
	s_xor_b32 s27, exec_lo, s27
	s_cbranch_execz .LBB4_2586
; %bb.2583:                             ;   in Loop: Header=BB4_1998 Depth=2
	v_and_b32_e32 v17, 0xff, v24
	s_mov_b32 s28, exec_lo
	s_delay_alu instid0(VALU_DEP_1) | instskip(NEXT) | instid1(VALU_DEP_1)
	v_bfe_u32 v17, v17, 2, 5
	v_cmpx_eq_u32_e32 0, v17
	s_cbranch_execz .LBB4_2585
; %bb.2584:                             ;   in Loop: Header=BB4_1998 Depth=2
	v_clz_i32_u32_e32 v17, v21
	s_delay_alu instid0(VALU_DEP_1) | instskip(SKIP_1) | instid1(VALU_DEP_2)
	v_min_u32_e32 v17, 32, v17
	v_mov_b32_e32 v25, v65
	v_subrev_nc_u32_e32 v21, 29, v17
	v_sub_nc_u32_e32 v17, 30, v17
	s_delay_alu instid0(VALU_DEP_2) | instskip(NEXT) | instid1(VALU_DEP_1)
	v_lshlrev_b64_e32 v[82:83], v21, v[24:25]
	v_and_b32_e32 v21, 3, v82
.LBB4_2585:                             ;   in Loop: Header=BB4_1998 Depth=2
	s_or_b32 exec_lo, exec_lo, s28
	v_bfe_i32 v23, v24, 0, 16
                                        ; implicit-def: $vgpr24
	s_delay_alu instid0(VALU_DEP_1) | instskip(NEXT) | instid1(VALU_DEP_1)
	v_and_b32_e32 v23, 0x80000000, v23
	v_lshl_add_u32 v17, v17, 23, v23
	s_delay_alu instid0(VALU_DEP_1) | instskip(NEXT) | instid1(VALU_DEP_1)
	v_lshl_or_b32 v17, v21, 21, v17
                                        ; implicit-def: $vgpr21
	v_add_nc_u32_e32 v17, 0x38000000, v17
.LBB4_2586:                             ;   in Loop: Header=BB4_1998 Depth=2
	s_and_not1_saveexec_b32 s27, s27
; %bb.2587:                             ;   in Loop: Header=BB4_1998 Depth=2
	v_cmp_lt_i16_e32 vcc_lo, -1, v24
	v_cndmask_b32_e32 v17, 0xff800000, v126, vcc_lo
	v_cmp_eq_u32_e32 vcc_lo, 0, v21
	s_delay_alu instid0(VALU_DEP_2)
	v_cndmask_b32_e32 v17, 0x7f800001, v17, vcc_lo
; %bb.2588:                             ;   in Loop: Header=BB4_1998 Depth=2
	s_or_b32 exec_lo, exec_lo, s27
.LBB4_2589:                             ;   in Loop: Header=BB4_1998 Depth=2
	s_delay_alu instid0(SALU_CYCLE_1)
	s_or_b32 exec_lo, exec_lo, s26
.LBB4_2590:                             ;   in Loop: Header=BB4_1998 Depth=2
	s_delay_alu instid0(SALU_CYCLE_1) | instskip(NEXT) | instid1(VALU_DEP_1)
	s_or_b32 exec_lo, exec_lo, s10
	v_dual_mul_f32 v19, v19, v17 :: v_dual_mov_b32 v25, v65
	s_delay_alu instid0(VALU_DEP_1) | instskip(SKIP_1) | instid1(VALU_DEP_2)
	v_and_b32_e32 v24, 0x7f800000, v19
	v_and_b32_e32 v64, 0x7fffff, v19
	v_cmp_ne_u64_e32 vcc_lo, 0x7f800000, v[24:25]
                                        ; implicit-def: $vgpr25
	s_and_saveexec_b32 s10, vcc_lo
	s_delay_alu instid0(SALU_CYCLE_1)
	s_xor_b32 s26, exec_lo, s10
	s_cbranch_execz .LBB4_2608
; %bb.2591:                             ;   in Loop: Header=BB4_1998 Depth=2
	v_and_b32_e32 v24, 0x7fffffff, v19
	v_dual_mov_b32 v25, v65 :: v_dual_lshrrev_b32 v17, 24, v19
	s_delay_alu instid0(VALU_DEP_1) | instskip(NEXT) | instid1(VALU_DEP_2)
	v_cmp_gt_u64_e32 vcc_lo, 0x47600001, v[24:25]
	v_and_b32_e32 v17, 0x80, v17
                                        ; implicit-def: $vgpr25
	s_and_saveexec_b32 s10, vcc_lo
	s_delay_alu instid0(SALU_CYCLE_1)
	s_xor_b32 s27, exec_lo, s10
	s_cbranch_execz .LBB4_2605
; %bb.2592:                             ;   in Loop: Header=BB4_1998 Depth=2
	v_mov_b32_e32 v25, 0
	s_mov_b32 s28, exec_lo
	v_cmpx_ne_u32_e32 0, v19
	s_cbranch_execz .LBB4_2604
; %bb.2593:                             ;   in Loop: Header=BB4_1998 Depth=2
	v_bfe_u32 v19, v19, 23, 8
	v_or_b32_e32 v82, 0x800000, v64
	s_delay_alu instid0(VALU_DEP_2) | instskip(SKIP_1) | instid1(VALU_DEP_2)
	v_sub_nc_u32_e32 v21, 0x71, v19
	v_cmp_gt_u32_e32 vcc_lo, 0x72, v19
	v_cndmask_b32_e32 v21, 0, v21, vcc_lo
	v_cmp_eq_u32_e32 vcc_lo, 0, v19
	s_delay_alu instid0(VALU_DEP_2) | instskip(NEXT) | instid1(VALU_DEP_1)
	v_cndmask_b32_e64 v21, v21, 0x70, vcc_lo
	v_dual_cndmask_b32 v64, v82, v64 :: v_dual_add_nc_u32 v23, 21, v21
	s_delay_alu instid0(VALU_DEP_1) | instskip(SKIP_1) | instid1(VALU_DEP_1)
	v_lshlrev_b64_e64 v[24:25], v23, -1
	v_add_nc_u32_e32 v23, 20, v21
	v_lshlrev_b64_e64 v[82:83], v23, 1
	s_delay_alu instid0(VALU_DEP_3) | instskip(NEXT) | instid1(VALU_DEP_4)
	v_bfi_b32 v99, v25, 0, 0
	v_bfi_b32 v98, v24, 0, v64
	v_lshrrev_b64 v[24:25], v21, v[64:65]
	s_delay_alu instid0(VALU_DEP_2) | instskip(NEXT) | instid1(VALU_DEP_2)
	v_cmp_eq_u64_e64 s10, v[98:99], v[82:83]
	v_mov_b64_e32 v[98:99], v[24:25]
	s_and_saveexec_b32 s29, s10
; %bb.2594:                             ;   in Loop: Header=BB4_1998 Depth=2
	v_bfe_u32 v64, v24, 21, 1
	s_delay_alu instid0(VALU_DEP_1) | instskip(NEXT) | instid1(VALU_DEP_1)
	v_add_nc_u64_e32 v[82:83], v[24:25], v[64:65]
	v_add_nc_u64_e32 v[98:99], -1, v[82:83]
; %bb.2595:                             ;   in Loop: Header=BB4_1998 Depth=2
	s_or_b32 exec_lo, exec_lo, s29
	v_add_nc_u32_e32 v19, 0xffffff81, v19
	v_lshrrev_b32_e32 v23, 23, v24
	s_mov_b32 s10, exec_lo
	s_delay_alu instid0(VALU_DEP_2) | instskip(NEXT) | instid1(VALU_DEP_1)
	v_cndmask_b32_e64 v19, v19, 0xffffff82, vcc_lo
	v_add3_u32 v21, v21, v19, v23
	v_and_b32_e32 v19, 0x1fffff, v98
	s_delay_alu instid0(VALU_DEP_1) | instskip(NEXT) | instid1(VALU_DEP_1)
	v_dual_add_nc_u32 v23, 14, v21 :: v_dual_add_nc_u32 v64, v19, v24
                                        ; implicit-def: $vgpr24_vgpr25
                                        ; implicit-def: $vgpr19
	v_cmpx_ne_u32_e32 0, v23
	s_xor_b32 s10, exec_lo, s10
; %bb.2596:                             ;   in Loop: Header=BB4_1998 Depth=2
	s_delay_alu instid0(VALU_DEP_2) | instskip(SKIP_2) | instid1(VALU_DEP_2)
	v_cmp_lt_u64_e32 vcc_lo, 0xffffff, v[64:65]
	v_add_nc_u32_e32 v19, 15, v21
	v_cndmask_b32_e64 v21, 0, 1, vcc_lo
	v_cndmask_b32_e32 v19, v23, v19, vcc_lo
	s_delay_alu instid0(VALU_DEP_2)
	v_lshrrev_b64 v[24:25], v21, v[64:65]
; %bb.2597:                             ;   in Loop: Header=BB4_1998 Depth=2
	s_and_not1_saveexec_b32 s10, s10
; %bb.2598:                             ;   in Loop: Header=BB4_1998 Depth=2
	v_mov_b64_e32 v[24:25], v[64:65]
	v_bfe_u32 v19, v64, 23, 1
; %bb.2599:                             ;   in Loop: Header=BB4_1998 Depth=2
	s_or_b32 exec_lo, exec_lo, s10
	s_delay_alu instid0(VALU_DEP_2) | instskip(NEXT) | instid1(VALU_DEP_2)
	v_lshrrev_b64 v[24:25], 21, v[24:25]
	v_cmp_gt_i32_e32 vcc_lo, 32, v19
	v_cmp_ne_u32_e64 s10, 0, v19
	s_delay_alu instid0(VALU_DEP_3) | instskip(NEXT) | instid1(VALU_DEP_1)
	v_dual_cndmask_b32 v25, 0, v25 :: v_dual_cndmask_b32 v24, 3, v24
	v_cmp_ne_u64_e32 vcc_lo, 0, v[24:25]
                                        ; implicit-def: $vgpr25
	s_or_b32 s10, s10, vcc_lo
	s_delay_alu instid0(SALU_CYCLE_1) | instskip(NEXT) | instid1(SALU_CYCLE_1)
	s_and_saveexec_b32 s29, s10
	s_xor_b32 s10, exec_lo, s29
; %bb.2600:                             ;   in Loop: Header=BB4_1998 Depth=2
	v_min_i32_e32 v19, 31, v19
	s_delay_alu instid0(VALU_DEP_1) | instskip(NEXT) | instid1(VALU_DEP_1)
	v_lshl_or_b32 v17, v19, 2, v17
	v_and_or_b32 v25, v24, 3, v17
                                        ; implicit-def: $vgpr17
; %bb.2601:                             ;   in Loop: Header=BB4_1998 Depth=2
	s_and_not1_saveexec_b32 s10, s10
; %bb.2602:                             ;   in Loop: Header=BB4_1998 Depth=2
	v_mov_b32_e32 v25, v17
; %bb.2603:                             ;   in Loop: Header=BB4_1998 Depth=2
	s_or_b32 exec_lo, exec_lo, s10
.LBB4_2604:                             ;   in Loop: Header=BB4_1998 Depth=2
	s_delay_alu instid0(SALU_CYCLE_1)
	s_or_b32 exec_lo, exec_lo, s28
                                        ; implicit-def: $vgpr17
.LBB4_2605:                             ;   in Loop: Header=BB4_1998 Depth=2
	s_and_not1_saveexec_b32 s10, s27
; %bb.2606:                             ;   in Loop: Header=BB4_1998 Depth=2
	v_or_b32_e32 v25, 0x7b, v17
; %bb.2607:                             ;   in Loop: Header=BB4_1998 Depth=2
	s_or_b32 exec_lo, exec_lo, s10
                                        ; implicit-def: $vgpr19
.LBB4_2608:                             ;   in Loop: Header=BB4_1998 Depth=2
	s_and_not1_saveexec_b32 s10, s26
	s_cbranch_execz .LBB4_2614
; %bb.2609:                             ;   in Loop: Header=BB4_1998 Depth=2
	s_mov_b32 s26, exec_lo
                                        ; implicit-def: $vgpr25
	v_cmpx_ne_u64_e32 0, v[64:65]
	s_xor_b32 s26, exec_lo, s26
; %bb.2610:                             ;   in Loop: Header=BB4_1998 Depth=2
	v_lshrrev_b32_e32 v17, 24, v19
                                        ; implicit-def: $vgpr19
	s_delay_alu instid0(VALU_DEP_1)
	v_or_b32_e32 v25, 0x7f, v17
; %bb.2611:                             ;   in Loop: Header=BB4_1998 Depth=2
	s_and_not1_saveexec_b32 s26, s26
; %bb.2612:                             ;   in Loop: Header=BB4_1998 Depth=2
	v_cmp_lt_i32_e32 vcc_lo, -1, v19
	v_cndmask_b32_e64 v25, -4, 0x7c, vcc_lo
; %bb.2613:                             ;   in Loop: Header=BB4_1998 Depth=2
	s_or_b32 exec_lo, exec_lo, s26
.LBB4_2614:                             ;   in Loop: Header=BB4_1998 Depth=2
	s_delay_alu instid0(SALU_CYCLE_1)
	s_or_b32 exec_lo, exec_lo, s10
	v_dual_mov_b32 v17, 0 :: v_dual_mov_b32 v19, 0
	s_mov_b32 s10, exec_lo
	v_cmpx_ne_u16_e32 0, v22
	s_cbranch_execz .LBB4_2624
; %bb.2615:                             ;   in Loop: Header=BB4_1998 Depth=2
	v_bfrev_b32_e32 v19, 1
	s_mov_b32 s26, exec_lo
	v_cmpx_ne_u16_e32 0xff80, v22
	s_cbranch_execz .LBB4_2623
; %bb.2616:                             ;   in Loop: Header=BB4_1998 Depth=2
	v_and_b32_e32 v19, 0x7c, v22
	v_and_b32_e32 v21, 3, v22
	s_delay_alu instid0(VALU_DEP_2) | instskip(SKIP_1) | instid1(SALU_CYCLE_1)
	v_cmp_ne_u32_e32 vcc_lo, 0x7c, v19
                                        ; implicit-def: $vgpr19
	s_and_saveexec_b32 s27, vcc_lo
	s_xor_b32 s27, exec_lo, s27
	s_cbranch_execz .LBB4_2620
; %bb.2617:                             ;   in Loop: Header=BB4_1998 Depth=2
	v_and_b32_e32 v19, 0xff, v22
	s_mov_b32 s28, exec_lo
	s_delay_alu instid0(VALU_DEP_1) | instskip(NEXT) | instid1(VALU_DEP_1)
	v_bfe_u32 v19, v19, 2, 5
	v_cmpx_eq_u32_e32 0, v19
	s_cbranch_execz .LBB4_2619
; %bb.2618:                             ;   in Loop: Header=BB4_1998 Depth=2
	v_clz_i32_u32_e32 v19, v21
	s_delay_alu instid0(VALU_DEP_1) | instskip(SKIP_1) | instid1(VALU_DEP_2)
	v_min_u32_e32 v19, 32, v19
	v_mov_b32_e32 v23, v65
	v_subrev_nc_u32_e32 v21, 29, v19
	v_sub_nc_u32_e32 v19, 30, v19
	s_delay_alu instid0(VALU_DEP_2) | instskip(NEXT) | instid1(VALU_DEP_1)
	v_lshlrev_b64_e32 v[82:83], v21, v[22:23]
	v_and_b32_e32 v21, 3, v82
.LBB4_2619:                             ;   in Loop: Header=BB4_1998 Depth=2
	s_or_b32 exec_lo, exec_lo, s28
	v_bfe_i32 v22, v22, 0, 16
	s_delay_alu instid0(VALU_DEP_1) | instskip(NEXT) | instid1(VALU_DEP_1)
	v_and_b32_e32 v22, 0x80000000, v22
	v_lshl_add_u32 v19, v19, 23, v22
                                        ; implicit-def: $vgpr22
	s_delay_alu instid0(VALU_DEP_1) | instskip(NEXT) | instid1(VALU_DEP_1)
	v_lshl_or_b32 v19, v21, 21, v19
                                        ; implicit-def: $vgpr21
	v_add_nc_u32_e32 v19, 0x38000000, v19
.LBB4_2620:                             ;   in Loop: Header=BB4_1998 Depth=2
	s_and_not1_saveexec_b32 s27, s27
; %bb.2621:                             ;   in Loop: Header=BB4_1998 Depth=2
	v_cmp_lt_i16_e32 vcc_lo, -1, v22
	v_cndmask_b32_e32 v19, 0xff800000, v126, vcc_lo
	v_cmp_eq_u32_e32 vcc_lo, 0, v21
	s_delay_alu instid0(VALU_DEP_2)
	v_cndmask_b32_e32 v19, 0x7f800001, v19, vcc_lo
; %bb.2622:                             ;   in Loop: Header=BB4_1998 Depth=2
	s_or_b32 exec_lo, exec_lo, s27
.LBB4_2623:                             ;   in Loop: Header=BB4_1998 Depth=2
	s_delay_alu instid0(SALU_CYCLE_1)
	s_or_b32 exec_lo, exec_lo, s26
.LBB4_2624:                             ;   in Loop: Header=BB4_1998 Depth=2
	s_delay_alu instid0(SALU_CYCLE_1) | instskip(NEXT) | instid1(SALU_CYCLE_1)
	s_or_b32 exec_lo, exec_lo, s10
	s_mov_b32 s10, exec_lo
	s_wait_loadcnt_dscnt 0x101
	v_cmpx_ne_u16_e32 0, v20
	s_cbranch_execz .LBB4_2634
; %bb.2625:                             ;   in Loop: Header=BB4_1998 Depth=2
	v_bfrev_b32_e32 v17, 1
	s_mov_b32 s26, exec_lo
	v_cmpx_ne_u16_e32 0xff80, v20
	s_cbranch_execz .LBB4_2633
; %bb.2626:                             ;   in Loop: Header=BB4_1998 Depth=2
	v_and_b32_e32 v17, 0x7c, v20
	v_and_b32_e32 v21, 3, v20
	s_delay_alu instid0(VALU_DEP_2) | instskip(SKIP_1) | instid1(SALU_CYCLE_1)
	v_cmp_ne_u32_e32 vcc_lo, 0x7c, v17
                                        ; implicit-def: $vgpr17
	s_and_saveexec_b32 s27, vcc_lo
	s_xor_b32 s27, exec_lo, s27
	s_cbranch_execz .LBB4_2630
; %bb.2627:                             ;   in Loop: Header=BB4_1998 Depth=2
	v_and_b32_e32 v17, 0xff, v20
	s_mov_b32 s28, exec_lo
	s_delay_alu instid0(VALU_DEP_1) | instskip(NEXT) | instid1(VALU_DEP_1)
	v_bfe_u32 v17, v17, 2, 5
	v_cmpx_eq_u32_e32 0, v17
	s_cbranch_execz .LBB4_2629
; %bb.2628:                             ;   in Loop: Header=BB4_1998 Depth=2
	v_clz_i32_u32_e32 v17, v21
	s_delay_alu instid0(VALU_DEP_1) | instskip(SKIP_1) | instid1(VALU_DEP_2)
	v_min_u32_e32 v17, 32, v17
	v_mov_b32_e32 v21, v65
	v_subrev_nc_u32_e32 v22, 29, v17
	v_sub_nc_u32_e32 v17, 30, v17
	s_delay_alu instid0(VALU_DEP_2) | instskip(NEXT) | instid1(VALU_DEP_1)
	v_lshlrev_b64_e32 v[22:23], v22, v[20:21]
	v_and_b32_e32 v21, 3, v22
.LBB4_2629:                             ;   in Loop: Header=BB4_1998 Depth=2
	s_or_b32 exec_lo, exec_lo, s28
	v_bfe_i32 v20, v20, 0, 16
	s_delay_alu instid0(VALU_DEP_1) | instskip(NEXT) | instid1(VALU_DEP_1)
	v_and_b32_e32 v20, 0x80000000, v20
	v_lshl_add_u32 v17, v17, 23, v20
                                        ; implicit-def: $vgpr20
	s_delay_alu instid0(VALU_DEP_1) | instskip(NEXT) | instid1(VALU_DEP_1)
	v_lshl_or_b32 v17, v21, 21, v17
                                        ; implicit-def: $vgpr21
	v_add_nc_u32_e32 v17, 0x38000000, v17
.LBB4_2630:                             ;   in Loop: Header=BB4_1998 Depth=2
	s_and_not1_saveexec_b32 s27, s27
; %bb.2631:                             ;   in Loop: Header=BB4_1998 Depth=2
	v_cmp_lt_i16_e32 vcc_lo, -1, v20
	v_cndmask_b32_e32 v17, 0xff800000, v126, vcc_lo
	v_cmp_eq_u32_e32 vcc_lo, 0, v21
	s_delay_alu instid0(VALU_DEP_2)
	v_cndmask_b32_e32 v17, 0x7f800001, v17, vcc_lo
; %bb.2632:                             ;   in Loop: Header=BB4_1998 Depth=2
	s_or_b32 exec_lo, exec_lo, s27
.LBB4_2633:                             ;   in Loop: Header=BB4_1998 Depth=2
	s_delay_alu instid0(SALU_CYCLE_1)
	s_or_b32 exec_lo, exec_lo, s26
.LBB4_2634:                             ;   in Loop: Header=BB4_1998 Depth=2
	s_delay_alu instid0(SALU_CYCLE_1) | instskip(NEXT) | instid1(VALU_DEP_1)
	s_or_b32 exec_lo, exec_lo, s10
	v_dual_mul_f32 v19, v19, v17 :: v_dual_mov_b32 v21, v65
	s_delay_alu instid0(VALU_DEP_1) | instskip(SKIP_1) | instid1(VALU_DEP_2)
	v_and_b32_e32 v20, 0x7f800000, v19
	v_and_b32_e32 v64, 0x7fffff, v19
	v_cmp_ne_u64_e32 vcc_lo, 0x7f800000, v[20:21]
                                        ; implicit-def: $vgpr21
	s_and_saveexec_b32 s10, vcc_lo
	s_delay_alu instid0(SALU_CYCLE_1)
	s_xor_b32 s26, exec_lo, s10
	s_cbranch_execz .LBB4_2652
; %bb.2635:                             ;   in Loop: Header=BB4_1998 Depth=2
	v_and_b32_e32 v20, 0x7fffffff, v19
	v_dual_mov_b32 v21, v65 :: v_dual_lshrrev_b32 v17, 24, v19
	s_delay_alu instid0(VALU_DEP_1) | instskip(NEXT) | instid1(VALU_DEP_2)
	v_cmp_gt_u64_e32 vcc_lo, 0x47600001, v[20:21]
	v_and_b32_e32 v17, 0x80, v17
                                        ; implicit-def: $vgpr21
	s_and_saveexec_b32 s10, vcc_lo
	s_delay_alu instid0(SALU_CYCLE_1)
	s_xor_b32 s27, exec_lo, s10
	s_cbranch_execz .LBB4_2649
; %bb.2636:                             ;   in Loop: Header=BB4_1998 Depth=2
	v_mov_b32_e32 v21, 0
	s_mov_b32 s28, exec_lo
	v_cmpx_ne_u32_e32 0, v19
	s_cbranch_execz .LBB4_2648
; %bb.2637:                             ;   in Loop: Header=BB4_1998 Depth=2
	v_bfe_u32 v19, v19, 23, 8
	v_or_b32_e32 v22, 0x800000, v64
	s_delay_alu instid0(VALU_DEP_2) | instskip(SKIP_1) | instid1(VALU_DEP_2)
	v_sub_nc_u32_e32 v20, 0x71, v19
	v_cmp_gt_u32_e32 vcc_lo, 0x72, v19
	v_cndmask_b32_e32 v20, 0, v20, vcc_lo
	v_cmp_eq_u32_e32 vcc_lo, 0, v19
	s_delay_alu instid0(VALU_DEP_2) | instskip(SKIP_1) | instid1(VALU_DEP_2)
	v_cndmask_b32_e64 v24, v20, 0x70, vcc_lo
	v_cndmask_b32_e32 v64, v22, v64, vcc_lo
	v_dual_add_nc_u32 v20, 21, v24 :: v_dual_add_nc_u32 v23, 20, v24
	s_delay_alu instid0(VALU_DEP_1) | instskip(NEXT) | instid1(VALU_DEP_2)
	v_lshlrev_b64_e64 v[20:21], v20, -1
	v_lshlrev_b64_e64 v[22:23], v23, 1
	s_delay_alu instid0(VALU_DEP_2) | instskip(NEXT) | instid1(VALU_DEP_3)
	v_bfi_b32 v83, v21, 0, 0
	v_bfi_b32 v82, v20, 0, v64
	v_lshrrev_b64 v[20:21], v24, v[64:65]
	s_delay_alu instid0(VALU_DEP_2) | instskip(NEXT) | instid1(VALU_DEP_2)
	v_cmp_eq_u64_e64 s10, v[82:83], v[22:23]
	v_mov_b64_e32 v[22:23], v[20:21]
	s_and_saveexec_b32 s29, s10
; %bb.2638:                             ;   in Loop: Header=BB4_1998 Depth=2
	v_bfe_u32 v64, v20, 21, 1
	s_delay_alu instid0(VALU_DEP_1) | instskip(NEXT) | instid1(VALU_DEP_1)
	v_add_nc_u64_e32 v[22:23], v[20:21], v[64:65]
	v_add_nc_u64_e32 v[22:23], -1, v[22:23]
; %bb.2639:                             ;   in Loop: Header=BB4_1998 Depth=2
	s_or_b32 exec_lo, exec_lo, s29
	v_add_nc_u32_e32 v19, 0xffffff81, v19
	v_lshrrev_b32_e32 v21, 23, v20
	s_mov_b32 s10, exec_lo
	s_delay_alu instid0(VALU_DEP_2) | instskip(NEXT) | instid1(VALU_DEP_1)
	v_cndmask_b32_e64 v19, v19, 0xffffff82, vcc_lo
	v_add3_u32 v23, v24, v19, v21
	v_and_b32_e32 v19, 0x1fffff, v22
	s_delay_alu instid0(VALU_DEP_1) | instskip(NEXT) | instid1(VALU_DEP_1)
	v_dual_add_nc_u32 v22, 14, v23 :: v_dual_add_nc_u32 v64, v19, v20
                                        ; implicit-def: $vgpr20_vgpr21
                                        ; implicit-def: $vgpr19
	v_cmpx_ne_u32_e32 0, v22
	s_xor_b32 s10, exec_lo, s10
; %bb.2640:                             ;   in Loop: Header=BB4_1998 Depth=2
	s_delay_alu instid0(VALU_DEP_2) | instskip(SKIP_2) | instid1(VALU_DEP_2)
	v_cmp_lt_u64_e32 vcc_lo, 0xffffff, v[64:65]
	v_add_nc_u32_e32 v19, 15, v23
	v_cndmask_b32_e64 v20, 0, 1, vcc_lo
	v_cndmask_b32_e32 v19, v22, v19, vcc_lo
	s_delay_alu instid0(VALU_DEP_2)
	v_lshrrev_b64 v[20:21], v20, v[64:65]
; %bb.2641:                             ;   in Loop: Header=BB4_1998 Depth=2
	s_and_not1_saveexec_b32 s10, s10
; %bb.2642:                             ;   in Loop: Header=BB4_1998 Depth=2
	v_mov_b64_e32 v[20:21], v[64:65]
	v_bfe_u32 v19, v64, 23, 1
; %bb.2643:                             ;   in Loop: Header=BB4_1998 Depth=2
	s_or_b32 exec_lo, exec_lo, s10
	s_delay_alu instid0(VALU_DEP_2) | instskip(NEXT) | instid1(VALU_DEP_2)
	v_lshrrev_b64 v[20:21], 21, v[20:21]
	v_cmp_gt_i32_e32 vcc_lo, 32, v19
	v_cmp_ne_u32_e64 s10, 0, v19
	s_delay_alu instid0(VALU_DEP_3) | instskip(NEXT) | instid1(VALU_DEP_1)
	v_dual_cndmask_b32 v21, 0, v21 :: v_dual_cndmask_b32 v20, 3, v20
	v_cmp_ne_u64_e32 vcc_lo, 0, v[20:21]
                                        ; implicit-def: $vgpr21
	s_or_b32 s10, s10, vcc_lo
	s_delay_alu instid0(SALU_CYCLE_1) | instskip(NEXT) | instid1(SALU_CYCLE_1)
	s_and_saveexec_b32 s29, s10
	s_xor_b32 s10, exec_lo, s29
; %bb.2644:                             ;   in Loop: Header=BB4_1998 Depth=2
	v_min_i32_e32 v19, 31, v19
	s_delay_alu instid0(VALU_DEP_1) | instskip(NEXT) | instid1(VALU_DEP_1)
	v_lshl_or_b32 v17, v19, 2, v17
	v_and_or_b32 v21, v20, 3, v17
                                        ; implicit-def: $vgpr17
; %bb.2645:                             ;   in Loop: Header=BB4_1998 Depth=2
	s_and_not1_saveexec_b32 s10, s10
; %bb.2646:                             ;   in Loop: Header=BB4_1998 Depth=2
	v_mov_b32_e32 v21, v17
; %bb.2647:                             ;   in Loop: Header=BB4_1998 Depth=2
	s_or_b32 exec_lo, exec_lo, s10
.LBB4_2648:                             ;   in Loop: Header=BB4_1998 Depth=2
	s_delay_alu instid0(SALU_CYCLE_1)
	s_or_b32 exec_lo, exec_lo, s28
                                        ; implicit-def: $vgpr17
.LBB4_2649:                             ;   in Loop: Header=BB4_1998 Depth=2
	s_and_not1_saveexec_b32 s10, s27
; %bb.2650:                             ;   in Loop: Header=BB4_1998 Depth=2
	v_or_b32_e32 v21, 0x7b, v17
; %bb.2651:                             ;   in Loop: Header=BB4_1998 Depth=2
	s_or_b32 exec_lo, exec_lo, s10
                                        ; implicit-def: $vgpr19
.LBB4_2652:                             ;   in Loop: Header=BB4_1998 Depth=2
	s_and_not1_saveexec_b32 s10, s26
	s_cbranch_execz .LBB4_2658
; %bb.2653:                             ;   in Loop: Header=BB4_1998 Depth=2
	s_mov_b32 s26, exec_lo
                                        ; implicit-def: $vgpr21
	v_cmpx_ne_u64_e32 0, v[64:65]
	s_xor_b32 s26, exec_lo, s26
; %bb.2654:                             ;   in Loop: Header=BB4_1998 Depth=2
	v_lshrrev_b32_e32 v17, 24, v19
                                        ; implicit-def: $vgpr19
	s_delay_alu instid0(VALU_DEP_1)
	v_or_b32_e32 v21, 0x7f, v17
; %bb.2655:                             ;   in Loop: Header=BB4_1998 Depth=2
	s_and_not1_saveexec_b32 s26, s26
; %bb.2656:                             ;   in Loop: Header=BB4_1998 Depth=2
	v_cmp_lt_i32_e32 vcc_lo, -1, v19
	v_cndmask_b32_e64 v21, -4, 0x7c, vcc_lo
; %bb.2657:                             ;   in Loop: Header=BB4_1998 Depth=2
	s_or_b32 exec_lo, exec_lo, s26
.LBB4_2658:                             ;   in Loop: Header=BB4_1998 Depth=2
	s_delay_alu instid0(SALU_CYCLE_1)
	s_or_b32 exec_lo, exec_lo, s10
	v_dual_mov_b32 v17, 0 :: v_dual_mov_b32 v19, 0
	s_mov_b32 s10, exec_lo
	v_cmpx_ne_u16_e32 0, v18
	s_cbranch_execz .LBB4_2668
; %bb.2659:                             ;   in Loop: Header=BB4_1998 Depth=2
	v_bfrev_b32_e32 v19, 1
	s_mov_b32 s26, exec_lo
	v_cmpx_ne_u16_e32 0xff80, v18
	s_cbranch_execz .LBB4_2667
; %bb.2660:                             ;   in Loop: Header=BB4_1998 Depth=2
	v_and_b32_e32 v19, 0x7c, v18
	v_and_b32_e32 v20, 3, v18
	s_delay_alu instid0(VALU_DEP_2) | instskip(SKIP_1) | instid1(SALU_CYCLE_1)
	v_cmp_ne_u32_e32 vcc_lo, 0x7c, v19
                                        ; implicit-def: $vgpr19
	s_and_saveexec_b32 s27, vcc_lo
	s_xor_b32 s27, exec_lo, s27
	s_cbranch_execz .LBB4_2664
; %bb.2661:                             ;   in Loop: Header=BB4_1998 Depth=2
	v_and_b32_e32 v19, 0xff, v18
	s_mov_b32 s28, exec_lo
	s_delay_alu instid0(VALU_DEP_1) | instskip(NEXT) | instid1(VALU_DEP_1)
	v_bfe_u32 v19, v19, 2, 5
	v_cmpx_eq_u32_e32 0, v19
; %bb.2662:                             ;   in Loop: Header=BB4_1998 Depth=2
	v_clz_i32_u32_e32 v19, v20
	s_delay_alu instid0(VALU_DEP_1) | instskip(SKIP_1) | instid1(VALU_DEP_2)
	v_min_u32_e32 v20, 32, v19
	v_mov_b32_e32 v19, v65
	v_subrev_nc_u32_e32 v22, 29, v20
	s_delay_alu instid0(VALU_DEP_1) | instskip(NEXT) | instid1(VALU_DEP_1)
	v_lshlrev_b64_e32 v[22:23], v22, v[18:19]
	v_dual_sub_nc_u32 v19, 30, v20 :: v_dual_bitop2_b32 v20, 3, v22 bitop3:0x40
; %bb.2663:                             ;   in Loop: Header=BB4_1998 Depth=2
	s_or_b32 exec_lo, exec_lo, s28
	v_bfe_i32 v18, v18, 0, 16
	s_delay_alu instid0(VALU_DEP_1) | instskip(NEXT) | instid1(VALU_DEP_1)
	v_and_b32_e32 v18, 0x80000000, v18
	v_lshl_add_u32 v18, v19, 23, v18
	s_delay_alu instid0(VALU_DEP_1) | instskip(NEXT) | instid1(VALU_DEP_1)
	v_lshl_or_b32 v18, v20, 21, v18
                                        ; implicit-def: $vgpr20
	v_add_nc_u32_e32 v19, 0x38000000, v18
                                        ; implicit-def: $vgpr18
.LBB4_2664:                             ;   in Loop: Header=BB4_1998 Depth=2
	s_and_not1_saveexec_b32 s27, s27
; %bb.2665:                             ;   in Loop: Header=BB4_1998 Depth=2
	v_cmp_lt_i16_e32 vcc_lo, -1, v18
	v_cndmask_b32_e32 v18, 0xff800000, v126, vcc_lo
	v_cmp_eq_u32_e32 vcc_lo, 0, v20
	s_delay_alu instid0(VALU_DEP_2)
	v_cndmask_b32_e32 v19, 0x7f800001, v18, vcc_lo
; %bb.2666:                             ;   in Loop: Header=BB4_1998 Depth=2
	s_or_b32 exec_lo, exec_lo, s27
.LBB4_2667:                             ;   in Loop: Header=BB4_1998 Depth=2
	s_delay_alu instid0(SALU_CYCLE_1)
	s_or_b32 exec_lo, exec_lo, s26
.LBB4_2668:                             ;   in Loop: Header=BB4_1998 Depth=2
	s_delay_alu instid0(SALU_CYCLE_1) | instskip(NEXT) | instid1(SALU_CYCLE_1)
	s_or_b32 exec_lo, exec_lo, s10
	s_mov_b32 s10, exec_lo
	s_wait_loadcnt_dscnt 0x0
	v_cmpx_ne_u16_e32 0, v16
	s_cbranch_execz .LBB4_2678
; %bb.2669:                             ;   in Loop: Header=BB4_1998 Depth=2
	v_bfrev_b32_e32 v17, 1
	s_mov_b32 s26, exec_lo
	v_cmpx_ne_u16_e32 0xff80, v16
	s_cbranch_execz .LBB4_2677
; %bb.2670:                             ;   in Loop: Header=BB4_1998 Depth=2
	v_and_b32_e32 v17, 0x7c, v16
	v_and_b32_e32 v18, 3, v16
	s_delay_alu instid0(VALU_DEP_2) | instskip(SKIP_1) | instid1(SALU_CYCLE_1)
	v_cmp_ne_u32_e32 vcc_lo, 0x7c, v17
                                        ; implicit-def: $vgpr17
	s_and_saveexec_b32 s27, vcc_lo
	s_xor_b32 s27, exec_lo, s27
	s_cbranch_execz .LBB4_2674
; %bb.2671:                             ;   in Loop: Header=BB4_1998 Depth=2
	v_and_b32_e32 v17, 0xff, v16
	s_mov_b32 s28, exec_lo
	s_delay_alu instid0(VALU_DEP_1) | instskip(NEXT) | instid1(VALU_DEP_1)
	v_bfe_u32 v17, v17, 2, 5
	v_cmpx_eq_u32_e32 0, v17
	s_cbranch_execz .LBB4_2673
; %bb.2672:                             ;   in Loop: Header=BB4_1998 Depth=2
	v_clz_i32_u32_e32 v17, v18
	s_delay_alu instid0(VALU_DEP_1) | instskip(SKIP_1) | instid1(VALU_DEP_2)
	v_min_u32_e32 v18, 32, v17
	v_mov_b32_e32 v17, v65
	v_subrev_nc_u32_e32 v20, 29, v18
	s_delay_alu instid0(VALU_DEP_1) | instskip(SKIP_1) | instid1(VALU_DEP_2)
	v_lshlrev_b64_e32 v[22:23], v20, v[16:17]
	v_sub_nc_u32_e32 v17, 30, v18
	v_and_b32_e32 v18, 3, v22
.LBB4_2673:                             ;   in Loop: Header=BB4_1998 Depth=2
	s_or_b32 exec_lo, exec_lo, s28
	v_bfe_i32 v16, v16, 0, 16
	s_delay_alu instid0(VALU_DEP_1) | instskip(NEXT) | instid1(VALU_DEP_1)
	v_and_b32_e32 v16, 0x80000000, v16
	v_lshl_add_u32 v16, v17, 23, v16
	s_delay_alu instid0(VALU_DEP_1) | instskip(NEXT) | instid1(VALU_DEP_1)
	v_lshl_or_b32 v16, v18, 21, v16
                                        ; implicit-def: $vgpr18
	v_add_nc_u32_e32 v17, 0x38000000, v16
                                        ; implicit-def: $vgpr16
.LBB4_2674:                             ;   in Loop: Header=BB4_1998 Depth=2
	s_and_not1_saveexec_b32 s27, s27
; %bb.2675:                             ;   in Loop: Header=BB4_1998 Depth=2
	v_cmp_lt_i16_e32 vcc_lo, -1, v16
	v_cndmask_b32_e32 v16, 0xff800000, v126, vcc_lo
	v_cmp_eq_u32_e32 vcc_lo, 0, v18
	s_delay_alu instid0(VALU_DEP_2)
	v_cndmask_b32_e32 v17, 0x7f800001, v16, vcc_lo
; %bb.2676:                             ;   in Loop: Header=BB4_1998 Depth=2
	s_or_b32 exec_lo, exec_lo, s27
.LBB4_2677:                             ;   in Loop: Header=BB4_1998 Depth=2
	s_delay_alu instid0(SALU_CYCLE_1)
	s_or_b32 exec_lo, exec_lo, s26
.LBB4_2678:                             ;   in Loop: Header=BB4_1998 Depth=2
	s_delay_alu instid0(SALU_CYCLE_1) | instskip(NEXT) | instid1(VALU_DEP_1)
	s_or_b32 exec_lo, exec_lo, s10
	v_dual_mul_f32 v16, v19, v17 :: v_dual_mov_b32 v19, v65
                                        ; implicit-def: $vgpr17
	s_mov_b32 s10, exec_lo
	s_delay_alu instid0(VALU_DEP_1) | instskip(SKIP_1) | instid1(VALU_DEP_2)
	v_and_b32_e32 v18, 0x7f800000, v16
	v_and_b32_e32 v64, 0x7fffff, v16
	v_cmpx_ne_u64_e32 0x7f800000, v[18:19]
	s_xor_b32 s26, exec_lo, s10
	s_cbranch_execz .LBB4_2696
; %bb.2679:                             ;   in Loop: Header=BB4_1998 Depth=2
	v_dual_mov_b32 v19, v65 :: v_dual_lshrrev_b32 v17, 24, v16
	v_and_b32_e32 v18, 0x7fffffff, v16
	s_mov_b32 s10, exec_lo
	s_delay_alu instid0(VALU_DEP_2) | instskip(NEXT) | instid1(VALU_DEP_2)
	v_and_b32_e32 v20, 0x80, v17
                                        ; implicit-def: $vgpr17
	v_cmpx_gt_u64_e32 0x47600001, v[18:19]
	s_xor_b32 s27, exec_lo, s10
	s_cbranch_execz .LBB4_2693
; %bb.2680:                             ;   in Loop: Header=BB4_1998 Depth=2
	v_mov_b32_e32 v17, 0
	s_mov_b32 s28, exec_lo
	v_cmpx_ne_u32_e32 0, v16
	s_cbranch_execz .LBB4_2692
; %bb.2681:                             ;   in Loop: Header=BB4_1998 Depth=2
	v_bfe_u32 v22, v16, 23, 8
	v_or_b32_e32 v18, 0x800000, v64
	s_delay_alu instid0(VALU_DEP_2) | instskip(SKIP_1) | instid1(VALU_DEP_2)
	v_sub_nc_u32_e32 v16, 0x71, v22
	v_cmp_gt_u32_e32 vcc_lo, 0x72, v22
	v_cndmask_b32_e32 v16, 0, v16, vcc_lo
	v_cmp_eq_u32_e32 vcc_lo, 0, v22
	s_delay_alu instid0(VALU_DEP_2) | instskip(NEXT) | instid1(VALU_DEP_1)
	v_cndmask_b32_e64 v23, v16, 0x70, vcc_lo
	v_dual_cndmask_b32 v64, v18, v64, vcc_lo :: v_dual_add_nc_u32 v16, 21, v23
	v_add_nc_u32_e32 v19, 20, v23
	s_delay_alu instid0(VALU_DEP_2) | instskip(NEXT) | instid1(VALU_DEP_2)
	v_lshlrev_b64_e64 v[16:17], v16, -1
	v_lshlrev_b64_e64 v[18:19], v19, 1
	s_delay_alu instid0(VALU_DEP_2) | instskip(NEXT) | instid1(VALU_DEP_3)
	v_bfi_b32 v83, v17, 0, 0
	v_bfi_b32 v82, v16, 0, v64
	v_lshrrev_b64 v[16:17], v23, v[64:65]
	s_delay_alu instid0(VALU_DEP_2) | instskip(NEXT) | instid1(VALU_DEP_2)
	v_cmp_eq_u64_e64 s10, v[82:83], v[18:19]
	v_mov_b64_e32 v[18:19], v[16:17]
	s_and_saveexec_b32 s29, s10
; %bb.2682:                             ;   in Loop: Header=BB4_1998 Depth=2
	v_bfe_u32 v64, v16, 21, 1
	s_delay_alu instid0(VALU_DEP_1) | instskip(NEXT) | instid1(VALU_DEP_1)
	v_add_nc_u64_e32 v[18:19], v[16:17], v[64:65]
	v_add_nc_u64_e32 v[18:19], -1, v[18:19]
; %bb.2683:                             ;   in Loop: Header=BB4_1998 Depth=2
	s_or_b32 exec_lo, exec_lo, s29
	v_add_nc_u32_e32 v17, 0xffffff81, v22
	v_lshrrev_b32_e32 v19, 23, v16
	s_mov_b32 s10, exec_lo
	s_delay_alu instid0(VALU_DEP_2) | instskip(NEXT) | instid1(VALU_DEP_1)
	v_cndmask_b32_e64 v17, v17, 0xffffff82, vcc_lo
	v_add3_u32 v19, v23, v17, v19
	v_and_b32_e32 v17, 0x1fffff, v18
                                        ; implicit-def: $vgpr18
	s_delay_alu instid0(VALU_DEP_1) | instskip(NEXT) | instid1(VALU_DEP_1)
	v_dual_add_nc_u32 v22, 14, v19 :: v_dual_add_nc_u32 v64, v17, v16
                                        ; implicit-def: $vgpr16_vgpr17
	v_cmpx_ne_u32_e32 0, v22
	s_xor_b32 s10, exec_lo, s10
; %bb.2684:                             ;   in Loop: Header=BB4_1998 Depth=2
	s_delay_alu instid0(VALU_DEP_2) | instskip(SKIP_1) | instid1(VALU_DEP_1)
	v_cmp_lt_u64_e32 vcc_lo, 0xffffff, v[64:65]
	v_add_nc_u32_e32 v16, 15, v19
	v_cndmask_b32_e32 v18, v22, v16, vcc_lo
	v_cndmask_b32_e64 v16, 0, 1, vcc_lo
	s_delay_alu instid0(VALU_DEP_1)
	v_lshrrev_b64 v[16:17], v16, v[64:65]
; %bb.2685:                             ;   in Loop: Header=BB4_1998 Depth=2
	s_and_not1_saveexec_b32 s10, s10
; %bb.2686:                             ;   in Loop: Header=BB4_1998 Depth=2
	v_mov_b64_e32 v[16:17], v[64:65]
	v_bfe_u32 v18, v64, 23, 1
; %bb.2687:                             ;   in Loop: Header=BB4_1998 Depth=2
	s_or_b32 exec_lo, exec_lo, s10
	s_delay_alu instid0(VALU_DEP_2) | instskip(NEXT) | instid1(VALU_DEP_2)
	v_lshrrev_b64 v[16:17], 21, v[16:17]
	v_cmp_gt_i32_e32 vcc_lo, 32, v18
	v_cmp_ne_u32_e64 s10, 0, v18
	s_delay_alu instid0(VALU_DEP_3) | instskip(NEXT) | instid1(VALU_DEP_1)
	v_dual_cndmask_b32 v17, 0, v17 :: v_dual_cndmask_b32 v16, 3, v16
	v_cmp_ne_u64_e32 vcc_lo, 0, v[16:17]
                                        ; implicit-def: $vgpr17
	s_or_b32 s10, s10, vcc_lo
	s_delay_alu instid0(SALU_CYCLE_1) | instskip(NEXT) | instid1(SALU_CYCLE_1)
	s_and_saveexec_b32 s29, s10
	s_xor_b32 s10, exec_lo, s29
; %bb.2688:                             ;   in Loop: Header=BB4_1998 Depth=2
	v_min_i32_e32 v17, 31, v18
	s_delay_alu instid0(VALU_DEP_1) | instskip(NEXT) | instid1(VALU_DEP_1)
	v_lshl_or_b32 v17, v17, 2, v20
                                        ; implicit-def: $vgpr20
	v_and_or_b32 v17, v16, 3, v17
; %bb.2689:                             ;   in Loop: Header=BB4_1998 Depth=2
	s_and_not1_saveexec_b32 s10, s10
; %bb.2690:                             ;   in Loop: Header=BB4_1998 Depth=2
	v_mov_b32_e32 v17, v20
; %bb.2691:                             ;   in Loop: Header=BB4_1998 Depth=2
	s_or_b32 exec_lo, exec_lo, s10
.LBB4_2692:                             ;   in Loop: Header=BB4_1998 Depth=2
	s_delay_alu instid0(SALU_CYCLE_1)
	s_or_b32 exec_lo, exec_lo, s28
                                        ; implicit-def: $vgpr20
.LBB4_2693:                             ;   in Loop: Header=BB4_1998 Depth=2
	s_and_not1_saveexec_b32 s10, s27
; %bb.2694:                             ;   in Loop: Header=BB4_1998 Depth=2
	v_or_b32_e32 v17, 0x7b, v20
; %bb.2695:                             ;   in Loop: Header=BB4_1998 Depth=2
	s_or_b32 exec_lo, exec_lo, s10
                                        ; implicit-def: $vgpr16
.LBB4_2696:                             ;   in Loop: Header=BB4_1998 Depth=2
	s_and_not1_saveexec_b32 s10, s26
	s_cbranch_execz .LBB4_1997
; %bb.2697:                             ;   in Loop: Header=BB4_1998 Depth=2
	s_mov_b32 s26, exec_lo
                                        ; implicit-def: $vgpr17
	v_cmpx_ne_u64_e32 0, v[64:65]
	s_xor_b32 s26, exec_lo, s26
; %bb.2698:                             ;   in Loop: Header=BB4_1998 Depth=2
	v_lshrrev_b32_e32 v16, 24, v16
	s_delay_alu instid0(VALU_DEP_1)
	v_or_b32_e32 v17, 0x7f, v16
                                        ; implicit-def: $vgpr16
; %bb.2699:                             ;   in Loop: Header=BB4_1998 Depth=2
	s_and_not1_saveexec_b32 s26, s26
	s_cbranch_execz .LBB4_1996
; %bb.2700:                             ;   in Loop: Header=BB4_1998 Depth=2
	v_cmp_lt_i32_e32 vcc_lo, -1, v16
	v_cndmask_b32_e64 v17, -4, 0x7c, vcc_lo
	s_branch .LBB4_1996
.LBB4_2701:                             ;   in Loop: Header=BB4_49 Depth=1
	s_or_b32 exec_lo, exec_lo, s25
	v_mov_b64_e32 v[76:77], 0
.LBB4_2702:                             ;   in Loop: Header=BB4_49 Depth=1
	s_or_b32 exec_lo, exec_lo, s24
	v_and_b32_e32 v10, 0xfffffe00, v97
	s_delay_alu instid0(VALU_DEP_1)
	v_cmp_ne_u32_e32 vcc_lo, v97, v10
	s_and_b32 exec_lo, exec_lo, vcc_lo
	s_cbranch_execz .LBB4_2750
; %bb.2703:                             ;   in Loop: Header=BB4_49 Depth=1
	v_add_nc_u32_e32 v11, v0, v87
	v_lshlrev_b32_e32 v3, 5, v3
	s_delay_alu instid0(VALU_DEP_2) | instskip(NEXT) | instid1(VALU_DEP_1)
	v_and_b32_e32 v11, 0xffffffe0, v11
	v_sub_nc_u32_e32 v0, v0, v11
	s_delay_alu instid0(VALU_DEP_1) | instskip(SKIP_1) | instid1(VALU_DEP_1)
	v_sub_nc_u32_e32 v3, v0, v3
	v_and_b32_e32 v0, 0x1ff, v97
	v_sub_nc_u32_e32 v0, v0, v3
	s_delay_alu instid0(VALU_DEP_1)
	v_cmp_lt_i32_e32 vcc_lo, 0, v0
	s_and_b32 exec_lo, exec_lo, vcc_lo
	s_cbranch_execz .LBB4_2750
; %bb.2704:                             ;   in Loop: Header=BB4_49 Depth=1
	s_trap 2
	ds_load_b128 v[12:15], v0
	ds_load_b64 v[16:17], v0
	v_add3_u32 v18, v10, v30, v3
	s_mov_b32 s24, 0
	s_delay_alu instid0(VALU_DEP_1) | instskip(SKIP_1) | instid1(VALU_DEP_1)
	v_ashrrev_i32_e32 v19, 31, v18
	s_wait_dscnt 0x1
	v_add_nc_u64_e32 v[10:11], v[12:13], v[18:19]
	v_add_nc_u64_e32 v[12:13], v[14:15], v[18:19]
	s_wait_dscnt 0x0
	v_add_nc_u64_e32 v[14:15], v[16:17], v[18:19]
	s_branch .LBB4_2707
.LBB4_2705:                             ;   in Loop: Header=BB4_2707 Depth=2
	s_or_b32 exec_lo, exec_lo, s25
.LBB4_2706:                             ;   in Loop: Header=BB4_2707 Depth=2
	s_delay_alu instid0(SALU_CYCLE_1)
	s_or_b32 exec_lo, exec_lo, s10
	v_sub_nc_u32_e32 v0, v0, v66
	flat_store_b8 v[14:15], v17 th:TH_STORE_NT
	v_add_nc_u64_e32 v[10:11], v[10:11], v[66:67]
	v_add_nc_u64_e32 v[12:13], v[12:13], v[66:67]
	s_wait_xcnt 0x0
	v_add_nc_u64_e32 v[14:15], v[14:15], v[66:67]
	v_cmp_gt_i32_e32 vcc_lo, 1, v0
	s_or_b32 s24, vcc_lo, s24
	s_delay_alu instid0(SALU_CYCLE_1)
	s_and_not1_b32 exec_lo, exec_lo, s24
	s_cbranch_execz .LBB4_2750
.LBB4_2707:                             ;   Parent Loop BB4_49 Depth=1
                                        ; =>  This Inner Loop Header: Depth=2
	flat_load_i8 v64, v[10:11] th:TH_LOAD_NT
	flat_load_i8 v16, v[12:13] th:TH_LOAD_NT
	v_dual_mov_b32 v3, 0 :: v_dual_mov_b32 v18, 0
	s_mov_b32 s10, exec_lo
	s_wait_loadcnt_dscnt 0x101
	s_wait_xcnt 0x0
	v_cmpx_ne_u16_e32 0, v64
	s_cbranch_execz .LBB4_2717
; %bb.2708:                             ;   in Loop: Header=BB4_2707 Depth=2
	v_bfrev_b32_e32 v18, 1
	s_mov_b32 s25, exec_lo
	v_cmpx_ne_u16_e32 0xff80, v64
	s_cbranch_execz .LBB4_2716
; %bb.2709:                             ;   in Loop: Header=BB4_2707 Depth=2
	v_and_b32_e32 v18, 0x7c, v64
	v_and_b32_e32 v17, 3, v64
	s_delay_alu instid0(VALU_DEP_2) | instskip(SKIP_1) | instid1(SALU_CYCLE_1)
	v_cmp_ne_u32_e32 vcc_lo, 0x7c, v18
                                        ; implicit-def: $vgpr18
	s_and_saveexec_b32 s26, vcc_lo
	s_xor_b32 s26, exec_lo, s26
	s_cbranch_execz .LBB4_2713
; %bb.2710:                             ;   in Loop: Header=BB4_2707 Depth=2
	v_and_b32_e32 v18, 0xff, v64
	s_mov_b32 s27, exec_lo
	s_delay_alu instid0(VALU_DEP_1) | instskip(NEXT) | instid1(VALU_DEP_1)
	v_bfe_u32 v18, v18, 2, 5
	v_cmpx_eq_u32_e32 0, v18
; %bb.2711:                             ;   in Loop: Header=BB4_2707 Depth=2
	v_clz_i32_u32_e32 v17, v17
	s_delay_alu instid0(VALU_DEP_1) | instskip(NEXT) | instid1(VALU_DEP_1)
	v_min_u32_e32 v17, 32, v17
	v_subrev_nc_u32_e32 v18, 29, v17
	s_delay_alu instid0(VALU_DEP_1) | instskip(NEXT) | instid1(VALU_DEP_1)
	v_lshlrev_b64_e32 v[20:21], v18, v[64:65]
	v_dual_sub_nc_u32 v18, 30, v17 :: v_dual_bitop2_b32 v17, 3, v20 bitop3:0x40
; %bb.2712:                             ;   in Loop: Header=BB4_2707 Depth=2
	s_or_b32 exec_lo, exec_lo, s27
	v_bfe_i32 v19, v64, 0, 16
	s_delay_alu instid0(VALU_DEP_1) | instskip(NEXT) | instid1(VALU_DEP_1)
	v_and_b32_e32 v19, 0x80000000, v19
	v_lshl_add_u32 v18, v18, 23, v19
	s_delay_alu instid0(VALU_DEP_1) | instskip(NEXT) | instid1(VALU_DEP_1)
	v_lshl_or_b32 v17, v17, 21, v18
	v_add_nc_u32_e32 v18, 0x38000000, v17
                                        ; implicit-def: $vgpr17
.LBB4_2713:                             ;   in Loop: Header=BB4_2707 Depth=2
	s_and_not1_saveexec_b32 s26, s26
; %bb.2714:                             ;   in Loop: Header=BB4_2707 Depth=2
	v_cmp_lt_i16_e32 vcc_lo, -1, v64
	v_cndmask_b32_e32 v18, 0xff800000, v126, vcc_lo
	v_cmp_eq_u32_e32 vcc_lo, 0, v17
	s_delay_alu instid0(VALU_DEP_2)
	v_cndmask_b32_e32 v18, 0x7f800001, v18, vcc_lo
; %bb.2715:                             ;   in Loop: Header=BB4_2707 Depth=2
	s_or_b32 exec_lo, exec_lo, s26
.LBB4_2716:                             ;   in Loop: Header=BB4_2707 Depth=2
	s_delay_alu instid0(SALU_CYCLE_1)
	s_or_b32 exec_lo, exec_lo, s25
.LBB4_2717:                             ;   in Loop: Header=BB4_2707 Depth=2
	s_delay_alu instid0(SALU_CYCLE_1) | instskip(NEXT) | instid1(SALU_CYCLE_1)
	s_or_b32 exec_lo, exec_lo, s10
	s_mov_b32 s10, exec_lo
	s_wait_loadcnt_dscnt 0x0
	v_cmpx_ne_u16_e32 0, v16
	s_cbranch_execz .LBB4_2727
; %bb.2718:                             ;   in Loop: Header=BB4_2707 Depth=2
	v_bfrev_b32_e32 v3, 1
	s_mov_b32 s25, exec_lo
	v_cmpx_ne_u16_e32 0xff80, v16
	s_cbranch_execz .LBB4_2726
; %bb.2719:                             ;   in Loop: Header=BB4_2707 Depth=2
	v_and_b32_e32 v3, 0x7c, v16
	v_and_b32_e32 v17, 3, v16
	s_delay_alu instid0(VALU_DEP_2) | instskip(SKIP_1) | instid1(SALU_CYCLE_1)
	v_cmp_ne_u32_e32 vcc_lo, 0x7c, v3
                                        ; implicit-def: $vgpr3
	s_and_saveexec_b32 s26, vcc_lo
	s_xor_b32 s26, exec_lo, s26
	s_cbranch_execz .LBB4_2723
; %bb.2720:                             ;   in Loop: Header=BB4_2707 Depth=2
	v_and_b32_e32 v3, 0xff, v16
	s_mov_b32 s27, exec_lo
	s_delay_alu instid0(VALU_DEP_1) | instskip(NEXT) | instid1(VALU_DEP_1)
	v_bfe_u32 v3, v3, 2, 5
	v_cmpx_eq_u32_e32 0, v3
	s_cbranch_execz .LBB4_2722
; %bb.2721:                             ;   in Loop: Header=BB4_2707 Depth=2
	v_clz_i32_u32_e32 v3, v17
	s_delay_alu instid0(VALU_DEP_1) | instskip(SKIP_1) | instid1(VALU_DEP_2)
	v_min_u32_e32 v3, 32, v3
	v_mov_b32_e32 v17, v65
	v_subrev_nc_u32_e32 v19, 29, v3
	v_sub_nc_u32_e32 v3, 30, v3
	s_delay_alu instid0(VALU_DEP_2) | instskip(NEXT) | instid1(VALU_DEP_1)
	v_lshlrev_b64_e32 v[20:21], v19, v[16:17]
	v_and_b32_e32 v17, 3, v20
.LBB4_2722:                             ;   in Loop: Header=BB4_2707 Depth=2
	s_or_b32 exec_lo, exec_lo, s27
	v_bfe_i32 v16, v16, 0, 16
	s_delay_alu instid0(VALU_DEP_1) | instskip(NEXT) | instid1(VALU_DEP_1)
	v_and_b32_e32 v16, 0x80000000, v16
	v_lshl_add_u32 v3, v3, 23, v16
                                        ; implicit-def: $vgpr16
	s_delay_alu instid0(VALU_DEP_1) | instskip(NEXT) | instid1(VALU_DEP_1)
	v_lshl_or_b32 v3, v17, 21, v3
                                        ; implicit-def: $vgpr17
	v_add_nc_u32_e32 v3, 0x38000000, v3
.LBB4_2723:                             ;   in Loop: Header=BB4_2707 Depth=2
	s_and_not1_saveexec_b32 s26, s26
; %bb.2724:                             ;   in Loop: Header=BB4_2707 Depth=2
	v_cmp_lt_i16_e32 vcc_lo, -1, v16
	v_cndmask_b32_e32 v3, 0xff800000, v126, vcc_lo
	v_cmp_eq_u32_e32 vcc_lo, 0, v17
	s_delay_alu instid0(VALU_DEP_2)
	v_cndmask_b32_e32 v3, 0x7f800001, v3, vcc_lo
; %bb.2725:                             ;   in Loop: Header=BB4_2707 Depth=2
	s_or_b32 exec_lo, exec_lo, s26
.LBB4_2726:                             ;   in Loop: Header=BB4_2707 Depth=2
	s_delay_alu instid0(SALU_CYCLE_1)
	s_or_b32 exec_lo, exec_lo, s25
.LBB4_2727:                             ;   in Loop: Header=BB4_2707 Depth=2
	s_delay_alu instid0(SALU_CYCLE_1) | instskip(NEXT) | instid1(VALU_DEP_1)
	s_or_b32 exec_lo, exec_lo, s10
	v_dual_mul_f32 v16, v18, v3 :: v_dual_mov_b32 v19, v65
                                        ; implicit-def: $vgpr17
	s_mov_b32 s10, exec_lo
	s_delay_alu instid0(VALU_DEP_1) | instskip(SKIP_1) | instid1(VALU_DEP_2)
	v_and_b32_e32 v18, 0x7f800000, v16
	v_and_b32_e32 v64, 0x7fffff, v16
	v_cmpx_ne_u64_e32 0x7f800000, v[18:19]
	s_xor_b32 s25, exec_lo, s10
	s_cbranch_execz .LBB4_2745
; %bb.2728:                             ;   in Loop: Header=BB4_2707 Depth=2
	v_dual_mov_b32 v19, v65 :: v_dual_lshrrev_b32 v3, 24, v16
	v_and_b32_e32 v18, 0x7fffffff, v16
                                        ; implicit-def: $vgpr17
	s_mov_b32 s10, exec_lo
	s_delay_alu instid0(VALU_DEP_2) | instskip(NEXT) | instid1(VALU_DEP_2)
	v_and_b32_e32 v3, 0x80, v3
	v_cmpx_gt_u64_e32 0x47600001, v[18:19]
	s_xor_b32 s26, exec_lo, s10
	s_cbranch_execz .LBB4_2742
; %bb.2729:                             ;   in Loop: Header=BB4_2707 Depth=2
	v_mov_b32_e32 v17, 0
	s_mov_b32 s27, exec_lo
	v_cmpx_ne_u32_e32 0, v16
	s_cbranch_execz .LBB4_2741
; %bb.2730:                             ;   in Loop: Header=BB4_2707 Depth=2
	v_bfe_u32 v20, v16, 23, 8
	v_or_b32_e32 v18, 0x800000, v64
	s_delay_alu instid0(VALU_DEP_2) | instskip(SKIP_1) | instid1(VALU_DEP_2)
	v_sub_nc_u32_e32 v16, 0x71, v20
	v_cmp_gt_u32_e32 vcc_lo, 0x72, v20
	v_cndmask_b32_e32 v16, 0, v16, vcc_lo
	v_cmp_eq_u32_e32 vcc_lo, 0, v20
	s_delay_alu instid0(VALU_DEP_2) | instskip(NEXT) | instid1(VALU_DEP_1)
	v_cndmask_b32_e64 v21, v16, 0x70, vcc_lo
	v_dual_cndmask_b32 v64, v18, v64, vcc_lo :: v_dual_add_nc_u32 v16, 21, v21
	v_add_nc_u32_e32 v19, 20, v21
	s_delay_alu instid0(VALU_DEP_2) | instskip(NEXT) | instid1(VALU_DEP_2)
	v_lshlrev_b64_e64 v[16:17], v16, -1
	v_lshlrev_b64_e64 v[18:19], v19, 1
	s_delay_alu instid0(VALU_DEP_2) | instskip(NEXT) | instid1(VALU_DEP_3)
	v_bfi_b32 v23, v17, 0, 0
	v_bfi_b32 v22, v16, 0, v64
	v_lshrrev_b64 v[16:17], v21, v[64:65]
	s_delay_alu instid0(VALU_DEP_2) | instskip(NEXT) | instid1(VALU_DEP_2)
	v_cmp_eq_u64_e64 s10, v[22:23], v[18:19]
	v_mov_b64_e32 v[18:19], v[16:17]
	s_and_saveexec_b32 s28, s10
; %bb.2731:                             ;   in Loop: Header=BB4_2707 Depth=2
	v_bfe_u32 v64, v16, 21, 1
	s_delay_alu instid0(VALU_DEP_1) | instskip(NEXT) | instid1(VALU_DEP_1)
	v_add_nc_u64_e32 v[18:19], v[16:17], v[64:65]
	v_add_nc_u64_e32 v[18:19], -1, v[18:19]
; %bb.2732:                             ;   in Loop: Header=BB4_2707 Depth=2
	s_or_b32 exec_lo, exec_lo, s28
	v_add_nc_u32_e32 v17, 0xffffff81, v20
	v_lshrrev_b32_e32 v19, 23, v16
	s_mov_b32 s10, exec_lo
	s_delay_alu instid0(VALU_DEP_2) | instskip(NEXT) | instid1(VALU_DEP_1)
	v_cndmask_b32_e64 v17, v17, 0xffffff82, vcc_lo
	v_add3_u32 v19, v21, v17, v19
	v_and_b32_e32 v17, 0x1fffff, v18
                                        ; implicit-def: $vgpr18
	s_delay_alu instid0(VALU_DEP_1) | instskip(NEXT) | instid1(VALU_DEP_1)
	v_dual_add_nc_u32 v20, 14, v19 :: v_dual_add_nc_u32 v64, v17, v16
                                        ; implicit-def: $vgpr16_vgpr17
	v_cmpx_ne_u32_e32 0, v20
	s_xor_b32 s10, exec_lo, s10
; %bb.2733:                             ;   in Loop: Header=BB4_2707 Depth=2
	s_delay_alu instid0(VALU_DEP_2) | instskip(SKIP_1) | instid1(VALU_DEP_1)
	v_cmp_lt_u64_e32 vcc_lo, 0xffffff, v[64:65]
	v_add_nc_u32_e32 v16, 15, v19
	v_cndmask_b32_e32 v18, v20, v16, vcc_lo
	v_cndmask_b32_e64 v16, 0, 1, vcc_lo
	s_delay_alu instid0(VALU_DEP_1)
	v_lshrrev_b64 v[16:17], v16, v[64:65]
; %bb.2734:                             ;   in Loop: Header=BB4_2707 Depth=2
	s_and_not1_saveexec_b32 s10, s10
; %bb.2735:                             ;   in Loop: Header=BB4_2707 Depth=2
	v_mov_b64_e32 v[16:17], v[64:65]
	v_bfe_u32 v18, v64, 23, 1
; %bb.2736:                             ;   in Loop: Header=BB4_2707 Depth=2
	s_or_b32 exec_lo, exec_lo, s10
	s_delay_alu instid0(VALU_DEP_2) | instskip(NEXT) | instid1(VALU_DEP_2)
	v_lshrrev_b64 v[16:17], 21, v[16:17]
	v_cmp_gt_i32_e32 vcc_lo, 32, v18
	v_cmp_ne_u32_e64 s10, 0, v18
	s_delay_alu instid0(VALU_DEP_3) | instskip(NEXT) | instid1(VALU_DEP_1)
	v_dual_cndmask_b32 v17, 0, v17 :: v_dual_cndmask_b32 v16, 3, v16
	v_cmp_ne_u64_e32 vcc_lo, 0, v[16:17]
                                        ; implicit-def: $vgpr17
	s_or_b32 s10, s10, vcc_lo
	s_delay_alu instid0(SALU_CYCLE_1) | instskip(NEXT) | instid1(SALU_CYCLE_1)
	s_and_saveexec_b32 s28, s10
	s_xor_b32 s10, exec_lo, s28
; %bb.2737:                             ;   in Loop: Header=BB4_2707 Depth=2
	v_min_i32_e32 v17, 31, v18
	s_delay_alu instid0(VALU_DEP_1) | instskip(NEXT) | instid1(VALU_DEP_1)
	v_lshl_or_b32 v3, v17, 2, v3
	v_and_or_b32 v17, v16, 3, v3
                                        ; implicit-def: $vgpr3
; %bb.2738:                             ;   in Loop: Header=BB4_2707 Depth=2
	s_and_not1_saveexec_b32 s10, s10
; %bb.2739:                             ;   in Loop: Header=BB4_2707 Depth=2
	v_mov_b32_e32 v17, v3
; %bb.2740:                             ;   in Loop: Header=BB4_2707 Depth=2
	s_or_b32 exec_lo, exec_lo, s10
.LBB4_2741:                             ;   in Loop: Header=BB4_2707 Depth=2
	s_delay_alu instid0(SALU_CYCLE_1)
	s_or_b32 exec_lo, exec_lo, s27
                                        ; implicit-def: $vgpr3
.LBB4_2742:                             ;   in Loop: Header=BB4_2707 Depth=2
	s_and_not1_saveexec_b32 s10, s26
; %bb.2743:                             ;   in Loop: Header=BB4_2707 Depth=2
	v_or_b32_e32 v17, 0x7b, v3
; %bb.2744:                             ;   in Loop: Header=BB4_2707 Depth=2
	s_or_b32 exec_lo, exec_lo, s10
                                        ; implicit-def: $vgpr16
.LBB4_2745:                             ;   in Loop: Header=BB4_2707 Depth=2
	s_and_not1_saveexec_b32 s10, s25
	s_cbranch_execz .LBB4_2706
; %bb.2746:                             ;   in Loop: Header=BB4_2707 Depth=2
	s_mov_b32 s25, exec_lo
                                        ; implicit-def: $vgpr17
	v_cmpx_ne_u64_e32 0, v[64:65]
	s_xor_b32 s25, exec_lo, s25
; %bb.2747:                             ;   in Loop: Header=BB4_2707 Depth=2
	v_lshrrev_b32_e32 v3, 24, v16
                                        ; implicit-def: $vgpr16
	s_delay_alu instid0(VALU_DEP_1)
	v_or_b32_e32 v17, 0x7f, v3
; %bb.2748:                             ;   in Loop: Header=BB4_2707 Depth=2
	s_and_not1_saveexec_b32 s25, s25
	s_cbranch_execz .LBB4_2705
; %bb.2749:                             ;   in Loop: Header=BB4_2707 Depth=2
	v_cmp_lt_i32_e32 vcc_lo, -1, v16
	v_cndmask_b32_e64 v17, -4, 0x7c, vcc_lo
	s_branch .LBB4_2705
.LBB4_2750:                             ;   in Loop: Header=BB4_49 Depth=1
	s_or_b32 exec_lo, exec_lo, s11
	v_cmp_ne_u32_e64 s10, 0, v69
	s_and_saveexec_b32 s11, s2
	s_cbranch_execz .LBB4_2769
.LBB4_2751:                             ;   in Loop: Header=BB4_49 Depth=1
	s_and_saveexec_b32 s24, s3
	s_delay_alu instid0(SALU_CYCLE_1)
	s_xor_b32 s24, exec_lo, s24
	s_cbranch_execz .LBB4_2766
; %bb.2752:                             ;   in Loop: Header=BB4_49 Depth=1
	s_and_saveexec_b32 s25, s4
	s_cbranch_execz .LBB4_2765
; %bb.2753:                             ;   in Loop: Header=BB4_49 Depth=1
	s_mov_b32 s27, exec_lo
	s_mov_b32 s26, exec_lo
	v_mbcnt_lo_u32_b32 v0, s27, 0
	global_wb scope:SCOPE_DEV
	s_wait_storecnt 0x0
	s_wait_loadcnt_dscnt 0x0
	global_inv scope:SCOPE_DEV
	v_cmpx_eq_u32_e32 0, v0
	s_cbranch_execz .LBB4_2755
; %bb.2754:                             ;   in Loop: Header=BB4_49 Depth=1
	s_bcnt1_i32_b32 s27, s27
	s_delay_alu instid0(SALU_CYCLE_1)
	v_mov_b32_e32 v64, s27
	s_wait_loadcnt 0x0
	ds_add_u64 v0, v[64:65]
	s_trap 2
.LBB4_2755:                             ;   in Loop: Header=BB4_49 Depth=1
	s_or_b32 exec_lo, exec_lo, s26
	s_trap 2
	ds_load_b64 v[10:11], v0
	s_wait_dscnt 0x0
	v_add_nc_u64_e32 v[48:49], v[48:49], v[54:55]
	s_mov_b32 s26, exec_lo
	s_delay_alu instid0(VALU_DEP_1)
	v_cmpx_lt_u64_e64 v[10:11], v[48:49]
	s_cbranch_execz .LBB4_2764
; %bb.2756:                             ;   in Loop: Header=BB4_49 Depth=1
	s_mov_b32 s27, 0
	s_mov_b32 s40, 0
                                        ; implicit-def: $sgpr28
                                        ; implicit-def: $sgpr29
	s_branch .LBB4_2758
.LBB4_2757:                             ;   in Loop: Header=BB4_2758 Depth=2
	s_or_b32 exec_lo, exec_lo, s42
	s_delay_alu instid0(SALU_CYCLE_1) | instskip(NEXT) | instid1(SALU_CYCLE_1)
	s_and_b32 s41, exec_lo, s43
	s_or_b32 s27, s41, s27
	s_and_not1_b32 s28, s28, exec_lo
	s_and_b32 s41, s29, exec_lo
	s_delay_alu instid0(SALU_CYCLE_1)
	s_or_b32 s28, s28, s41
	s_and_not1_b32 exec_lo, exec_lo, s27
	s_cbranch_execz .LBB4_2762
.LBB4_2758:                             ;   Parent Loop BB4_49 Depth=1
                                        ; =>  This Inner Loop Header: Depth=2
	s_add_co_i32 s40, s40, 1
	s_delay_alu instid0(SALU_CYCLE_1) | instskip(SKIP_1) | instid1(SALU_CYCLE_1)
	s_cmp_lg_u32 s40, 0x2710
	s_cselect_b32 s41, -1, 0
	s_and_b32 vcc_lo, exec_lo, s41
	s_cbranch_vccz .LBB4_2760
; %bb.2759:                             ;   in Loop: Header=BB4_2758 Depth=2
	s_mov_b32 s43, -1
	s_or_b32 s29, s29, exec_lo
	s_and_saveexec_b32 s42, s41
	s_cbranch_execz .LBB4_2757
	s_branch .LBB4_2761
.LBB4_2760:                             ;   in Loop: Header=BB4_2758 Depth=2
	s_trap 2
	ds_load_b64 v[10:11], v0
	s_and_not1_b32 s41, s41, exec_lo
	s_mov_b32 s40, 0
	s_wait_loadcnt_dscnt 0x0
	flat_load_b32 v0, v[10:11] scope:SCOPE_SYS
	s_wait_loadcnt_dscnt 0x0
	global_inv scope:SCOPE_SYS
	v_cmp_eq_u32_e32 vcc_lo, 0, v0
	s_and_b32 s42, vcc_lo, exec_lo
	s_delay_alu instid0(SALU_CYCLE_1)
	s_or_b32 s41, s41, s42
	s_mov_b32 s43, -1
	s_or_b32 s29, s29, exec_lo
	s_and_saveexec_b32 s42, s41
	s_cbranch_execz .LBB4_2757
.LBB4_2761:                             ;   in Loop: Header=BB4_2758 Depth=2
	s_sleep 1
	s_trap 2
	ds_load_b64 v[10:11], v0
	s_wait_dscnt 0x0
	s_and_not1_b32 s29, s29, exec_lo
	v_cmp_ge_u64_e32 vcc_lo, v[10:11], v[48:49]
	s_or_not1_b32 s43, vcc_lo, exec_lo
	s_branch .LBB4_2757
.LBB4_2762:                             ;   in Loop: Header=BB4_49 Depth=1
	s_or_b32 exec_lo, exec_lo, s27
	s_and_saveexec_b32 s27, s28
	s_delay_alu instid0(SALU_CYCLE_1)
	s_xor_b32 s27, exec_lo, s27
	s_cbranch_execz .LBB4_2764
; %bb.2763:                             ;   in Loop: Header=BB4_49 Depth=1
	ds_store_b32 v0, v124
	s_trap 2
.LBB4_2764:                             ;   in Loop: Header=BB4_49 Depth=1
	s_or_b32 exec_lo, exec_lo, s26
	;;#ASMSTART
	s_wakeup
	;;#ASMEND
.LBB4_2765:                             ;   in Loop: Header=BB4_49 Depth=1
	s_or_b32 exec_lo, exec_lo, s25
.LBB4_2766:                             ;   in Loop: Header=BB4_49 Depth=1
	s_and_not1_saveexec_b32 s24, s24
	s_cbranch_execz .LBB4_2768
; %bb.2767:                             ;   in Loop: Header=BB4_49 Depth=1
	global_wb scope:SCOPE_DEV
	s_wait_storecnt 0x0
	s_wait_loadcnt_dscnt 0x0
	global_inv scope:SCOPE_DEV
	s_barrier_signal -1
	s_barrier_wait -1
.LBB4_2768:                             ;   in Loop: Header=BB4_49 Depth=1
	s_or_b32 exec_lo, exec_lo, s24
.LBB4_2769:                             ;   in Loop: Header=BB4_49 Depth=1
	s_delay_alu instid0(SALU_CYCLE_1) | instskip(SKIP_1) | instid1(VALU_DEP_1)
	s_or_b32 exec_lo, exec_lo, s11
	v_and_b32_e32 v0, 16, v120
	v_cmp_ne_u32_e32 vcc_lo, 0, v0
	s_and_b32 s11, vcc_lo, s10
	s_delay_alu instid0(SALU_CYCLE_1)
	s_and_saveexec_b32 s10, s11
	s_cbranch_execz .LBB4_2771
; %bb.2770:                             ;   in Loop: Header=BB4_49 Depth=1
	global_wb scope:SCOPE_SYS
	s_wait_storecnt 0x0
	s_wait_loadcnt_dscnt 0x0
	global_inv scope:SCOPE_SYS
.LBB4_2771:                             ;   in Loop: Header=BB4_49 Depth=1
	s_or_b32 exec_lo, exec_lo, s10
	v_cmp_ne_u32_e32 vcc_lo, 0, v0
	s_xor_b32 s10, s7, -1
	s_delay_alu instid0(SALU_CYCLE_1) | instskip(NEXT) | instid1(SALU_CYCLE_1)
	s_and_b32 s11, vcc_lo, s10
	s_and_saveexec_b32 s10, s11
	s_cbranch_execz .LBB4_2773
; %bb.2772:                             ;   in Loop: Header=BB4_49 Depth=1
	global_wb scope:SCOPE_SYS
	s_wait_storecnt 0x0
	s_wait_loadcnt_dscnt 0x0
	flat_store_b32 v[52:53], v124 scope:SCOPE_SYS
.LBB4_2773:                             ;   in Loop: Header=BB4_49 Depth=1
	s_wait_xcnt 0x0
	s_or_b32 exec_lo, exec_lo, s10
	v_and_b32_e32 v0, 48, v120
	s_mov_b32 s10, exec_lo
	s_delay_alu instid0(VALU_DEP_1)
	v_cmpx_ne_u32_e32 0, v0
	s_cbranch_execz .LBB4_2775
; %bb.2774:                             ;   in Loop: Header=BB4_49 Depth=1
	v_add_nc_u64_e32 v[8:9], 1, v[8:9]
	global_wb scope:SCOPE_SYS
	s_wait_storecnt 0x0
	s_wait_loadcnt_dscnt 0x0
	flat_store_b64 v[32:33], v[8:9] scope:SCOPE_SYS
.LBB4_2775:                             ;   in Loop: Header=BB4_49 Depth=1
	s_wait_xcnt 0x0
	s_or_b32 exec_lo, exec_lo, s10
	v_mov_b32_e32 v0, v96
.LBB4_2776:                             ;   in Loop: Header=BB4_49 Depth=1
	s_or_b32 exec_lo, exec_lo, s23
	s_and_saveexec_b32 s11, s22
	s_cbranch_execz .LBB4_48
; %bb.2777:                             ;   in Loop: Header=BB4_49 Depth=1
	s_delay_alu instid0(VALU_DEP_1) | instskip(SKIP_2) | instid1(VALU_DEP_2)
	v_sub_nc_u32_e32 v0, v86, v0
	v_and_b32_e32 v3, 12, v120
	s_mov_b32 s22, exec_lo
	v_min_i32_e32 v10, v96, v0
	s_delay_alu instid0(VALU_DEP_2)
	v_cmpx_ne_u32_e32 0, v3
	s_cbranch_execz .LBB4_2803
; %bb.2778:                             ;   in Loop: Header=BB4_49 Depth=1
	v_and_b32_e32 v64, 8, v120
	v_add_nc_u64_e32 v[12:13], 1, v[8:9]
	s_mov_b32 s23, exec_lo
	s_wait_loadcnt 0x0
	s_delay_alu instid0(VALU_DEP_2) | instskip(NEXT) | instid1(VALU_DEP_1)
	v_add_nc_u64_e32 v[14:15], v[38:39], v[64:65]
	v_cmpx_lt_u64_e64 v[14:15], v[12:13]
	s_cbranch_execz .LBB4_2790
; %bb.2779:                             ;   in Loop: Header=BB4_49 Depth=1
	v_and_b32_e32 v0, 64, v120
	s_mov_b32 s24, 0
	s_mov_b32 s28, 0
                                        ; implicit-def: $sgpr25
                                        ; implicit-def: $sgpr26
                                        ; implicit-def: $sgpr27
	s_delay_alu instid0(VALU_DEP_1)
	v_cmp_eq_u32_e32 vcc_lo, 0, v0
	s_branch .LBB4_2783
.LBB4_2780:                             ;   in Loop: Header=BB4_2783 Depth=2
	s_wait_loadcnt_dscnt 0x0
	v_add_nc_u64_e32 v[14:15], v[38:39], v[64:65]
	s_or_b32 s41, s41, exec_lo
	s_delay_alu instid0(VALU_DEP_1)
	v_cmp_ge_u64_e64 s10, v[14:15], v[12:13]
	s_or_not1_b32 s40, s10, exec_lo
.LBB4_2781:                             ;   in Loop: Header=BB4_2783 Depth=2
	s_or_b32 exec_lo, exec_lo, s43
	s_delay_alu instid0(SALU_CYCLE_1)
	s_and_not1_b32 s10, s27, exec_lo
	s_and_b32 s27, s41, exec_lo
	s_and_not1_b32 s26, s26, exec_lo
	s_and_b32 s40, s40, exec_lo
	s_or_b32 s27, s10, s27
	s_or_b32 s26, s26, s40
.LBB4_2782:                             ;   in Loop: Header=BB4_2783 Depth=2
	s_or_b32 exec_lo, exec_lo, s29
	s_delay_alu instid0(SALU_CYCLE_1) | instskip(NEXT) | instid1(SALU_CYCLE_1)
	s_and_b32 s10, exec_lo, s26
	s_or_b32 s24, s10, s24
	s_and_not1_b32 s10, s25, exec_lo
	s_and_b32 s25, s27, exec_lo
	s_delay_alu instid0(SALU_CYCLE_1)
	s_or_b32 s25, s10, s25
	s_and_not1_b32 exec_lo, exec_lo, s24
	s_cbranch_execz .LBB4_2787
.LBB4_2783:                             ;   Parent Loop BB4_49 Depth=1
                                        ; =>  This Inner Loop Header: Depth=2
	s_sleep 1
	s_wait_loadcnt_dscnt 0x0
	flat_load_b64 v[38:39], v[32:33] scope:SCOPE_SYS
	s_or_b32 s27, s27, exec_lo
	s_or_b32 s26, s26, exec_lo
                                        ; implicit-def: $vgpr0
	s_wait_xcnt 0x0
	s_and_saveexec_b32 s29, vcc_lo
	s_cbranch_execz .LBB4_2782
; %bb.2784:                             ;   in Loop: Header=BB4_2783 Depth=2
	s_cmp_lt_i32 s28, 0x270f
	s_mov_b32 s40, -1
	s_cselect_b32 s42, -1, 0
	s_cmp_gt_i32 s28, 0x270e
	s_cbranch_scc0 .LBB4_2786
; %bb.2785:                             ;   in Loop: Header=BB4_2783 Depth=2
	s_trap 2
	ds_load_b64 v[14:15], v0
	s_and_not1_b32 s28, s42, exec_lo
	s_mov_b32 s41, 0
	s_wait_storecnt 0x0
	s_wait_loadcnt_dscnt 0x0
	flat_load_b32 v0, v[14:15] scope:SCOPE_SYS
	s_wait_loadcnt_dscnt 0x0
	global_inv scope:SCOPE_SYS
	v_cmp_eq_u32_e64 s10, 0, v0
	s_and_b32 s10, s10, exec_lo
	s_delay_alu instid0(SALU_CYCLE_1)
	s_or_b32 s42, s28, s10
	s_mov_b32 s28, 0
	s_and_saveexec_b32 s43, s42
	s_cbranch_execz .LBB4_2781
	s_branch .LBB4_2780
.LBB4_2786:                             ;   in Loop: Header=BB4_2783 Depth=2
	s_add_co_i32 s28, s28, 1
	s_mov_b32 s41, -1
                                        ; implicit-def: $vgpr0
	s_and_saveexec_b32 s43, s42
	s_cbranch_execz .LBB4_2781
	s_branch .LBB4_2780
.LBB4_2787:                             ;   in Loop: Header=BB4_49 Depth=1
	s_or_b32 exec_lo, exec_lo, s24
	s_xor_b32 s10, s25, -1
	s_delay_alu instid0(SALU_CYCLE_1) | instskip(NEXT) | instid1(SALU_CYCLE_1)
	s_and_saveexec_b32 s24, s10
	s_xor_b32 s10, exec_lo, s24
	s_cbranch_execz .LBB4_2789
; %bb.2788:                             ;   in Loop: Header=BB4_49 Depth=1
	v_or_b32_e32 v120, 64, v120
	s_wait_storecnt 0x0
	s_wait_loadcnt_dscnt 0x0
	ds_store_b32 v0, v0
	s_trap 2
.LBB4_2789:                             ;   in Loop: Header=BB4_49 Depth=1
	s_or_b32 exec_lo, exec_lo, s10
.LBB4_2790:                             ;   in Loop: Header=BB4_49 Depth=1
	s_delay_alu instid0(SALU_CYCLE_1) | instskip(SKIP_4) | instid1(VALU_DEP_2)
	s_or_b32 exec_lo, exec_lo, s23
	v_and_b32_e32 v0, 0x108, v120
	v_and_b32_e32 v8, 7, v8
	s_mov_b32 s10, exec_lo
	;;#ASMSTART
	s_wakeup
	;;#ASMEND
	v_cmpx_ne_u32_e32 0x108, v0
	s_xor_b32 s10, exec_lo, s10
; %bb.2791:                             ;   in Loop: Header=BB4_49 Depth=1
	v_mov_b32_e32 v9, v65
; %bb.2792:                             ;   in Loop: Header=BB4_49 Depth=1
	s_and_not1_saveexec_b32 s10, s10
	s_cbranch_execz .LBB4_2794
; %bb.2793:                             ;   in Loop: Header=BB4_49 Depth=1
	v_mad_nc_u64_u32 v[14:15], v8, 24, v[6:7]
	v_dual_ashrrev_i32 v11, 31, v10 :: v_dual_mov_b32 v9, v65
	flat_store_b64 v[14:15], v[10:11] offset:8
.LBB4_2794:                             ;   in Loop: Header=BB4_49 Depth=1
	s_wait_xcnt 0x0
	s_or_b32 exec_lo, exec_lo, s10
	v_and_b32_e32 v0, 0x100, v120
	s_mov_b32 s10, -1
	s_mov_b32 s23, exec_lo
                                        ; implicit-def: $vgpr14_vgpr15
	s_delay_alu instid0(VALU_DEP_1)
	v_cmpx_ne_u32_e32 0, v0
	s_cbranch_execz .LBB4_2798
; %bb.2795:                             ;   in Loop: Header=BB4_49 Depth=1
	v_mad_nc_u64_u32 v[16:17], v8, 24, v[6:7]
	s_mov_b32 s24, exec_lo
                                        ; implicit-def: $vgpr14_vgpr15
	s_delay_alu instid0(VALU_DEP_1)
	v_mad_u32 v17, v9, 24, v17
	flat_load_b32 v0, v[16:17]
	s_wait_loadcnt_dscnt 0x0
	v_cmp_ne_u32_e32 vcc_lo, 1, v0
	s_wait_xcnt 0x0
	v_cmpx_eq_u32_e32 1, v0
	s_cbranch_execz .LBB4_2797
; %bb.2796:                             ;   in Loop: Header=BB4_49 Depth=1
	flat_load_b32 v14, v[16:17] offset:4 scope:SCOPE_SYS
	s_wait_loadcnt_dscnt 0x0
	v_ashrrev_i32_e32 v15, 31, v14
.LBB4_2797:                             ;   in Loop: Header=BB4_49 Depth=1
	s_wait_xcnt 0x0
	s_or_b32 exec_lo, exec_lo, s24
	s_delay_alu instid0(SALU_CYCLE_1)
	s_or_not1_b32 s10, vcc_lo, exec_lo
.LBB4_2798:                             ;   in Loop: Header=BB4_49 Depth=1
	s_or_b32 exec_lo, exec_lo, s23
	s_and_saveexec_b32 s23, s10
; %bb.2799:                             ;   in Loop: Header=BB4_49 Depth=1
	v_mul_u64_e32 v[14:15], v[8:9], v[34:35]
; %bb.2800:                             ;   in Loop: Header=BB4_49 Depth=1
	s_or_b32 exec_lo, exec_lo, s23
	v_cmp_eq_u32_e32 vcc_lo, 0, v64
	s_delay_alu instid0(VALU_DEP_2) | instskip(SKIP_3) | instid1(VALU_DEP_1)
	v_add_nc_u64_e32 v[8:9], v[36:37], v[14:15]
	v_and_b32_e32 v3, 0x2000, v120
	s_mov_b32 s10, exec_lo
	v_cndmask_b32_e32 v0, 0xc8, v125, vcc_lo
	v_add_nc_u32_e32 v0, v0, v0
	ds_store_b64 v0, v[8:9] offset:584
	v_cmpx_ne_u32_e32 0, v3
	s_cbranch_execz .LBB4_2802
; %bb.2801:                             ;   in Loop: Header=BB4_49 Depth=1
	ds_load_b64 v[8:9], v0 offset:872
	s_wait_dscnt 0x0
	v_add_nc_u64_e32 v[8:9], 1, v[8:9]
	ds_store_b64 v0, v[8:9] offset:872
.LBB4_2802:                             ;   in Loop: Header=BB4_49 Depth=1
	s_or_b32 exec_lo, exec_lo, s10
	v_mov_b64_e32 v[8:9], v[12:13]
.LBB4_2803:                             ;   in Loop: Header=BB4_49 Depth=1
	s_or_b32 exec_lo, exec_lo, s22
	s_and_saveexec_b32 s10, s2
	s_cbranch_execz .LBB4_2822
; %bb.2804:                             ;   in Loop: Header=BB4_49 Depth=1
	s_and_saveexec_b32 s22, s3
	s_delay_alu instid0(SALU_CYCLE_1)
	s_xor_b32 s22, exec_lo, s22
	s_cbranch_execz .LBB4_2819
; %bb.2805:                             ;   in Loop: Header=BB4_49 Depth=1
	s_and_saveexec_b32 s23, s4
	s_cbranch_execz .LBB4_2818
; %bb.2806:                             ;   in Loop: Header=BB4_49 Depth=1
	s_mov_b32 s25, exec_lo
	s_mov_b32 s24, exec_lo
	v_mbcnt_lo_u32_b32 v0, s25, 0
	global_wb scope:SCOPE_DEV
	s_wait_storecnt 0x0
	s_wait_loadcnt_dscnt 0x0
	global_inv scope:SCOPE_DEV
	v_cmpx_eq_u32_e32 0, v0
	s_cbranch_execz .LBB4_2808
; %bb.2807:                             ;   in Loop: Header=BB4_49 Depth=1
	s_bcnt1_i32_b32 s25, s25
	s_delay_alu instid0(SALU_CYCLE_1)
	v_mov_b32_e32 v64, s25
	s_wait_loadcnt 0x0
	ds_add_u64 v0, v[64:65]
	s_trap 2
.LBB4_2808:                             ;   in Loop: Header=BB4_49 Depth=1
	s_or_b32 exec_lo, exec_lo, s24
	s_trap 2
	ds_load_b64 v[12:13], v0
	s_wait_dscnt 0x0
	v_add_nc_u64_e32 v[48:49], v[48:49], v[54:55]
	s_mov_b32 s24, exec_lo
	s_delay_alu instid0(VALU_DEP_1)
	v_cmpx_lt_u64_e64 v[12:13], v[48:49]
	s_cbranch_execz .LBB4_2817
; %bb.2809:                             ;   in Loop: Header=BB4_49 Depth=1
	s_mov_b32 s25, 0
	s_mov_b32 s28, 0
                                        ; implicit-def: $sgpr26
                                        ; implicit-def: $sgpr27
	s_branch .LBB4_2811
.LBB4_2810:                             ;   in Loop: Header=BB4_2811 Depth=2
	s_or_b32 exec_lo, exec_lo, s40
	s_delay_alu instid0(SALU_CYCLE_1) | instskip(NEXT) | instid1(SALU_CYCLE_1)
	s_and_b32 s29, exec_lo, s41
	s_or_b32 s25, s29, s25
	s_and_not1_b32 s26, s26, exec_lo
	s_and_b32 s29, s27, exec_lo
	s_delay_alu instid0(SALU_CYCLE_1)
	s_or_b32 s26, s26, s29
	s_and_not1_b32 exec_lo, exec_lo, s25
	s_cbranch_execz .LBB4_2815
.LBB4_2811:                             ;   Parent Loop BB4_49 Depth=1
                                        ; =>  This Inner Loop Header: Depth=2
	s_add_co_i32 s28, s28, 1
	s_delay_alu instid0(SALU_CYCLE_1) | instskip(SKIP_1) | instid1(SALU_CYCLE_1)
	s_cmp_lg_u32 s28, 0x2710
	s_cselect_b32 s29, -1, 0
	s_and_b32 vcc_lo, exec_lo, s29
	s_cbranch_vccz .LBB4_2813
; %bb.2812:                             ;   in Loop: Header=BB4_2811 Depth=2
	s_mov_b32 s41, -1
	s_or_b32 s27, s27, exec_lo
	s_and_saveexec_b32 s40, s29
	s_cbranch_execz .LBB4_2810
	s_branch .LBB4_2814
.LBB4_2813:                             ;   in Loop: Header=BB4_2811 Depth=2
	s_trap 2
	ds_load_b64 v[12:13], v0
	s_and_not1_b32 s29, s29, exec_lo
	s_mov_b32 s28, 0
	s_wait_loadcnt_dscnt 0x0
	flat_load_b32 v0, v[12:13] scope:SCOPE_SYS
	s_wait_loadcnt_dscnt 0x0
	global_inv scope:SCOPE_SYS
	v_cmp_eq_u32_e32 vcc_lo, 0, v0
	s_and_b32 s40, vcc_lo, exec_lo
	s_delay_alu instid0(SALU_CYCLE_1)
	s_or_b32 s29, s29, s40
	s_mov_b32 s41, -1
	s_or_b32 s27, s27, exec_lo
	s_and_saveexec_b32 s40, s29
	s_cbranch_execz .LBB4_2810
.LBB4_2814:                             ;   in Loop: Header=BB4_2811 Depth=2
	s_sleep 1
	s_trap 2
	ds_load_b64 v[12:13], v0
	s_wait_dscnt 0x0
	s_and_not1_b32 s27, s27, exec_lo
	v_cmp_ge_u64_e32 vcc_lo, v[12:13], v[48:49]
	s_or_not1_b32 s41, vcc_lo, exec_lo
	s_branch .LBB4_2810
.LBB4_2815:                             ;   in Loop: Header=BB4_49 Depth=1
	s_or_b32 exec_lo, exec_lo, s25
	s_and_saveexec_b32 s25, s26
	s_delay_alu instid0(SALU_CYCLE_1)
	s_xor_b32 s25, exec_lo, s25
	s_cbranch_execz .LBB4_2817
; %bb.2816:                             ;   in Loop: Header=BB4_49 Depth=1
	ds_store_b32 v0, v124
	s_trap 2
.LBB4_2817:                             ;   in Loop: Header=BB4_49 Depth=1
	s_or_b32 exec_lo, exec_lo, s24
	;;#ASMSTART
	s_wakeup
	;;#ASMEND
.LBB4_2818:                             ;   in Loop: Header=BB4_49 Depth=1
	s_or_b32 exec_lo, exec_lo, s23
.LBB4_2819:                             ;   in Loop: Header=BB4_49 Depth=1
	s_and_not1_saveexec_b32 s22, s22
	s_cbranch_execz .LBB4_2821
; %bb.2820:                             ;   in Loop: Header=BB4_49 Depth=1
	global_wb scope:SCOPE_DEV
	s_wait_storecnt 0x0
	s_wait_loadcnt_dscnt 0x0
	global_inv scope:SCOPE_DEV
	s_barrier_signal -1
	s_barrier_wait -1
.LBB4_2821:                             ;   in Loop: Header=BB4_49 Depth=1
	s_or_b32 exec_lo, exec_lo, s22
.LBB4_2822:                             ;   in Loop: Header=BB4_49 Depth=1
	s_delay_alu instid0(SALU_CYCLE_1)
	s_or_b32 exec_lo, exec_lo, s10
	s_trap 2
	ds_load_b32 v0, v0
	v_cmp_lt_i32_e32 vcc_lo, 0, v10
	s_wait_dscnt 0x0
	v_readfirstlane_b32 s10, v0
	v_and_b32_e32 v0, 16, v120
	s_cmp_eq_u32 s10, 0
	s_delay_alu instid0(VALU_DEP_1) | instskip(SKIP_1) | instid1(SALU_CYCLE_1)
	v_cmp_ne_u32_e64 s10, 0, v0
	s_cselect_b32 s22, -1, 0
	s_and_b32 s22, vcc_lo, s22
	s_delay_alu instid0(SALU_CYCLE_1) | instskip(NEXT) | instid1(SALU_CYCLE_1)
	s_and_b32 s22, s10, s22
	s_and_saveexec_b32 s10, s22
	s_cbranch_execz .LBB4_2824
; %bb.2823:                             ;   in Loop: Header=BB4_49 Depth=1
	global_wb scope:SCOPE_SYS
	s_wait_loadcnt 0x0
	s_wait_storecnt 0x0
	global_inv scope:SCOPE_SYS
.LBB4_2824:                             ;   in Loop: Header=BB4_49 Depth=1
	s_or_b32 exec_lo, exec_lo, s10
	v_cmp_ne_u32_e32 vcc_lo, 0, v0
	s_xor_b32 s10, s7, -1
	s_delay_alu instid0(SALU_CYCLE_1) | instskip(NEXT) | instid1(SALU_CYCLE_1)
	s_and_b32 s22, vcc_lo, s10
	s_and_saveexec_b32 s10, s22
	s_cbranch_execz .LBB4_2826
; %bb.2825:                             ;   in Loop: Header=BB4_49 Depth=1
	global_wb scope:SCOPE_SYS
	s_wait_loadcnt 0x0
	s_wait_storecnt 0x0
	flat_store_b32 v[52:53], v124 scope:SCOPE_SYS
.LBB4_2826:                             ;   in Loop: Header=BB4_49 Depth=1
	s_wait_xcnt 0x0
	s_or_b32 exec_lo, exec_lo, s10
	v_and_b32_e32 v0, 48, v120
	s_mov_b32 s10, exec_lo
	s_delay_alu instid0(VALU_DEP_1)
	v_cmpx_ne_u32_e32 0, v0
	s_cbranch_execz .LBB4_47
; %bb.2827:                             ;   in Loop: Header=BB4_49 Depth=1
	v_add_nc_u64_e32 v[8:9], 1, v[8:9]
	global_wb scope:SCOPE_SYS
	s_wait_storecnt 0x0
	s_wait_loadcnt_dscnt 0x0
	flat_store_b64 v[32:33], v[8:9] scope:SCOPE_SYS
	s_branch .LBB4_47
.LBB4_2828:
	s_or_b32 exec_lo, exec_lo, s19
.LBB4_2829:
	s_delay_alu instid0(SALU_CYCLE_1)
	s_or_b32 exec_lo, exec_lo, s18
                                        ; implicit-def: $vgpr26_vgpr27
                                        ; implicit-def: $vgpr4_vgpr5
                                        ; implicit-def: $vgpr34
                                        ; implicit-def: $vgpr38_vgpr39
                                        ; implicit-def: $vgpr36_vgpr37
                                        ; implicit-def: $vgpr32_vgpr33
                                        ; implicit-def: $vgpr121
                                        ; implicit-def: $vgpr15
                                        ; implicit-def: $vgpr50_vgpr51
.LBB4_2830:
	s_and_not1_saveexec_b32 s11, s17
	s_cbranch_execz .LBB4_5604
; %bb.2831:
	v_mov_b64_e32 v[48:49], 0
	s_mov_b32 s17, exec_lo
	v_cmpx_ne_u64_e32 0, v[4:5]
	s_cbranch_execz .LBB4_5603
; %bb.2832:
	v_dual_ashrrev_i32 v0, 31, v121 :: v_dual_ashrrev_i32 v35, 31, v34
	s_ashr_i32 s4, s15, 31
	v_cmp_eq_u32_e32 vcc_lo, 32, v1
	s_lshr_b32 s4, s4, 24
	s_delay_alu instid0(VALU_DEP_2) | instskip(SKIP_3) | instid1(VALU_DEP_4)
	v_dual_lshrrev_b32 v0, 27, v0 :: v_dual_bitop2_b32 v3, 31, v31 bitop3:0x40
	v_mov_b64_e32 v[66:67], 0
	v_mov_b64_e32 v[48:49], 0
	v_cmp_ge_i32_e64 s1, v121, v1
	v_dual_add_nc_u32 v0, v121, v0 :: v_dual_lshrrev_b32 v52, 5, v1
	v_mov_b32_e32 v55, 0
	v_cmp_ne_u32_e64 s2, 32, v1
	v_cmp_ne_u32_e64 s3, v1, v2
	s_delay_alu instid0(VALU_DEP_4)
	v_and_b32_e32 v10, 0xffffffe0, v0
	v_ashrrev_i32_e32 v106, 5, v0
	v_and_b32_e32 v64, 0x1fe0, v1
	s_add_co_i32 s7, s15, s4
	v_cmp_eq_u32_e64 s4, 0, v3
	v_dual_sub_nc_u32 v107, v121, v10 :: v_dual_mov_b32 v53, v55
	v_dual_lshlrev_b32 v0, 10, v106 :: v_dual_lshlrev_b32 v68, 10, v52
	v_dual_mov_b32 v69, v55 :: v_dual_lshlrev_b32 v70, 9, v52
	v_dual_mov_b32 v71, v55 :: v_dual_mov_b32 v65, v55
	s_delay_alu instid0(VALU_DEP_3) | instskip(SKIP_3) | instid1(VALU_DEP_4)
	v_lshl_add_u32 v80, v107, 4, v0
	v_cmp_le_i32_e64 s5, v107, v15
	v_cmp_gt_i32_e64 s6, 1, v107
	v_dual_mov_b32 v108, 1 :: v_dual_mov_b32 v109, 0x7f800000
	v_dual_mov_b32 v110, 0x7c :: v_dual_ashrrev_i32 v81, 31, v80
	s_mov_b64 s[12:13], 0xffffffffffffff
	s_ashr_i32 s19, s7, 8
	s_mov_b32 s18, 0
	s_xor_b32 s20, vcc_lo, -1
	s_trap 2
	s_branch .LBB4_2835
.LBB4_2833:                             ;   in Loop: Header=BB4_2835 Depth=1
	s_wait_xcnt 0x0
	s_or_b32 exec_lo, exec_lo, s7
.LBB4_2834:                             ;   in Loop: Header=BB4_2835 Depth=1
	s_delay_alu instid0(SALU_CYCLE_1) | instskip(SKIP_1) | instid1(VALU_DEP_1)
	s_or_b32 exec_lo, exec_lo, s10
	v_add_nc_u64_e32 v[66:67], v[66:67], v[50:51]
	v_cmp_ge_u64_e32 vcc_lo, v[66:67], v[4:5]
	s_or_b32 s18, vcc_lo, s18
	s_delay_alu instid0(SALU_CYCLE_1)
	s_and_not1_b32 exec_lo, exec_lo, s18
	s_cbranch_execz .LBB4_5602
.LBB4_2835:                             ; =>This Loop Header: Depth=1
                                        ;     Child Loop BB4_2844 Depth 2
                                        ;     Child Loop BB4_2868 Depth 2
	;; [unrolled: 1-line block ×10, first 2 shown]
	v_sub_nc_u64_e32 v[10:11], v[4:5], v[66:67]
	s_delay_alu instid0(VALU_DEP_1) | instskip(NEXT) | instid1(VALU_DEP_1)
	v_min_u64 v[82:83], v[50:51], v[10:11]
	v_add_nc_u32_e32 v0, 15, v82
	s_delay_alu instid0(VALU_DEP_2) | instskip(NEXT) | instid1(VALU_DEP_2)
	v_cmp_eq_u64_e32 vcc_lo, 0, v[82:83]
	v_and_b32_e32 v0, 0x7ffffff0, v0
	s_or_b32 s21, s1, vcc_lo
	s_delay_alu instid0(SALU_CYCLE_1) | instskip(NEXT) | instid1(VALU_DEP_1)
	s_xor_b32 s7, s21, -1
	v_dual_mov_b32 v0, v55 :: v_dual_max_i32 v83, s19, v0
	s_and_saveexec_b32 s22, s7
	s_cbranch_execz .LBB4_5556
; %bb.2836:                             ;   in Loop: Header=BB4_2835 Depth=1
	s_and_saveexec_b32 s7, s0
	s_cbranch_execz .LBB4_2838
; %bb.2837:                             ;   in Loop: Header=BB4_2835 Depth=1
	s_trap 2
	ds_load_b64 v[14:15], v0
	ds_load_2addr_b64 v[10:13], v0 offset1:1
	v_add_nc_u64_e32 v[16:17], v[66:67], v[26:27]
	s_wait_dscnt 0x1
	s_delay_alu instid0(VALU_DEP_1) | instskip(SKIP_4) | instid1(VALU_DEP_4)
	v_add_nc_u64_e32 v[18:19], v[14:15], v[16:17]
	v_cmp_ne_u64_e32 vcc_lo, 0, v[14:15]
	s_wait_dscnt 0x0
	v_add_nc_u64_e32 v[10:11], v[10:11], v[16:17]
	v_add_nc_u64_e32 v[12:13], v[12:13], v[16:17]
	v_dual_cndmask_b32 v15, 0, v19 :: v_dual_cndmask_b32 v14, 0, v18
	ds_store_b64 v0, v[10:11]
	ds_store_b64 v0, v[12:13]
	;; [unrolled: 1-line block ×3, first 2 shown]
.LBB4_2838:                             ;   in Loop: Header=BB4_2835 Depth=1
	s_or_b32 exec_lo, exec_lo, s7
	v_and_b32_e32 v0, 4, v120
	s_mov_b32 s10, exec_lo
	s_delay_alu instid0(VALU_DEP_1)
	v_cmpx_ne_u32_e32 0, v0
	s_cbranch_execz .LBB4_2860
; %bb.2839:                             ;   in Loop: Header=BB4_2835 Depth=1
	v_add_nc_u64_e32 v[10:11], 1, v[8:9]
	s_mov_b32 s23, exec_lo
	s_wait_loadcnt 0x0
	s_delay_alu instid0(VALU_DEP_1)
	v_cmpx_lt_u64_e64 v[38:39], v[10:11]
	s_cbranch_execz .LBB4_2851
; %bb.2840:                             ;   in Loop: Header=BB4_2835 Depth=1
	v_and_b32_e32 v0, 64, v120
	s_mov_b32 s24, 0
	s_mov_b32 s28, 0
                                        ; implicit-def: $sgpr25
                                        ; implicit-def: $sgpr26
                                        ; implicit-def: $sgpr27
	s_delay_alu instid0(VALU_DEP_1)
	v_cmp_eq_u32_e32 vcc_lo, 0, v0
	s_branch .LBB4_2844
.LBB4_2841:                             ;   in Loop: Header=BB4_2844 Depth=2
	s_wait_loadcnt_dscnt 0x0
	v_cmp_ge_u64_e64 s7, v[38:39], v[10:11]
	s_or_b32 s41, s41, exec_lo
	s_or_not1_b32 s40, s7, exec_lo
.LBB4_2842:                             ;   in Loop: Header=BB4_2844 Depth=2
	s_or_b32 exec_lo, exec_lo, s43
	s_delay_alu instid0(SALU_CYCLE_1)
	s_and_not1_b32 s7, s27, exec_lo
	s_and_b32 s27, s41, exec_lo
	s_and_not1_b32 s26, s26, exec_lo
	s_and_b32 s40, s40, exec_lo
	s_or_b32 s27, s7, s27
	s_or_b32 s26, s26, s40
.LBB4_2843:                             ;   in Loop: Header=BB4_2844 Depth=2
	s_or_b32 exec_lo, exec_lo, s29
	s_delay_alu instid0(SALU_CYCLE_1) | instskip(NEXT) | instid1(SALU_CYCLE_1)
	s_and_b32 s7, exec_lo, s26
	s_or_b32 s24, s7, s24
	s_and_not1_b32 s7, s25, exec_lo
	s_and_b32 s25, s27, exec_lo
	s_delay_alu instid0(SALU_CYCLE_1)
	s_or_b32 s25, s7, s25
	s_and_not1_b32 exec_lo, exec_lo, s24
	s_cbranch_execz .LBB4_2848
.LBB4_2844:                             ;   Parent Loop BB4_2835 Depth=1
                                        ; =>  This Inner Loop Header: Depth=2
	s_sleep 1
	s_wait_loadcnt_dscnt 0x0
	flat_load_b64 v[38:39], v[32:33] scope:SCOPE_SYS
	s_or_b32 s27, s27, exec_lo
	s_or_b32 s26, s26, exec_lo
                                        ; implicit-def: $vgpr0
	s_wait_xcnt 0x0
	s_and_saveexec_b32 s29, vcc_lo
	s_cbranch_execz .LBB4_2843
; %bb.2845:                             ;   in Loop: Header=BB4_2844 Depth=2
	s_cmp_lt_i32 s28, 0x270f
	s_mov_b32 s40, -1
	s_cselect_b32 s42, -1, 0
	s_cmp_gt_i32 s28, 0x270e
	s_cbranch_scc0 .LBB4_2847
; %bb.2846:                             ;   in Loop: Header=BB4_2844 Depth=2
	s_trap 2
	ds_load_b64 v[12:13], v0
	s_and_not1_b32 s28, s42, exec_lo
	s_mov_b32 s41, 0
	s_wait_storecnt 0x0
	s_wait_loadcnt_dscnt 0x0
	flat_load_b32 v0, v[12:13] scope:SCOPE_SYS
	s_wait_loadcnt_dscnt 0x0
	global_inv scope:SCOPE_SYS
	v_cmp_eq_u32_e64 s7, 0, v0
	s_and_b32 s7, s7, exec_lo
	s_delay_alu instid0(SALU_CYCLE_1)
	s_or_b32 s42, s28, s7
	s_mov_b32 s28, 0
	s_and_saveexec_b32 s43, s42
	s_cbranch_execz .LBB4_2842
	s_branch .LBB4_2841
.LBB4_2847:                             ;   in Loop: Header=BB4_2844 Depth=2
	s_add_co_i32 s28, s28, 1
	s_mov_b32 s41, -1
                                        ; implicit-def: $vgpr0
	s_and_saveexec_b32 s43, s42
	s_cbranch_execz .LBB4_2842
	s_branch .LBB4_2841
.LBB4_2848:                             ;   in Loop: Header=BB4_2835 Depth=1
	s_or_b32 exec_lo, exec_lo, s24
	s_xor_b32 s7, s25, -1
	s_delay_alu instid0(SALU_CYCLE_1) | instskip(NEXT) | instid1(SALU_CYCLE_1)
	s_and_saveexec_b32 s24, s7
	s_xor_b32 s7, exec_lo, s24
	s_cbranch_execz .LBB4_2850
; %bb.2849:                             ;   in Loop: Header=BB4_2835 Depth=1
	v_or_b32_e32 v120, 64, v120
	s_wait_storecnt 0x0
	s_wait_loadcnt_dscnt 0x0
	ds_store_b32 v0, v0
	s_trap 2
.LBB4_2850:                             ;   in Loop: Header=BB4_2835 Depth=1
	s_or_b32 exec_lo, exec_lo, s7
.LBB4_2851:                             ;   in Loop: Header=BB4_2835 Depth=1
	s_delay_alu instid0(SALU_CYCLE_1)
	s_or_b32 exec_lo, exec_lo, s23
	v_and_b32_e32 v0, 0x100, v120
	v_and_b32_e32 v54, 7, v8
	s_mov_b32 s7, -1
	s_mov_b32 s23, exec_lo
	;;#ASMSTART
	s_wakeup
	;;#ASMEND
                                        ; implicit-def: $vgpr8_vgpr9
	v_cmpx_ne_u32_e32 0, v0
	s_cbranch_execz .LBB4_2855
; %bb.2852:                             ;   in Loop: Header=BB4_2835 Depth=1
	v_mad_nc_u64_u32 v[12:13], v54, 24, v[6:7]
	s_mov_b32 s24, exec_lo
                                        ; implicit-def: $vgpr8_vgpr9
	flat_load_b32 v0, v[12:13]
	s_wait_loadcnt_dscnt 0x0
	v_cmp_ne_u32_e32 vcc_lo, 1, v0
	s_wait_xcnt 0x0
	v_cmpx_eq_u32_e32 1, v0
	s_cbranch_execz .LBB4_2854
; %bb.2853:                             ;   in Loop: Header=BB4_2835 Depth=1
	flat_load_b32 v8, v[12:13] offset:4 scope:SCOPE_SYS
	s_wait_loadcnt_dscnt 0x0
	v_ashrrev_i32_e32 v9, 31, v8
.LBB4_2854:                             ;   in Loop: Header=BB4_2835 Depth=1
	s_wait_xcnt 0x0
	s_or_b32 exec_lo, exec_lo, s24
	s_delay_alu instid0(SALU_CYCLE_1)
	s_or_not1_b32 s7, vcc_lo, exec_lo
.LBB4_2855:                             ;   in Loop: Header=BB4_2835 Depth=1
	s_or_b32 exec_lo, exec_lo, s23
	s_and_saveexec_b32 s23, s7
; %bb.2856:                             ;   in Loop: Header=BB4_2835 Depth=1
	v_mul_u64_e32 v[8:9], v[54:55], v[34:35]
; %bb.2857:                             ;   in Loop: Header=BB4_2835 Depth=1
	s_or_b32 exec_lo, exec_lo, s23
	s_delay_alu instid0(VALU_DEP_1)
	v_add_nc_u64_e32 v[8:9], v[36:37], v[8:9]
	v_and_b32_e32 v0, 0x2000, v120
	s_mov_b32 s7, exec_lo
	ds_store_b64 v0, v[8:9] offset:728
	v_cmpx_ne_u32_e32 0, v0
	s_cbranch_execz .LBB4_2859
; %bb.2858:                             ;   in Loop: Header=BB4_2835 Depth=1
	ds_load_b64 v[8:9], v0 offset:872
	s_wait_dscnt 0x0
	v_add_nc_u64_e32 v[8:9], 1, v[8:9]
	ds_store_b64 v0, v[8:9] offset:872
.LBB4_2859:                             ;   in Loop: Header=BB4_2835 Depth=1
	s_or_b32 exec_lo, exec_lo, s7
	v_mov_b64_e32 v[8:9], v[10:11]
.LBB4_2860:                             ;   in Loop: Header=BB4_2835 Depth=1
	s_or_b32 exec_lo, exec_lo, s10
	s_and_saveexec_b32 s7, s2
	s_cbranch_execz .LBB4_2879
; %bb.2861:                             ;   in Loop: Header=BB4_2835 Depth=1
	s_and_saveexec_b32 s10, s3
	s_delay_alu instid0(SALU_CYCLE_1)
	s_xor_b32 s10, exec_lo, s10
	s_cbranch_execz .LBB4_2876
; %bb.2862:                             ;   in Loop: Header=BB4_2835 Depth=1
	s_and_saveexec_b32 s23, s4
	s_cbranch_execz .LBB4_2875
; %bb.2863:                             ;   in Loop: Header=BB4_2835 Depth=1
	s_mov_b32 s25, exec_lo
	s_mov_b32 s24, exec_lo
	v_mbcnt_lo_u32_b32 v0, s25, 0
	global_wb scope:SCOPE_DEV
	s_wait_storecnt 0x0
	s_wait_loadcnt_dscnt 0x0
	global_inv scope:SCOPE_DEV
	v_cmpx_eq_u32_e32 0, v0
	s_cbranch_execz .LBB4_2865
; %bb.2864:                             ;   in Loop: Header=BB4_2835 Depth=1
	s_bcnt1_i32_b32 s25, s25
	s_delay_alu instid0(SALU_CYCLE_1)
	v_mov_b32_e32 v54, s25
	s_wait_loadcnt 0x0
	ds_add_u64 v0, v[54:55]
	s_trap 2
.LBB4_2865:                             ;   in Loop: Header=BB4_2835 Depth=1
	s_or_b32 exec_lo, exec_lo, s24
	s_trap 2
	ds_load_b64 v[10:11], v0
	s_wait_dscnt 0x0
	v_add_nc_u64_e32 v[48:49], v[48:49], v[52:53]
	s_mov_b32 s24, exec_lo
	s_delay_alu instid0(VALU_DEP_1)
	v_cmpx_lt_u64_e64 v[10:11], v[48:49]
	s_cbranch_execz .LBB4_2874
; %bb.2866:                             ;   in Loop: Header=BB4_2835 Depth=1
	s_mov_b32 s25, 0
	s_mov_b32 s28, 0
                                        ; implicit-def: $sgpr26
                                        ; implicit-def: $sgpr27
	s_branch .LBB4_2868
.LBB4_2867:                             ;   in Loop: Header=BB4_2868 Depth=2
	s_or_b32 exec_lo, exec_lo, s40
	s_delay_alu instid0(SALU_CYCLE_1) | instskip(NEXT) | instid1(SALU_CYCLE_1)
	s_and_b32 s29, exec_lo, s41
	s_or_b32 s25, s29, s25
	s_and_not1_b32 s26, s26, exec_lo
	s_and_b32 s29, s27, exec_lo
	s_delay_alu instid0(SALU_CYCLE_1)
	s_or_b32 s26, s26, s29
	s_and_not1_b32 exec_lo, exec_lo, s25
	s_cbranch_execz .LBB4_2872
.LBB4_2868:                             ;   Parent Loop BB4_2835 Depth=1
                                        ; =>  This Inner Loop Header: Depth=2
	s_add_co_i32 s28, s28, 1
	s_delay_alu instid0(SALU_CYCLE_1) | instskip(SKIP_1) | instid1(SALU_CYCLE_1)
	s_cmp_lg_u32 s28, 0x2710
	s_cselect_b32 s29, -1, 0
	s_and_b32 vcc_lo, exec_lo, s29
	s_cbranch_vccz .LBB4_2870
; %bb.2869:                             ;   in Loop: Header=BB4_2868 Depth=2
	s_mov_b32 s41, -1
	s_or_b32 s27, s27, exec_lo
	s_and_saveexec_b32 s40, s29
	s_cbranch_execz .LBB4_2867
	s_branch .LBB4_2871
.LBB4_2870:                             ;   in Loop: Header=BB4_2868 Depth=2
	s_trap 2
	ds_load_b64 v[10:11], v0
	s_and_not1_b32 s29, s29, exec_lo
	s_mov_b32 s28, 0
	s_wait_loadcnt_dscnt 0x0
	flat_load_b32 v0, v[10:11] scope:SCOPE_SYS
	s_wait_loadcnt_dscnt 0x0
	global_inv scope:SCOPE_SYS
	v_cmp_eq_u32_e32 vcc_lo, 0, v0
	s_and_b32 s40, vcc_lo, exec_lo
	s_delay_alu instid0(SALU_CYCLE_1)
	s_or_b32 s29, s29, s40
	s_mov_b32 s41, -1
	s_or_b32 s27, s27, exec_lo
	s_and_saveexec_b32 s40, s29
	s_cbranch_execz .LBB4_2867
.LBB4_2871:                             ;   in Loop: Header=BB4_2868 Depth=2
	s_sleep 1
	s_trap 2
	ds_load_b64 v[10:11], v0
	s_wait_dscnt 0x0
	s_and_not1_b32 s27, s27, exec_lo
	v_cmp_ge_u64_e32 vcc_lo, v[10:11], v[48:49]
	s_or_not1_b32 s41, vcc_lo, exec_lo
	s_branch .LBB4_2867
.LBB4_2872:                             ;   in Loop: Header=BB4_2835 Depth=1
	s_or_b32 exec_lo, exec_lo, s25
	s_and_saveexec_b32 s25, s26
	s_delay_alu instid0(SALU_CYCLE_1)
	s_xor_b32 s25, exec_lo, s25
	s_cbranch_execz .LBB4_2874
; %bb.2873:                             ;   in Loop: Header=BB4_2835 Depth=1
	ds_store_b32 v0, v108
	s_trap 2
.LBB4_2874:                             ;   in Loop: Header=BB4_2835 Depth=1
	s_or_b32 exec_lo, exec_lo, s24
	;;#ASMSTART
	s_wakeup
	;;#ASMEND
.LBB4_2875:                             ;   in Loop: Header=BB4_2835 Depth=1
	s_or_b32 exec_lo, exec_lo, s23
.LBB4_2876:                             ;   in Loop: Header=BB4_2835 Depth=1
	s_and_not1_saveexec_b32 s10, s10
	s_cbranch_execz .LBB4_2878
; %bb.2877:                             ;   in Loop: Header=BB4_2835 Depth=1
	global_wb scope:SCOPE_DEV
	s_wait_storecnt 0x0
	s_wait_loadcnt_dscnt 0x0
	global_inv scope:SCOPE_DEV
	s_barrier_signal -1
	s_barrier_wait -1
.LBB4_2878:                             ;   in Loop: Header=BB4_2835 Depth=1
	s_or_b32 exec_lo, exec_lo, s10
.LBB4_2879:                             ;   in Loop: Header=BB4_2835 Depth=1
	s_delay_alu instid0(SALU_CYCLE_1) | instskip(SKIP_3) | instid1(VALU_DEP_1)
	s_or_b32 exec_lo, exec_lo, s7
	s_trap 2
	ds_load_b32 v0, v0
	v_and_b32_e32 v3, 0x4000, v120
	v_cmp_ne_u32_e32 vcc_lo, 0, v3
	s_and_b32 s10, s20, vcc_lo
	s_delay_alu instid0(SALU_CYCLE_1)
	s_and_saveexec_b32 s7, s10
	s_cbranch_execz .LBB4_2898
; %bb.2880:                             ;   in Loop: Header=BB4_2835 Depth=1
	s_and_saveexec_b32 s10, s3
	s_delay_alu instid0(SALU_CYCLE_1)
	s_xor_b32 s10, exec_lo, s10
	s_cbranch_execz .LBB4_2895
; %bb.2881:                             ;   in Loop: Header=BB4_2835 Depth=1
	s_and_saveexec_b32 s23, s4
	s_cbranch_execz .LBB4_2894
; %bb.2882:                             ;   in Loop: Header=BB4_2835 Depth=1
	s_mov_b32 s25, exec_lo
	s_mov_b32 s24, exec_lo
	v_mbcnt_lo_u32_b32 v3, s25, 0
	global_wb scope:SCOPE_DEV
	s_wait_storecnt 0x0
	s_wait_loadcnt_dscnt 0x0
	global_inv scope:SCOPE_DEV
	v_cmpx_eq_u32_e32 0, v3
	s_cbranch_execz .LBB4_2884
; %bb.2883:                             ;   in Loop: Header=BB4_2835 Depth=1
	s_bcnt1_i32_b32 s25, s25
	s_delay_alu instid0(SALU_CYCLE_1)
	v_mov_b32_e32 v54, s25
	s_wait_loadcnt 0x0
	ds_add_u64 v0, v[54:55]
	s_trap 2
.LBB4_2884:                             ;   in Loop: Header=BB4_2835 Depth=1
	s_or_b32 exec_lo, exec_lo, s24
	s_trap 2
	ds_load_b64 v[10:11], v0
	s_wait_dscnt 0x0
	v_add_nc_u64_e32 v[48:49], v[48:49], v[52:53]
	s_mov_b32 s24, exec_lo
	s_delay_alu instid0(VALU_DEP_1)
	v_cmpx_lt_u64_e64 v[10:11], v[48:49]
	s_cbranch_execz .LBB4_2893
; %bb.2885:                             ;   in Loop: Header=BB4_2835 Depth=1
	s_mov_b32 s25, 0
	s_mov_b32 s28, 0
                                        ; implicit-def: $sgpr26
                                        ; implicit-def: $sgpr27
	s_branch .LBB4_2887
.LBB4_2886:                             ;   in Loop: Header=BB4_2887 Depth=2
	s_or_b32 exec_lo, exec_lo, s40
	s_delay_alu instid0(SALU_CYCLE_1) | instskip(NEXT) | instid1(SALU_CYCLE_1)
	s_and_b32 s29, exec_lo, s41
	s_or_b32 s25, s29, s25
	s_and_not1_b32 s26, s26, exec_lo
	s_and_b32 s29, s27, exec_lo
	s_delay_alu instid0(SALU_CYCLE_1)
	s_or_b32 s26, s26, s29
	s_and_not1_b32 exec_lo, exec_lo, s25
	s_cbranch_execz .LBB4_2891
.LBB4_2887:                             ;   Parent Loop BB4_2835 Depth=1
                                        ; =>  This Inner Loop Header: Depth=2
	s_add_co_i32 s28, s28, 1
	s_delay_alu instid0(SALU_CYCLE_1) | instskip(SKIP_1) | instid1(SALU_CYCLE_1)
	s_cmp_lg_u32 s28, 0x2710
	s_cselect_b32 s29, -1, 0
	s_and_b32 vcc_lo, exec_lo, s29
	s_cbranch_vccz .LBB4_2889
; %bb.2888:                             ;   in Loop: Header=BB4_2887 Depth=2
	s_mov_b32 s41, -1
	s_or_b32 s27, s27, exec_lo
	s_and_saveexec_b32 s40, s29
	s_cbranch_execz .LBB4_2886
	s_branch .LBB4_2890
.LBB4_2889:                             ;   in Loop: Header=BB4_2887 Depth=2
	s_trap 2
	ds_load_b64 v[10:11], v0
	s_and_not1_b32 s29, s29, exec_lo
	s_mov_b32 s28, 0
	s_wait_loadcnt_dscnt 0x0
	flat_load_b32 v3, v[10:11] scope:SCOPE_SYS
	s_wait_loadcnt_dscnt 0x0
	global_inv scope:SCOPE_SYS
	v_cmp_eq_u32_e32 vcc_lo, 0, v3
	s_and_b32 s40, vcc_lo, exec_lo
	s_delay_alu instid0(SALU_CYCLE_1)
	s_or_b32 s29, s29, s40
	s_mov_b32 s41, -1
	s_or_b32 s27, s27, exec_lo
	s_and_saveexec_b32 s40, s29
	s_cbranch_execz .LBB4_2886
.LBB4_2890:                             ;   in Loop: Header=BB4_2887 Depth=2
	s_sleep 1
	s_trap 2
	ds_load_b64 v[10:11], v0
	s_wait_dscnt 0x0
	s_and_not1_b32 s27, s27, exec_lo
	v_cmp_ge_u64_e32 vcc_lo, v[10:11], v[48:49]
	s_or_not1_b32 s41, vcc_lo, exec_lo
	s_branch .LBB4_2886
.LBB4_2891:                             ;   in Loop: Header=BB4_2835 Depth=1
	s_or_b32 exec_lo, exec_lo, s25
	s_and_saveexec_b32 s25, s26
	s_delay_alu instid0(SALU_CYCLE_1)
	s_xor_b32 s25, exec_lo, s25
	s_cbranch_execz .LBB4_2893
; %bb.2892:                             ;   in Loop: Header=BB4_2835 Depth=1
	ds_store_b32 v0, v108
	s_trap 2
.LBB4_2893:                             ;   in Loop: Header=BB4_2835 Depth=1
	s_or_b32 exec_lo, exec_lo, s24
	;;#ASMSTART
	s_wakeup
	;;#ASMEND
.LBB4_2894:                             ;   in Loop: Header=BB4_2835 Depth=1
	s_or_b32 exec_lo, exec_lo, s23
.LBB4_2895:                             ;   in Loop: Header=BB4_2835 Depth=1
	s_and_not1_saveexec_b32 s10, s10
	s_cbranch_execz .LBB4_2897
; %bb.2896:                             ;   in Loop: Header=BB4_2835 Depth=1
	global_wb scope:SCOPE_DEV
	s_wait_storecnt 0x0
	s_wait_loadcnt_dscnt 0x0
	global_inv scope:SCOPE_DEV
	s_barrier_signal -1
	s_barrier_wait -1
.LBB4_2897:                             ;   in Loop: Header=BB4_2835 Depth=1
	s_or_b32 exec_lo, exec_lo, s10
.LBB4_2898:                             ;   in Loop: Header=BB4_2835 Depth=1
	s_delay_alu instid0(SALU_CYCLE_1)
	s_or_b32 exec_lo, exec_lo, s7
	s_trap 2
	s_wait_dscnt 0x0
	ds_load_b64 v[84:85], v0
	v_min_u32_e32 v83, v83, v82
	s_wait_dscnt 0x0
	v_cmp_eq_u64_e32 vcc_lo, 0, v[84:85]
	s_cbranch_vccnz .LBB4_2906
; %bb.2899:                             ;   in Loop: Header=BB4_2835 Depth=1
	s_trap 2
	ds_load_b64 v[86:87], v0
	s_wait_dscnt 0x0
	v_cmp_eq_u64_e32 vcc_lo, 0, v[86:87]
	s_cbranch_vccnz .LBB4_2906
; %bb.2900:                             ;   in Loop: Header=BB4_2835 Depth=1
	s_mov_b32 s7, -1
	s_and_saveexec_b32 s10, s5
	s_cbranch_execz .LBB4_2902
; %bb.2901:                             ;   in Loop: Header=BB4_2835 Depth=1
	ds_load_b32 v3, v0 offset:720
	s_wait_dscnt 0x0
	v_and_b32_e32 v3, 15, v3
	s_delay_alu instid0(VALU_DEP_1)
	v_cmp_eq_u32_e32 vcc_lo, 0, v3
	s_or_not1_b32 s7, vcc_lo, exec_lo
.LBB4_2902:                             ;   in Loop: Header=BB4_2835 Depth=1
	s_or_b32 exec_lo, exec_lo, s10
	s_and_saveexec_b32 s10, s6
	s_cbranch_execz .LBB4_2904
; %bb.2903:                             ;   in Loop: Header=BB4_2835 Depth=1
	ds_load_b32 v3, v0 offset:784
	s_wait_dscnt 0x0
	v_and_b32_e32 v3, 15, v3
	s_delay_alu instid0(VALU_DEP_1) | instskip(SKIP_3) | instid1(SALU_CYCLE_1)
	v_cmp_eq_u32_e32 vcc_lo, 0, v3
	s_and_b32 s23, s7, vcc_lo
	s_and_not1_b32 s7, s7, exec_lo
	s_and_b32 s23, s23, exec_lo
	s_or_b32 s7, s7, s23
.LBB4_2904:                             ;   in Loop: Header=BB4_2835 Depth=1
	s_or_b32 exec_lo, exec_lo, s10
	v_cmp_eq_u32_e32 vcc_lo, 0, v0
	s_xor_b32 s7, s7, -1
	v_mov_b32_e32 v10, v106
	v_cndmask_b32_e64 v3, 0, 1, s7
	s_mov_b32 s7, -1
	v_dual_cndmask_b32 v111, 0, v83 :: v_dual_mov_b32 v30, 0
	v_mov_b32_e32 v123, v121
	s_delay_alu instid0(VALU_DEP_3) | instskip(NEXT) | instid1(VALU_DEP_3)
	v_cmp_ne_u32_e32 vcc_lo, 0, v3
	v_mov_b32_e32 v122, v111
	s_cbranch_vccz .LBB4_2907
; %bb.2905:                             ;   in Loop: Header=BB4_2835 Depth=1
	s_and_saveexec_b32 s10, s7
	s_cbranch_execnz .LBB4_4776
	s_branch .LBB4_5532
.LBB4_2906:                             ;   in Loop: Header=BB4_2835 Depth=1
	s_mov_b32 s7, 0
	s_and_saveexec_b32 s10, s2
	s_cbranch_execnz .LBB4_5533
	s_branch .LBB4_5551
.LBB4_2907:                             ;   in Loop: Header=BB4_2835 Depth=1
	v_lshrrev_b32_e32 v0, 10, v111
	s_mov_b32 s10, exec_lo
	s_delay_alu instid0(VALU_DEP_1) | instskip(NEXT) | instid1(VALU_DEP_1)
	v_sub_nc_u32_e32 v114, v0, v106
	v_cmpx_lt_i32_e32 0, v114
	s_cbranch_execz .LBB4_4191
; %bb.2908:                             ;   in Loop: Header=BB4_2835 Depth=1
	s_trap 2
	ds_load_b64 v[10:11], v0
	v_add_nc_u64_e32 v[96:97], v[84:85], v[80:81]
	v_add_nc_u64_e32 v[100:101], v[86:87], v[80:81]
	s_mov_b32 s23, 0
	s_wait_dscnt 0x0
	v_add_nc_u64_e32 v[98:99], v[10:11], v[80:81]
	s_branch .LBB4_2911
.LBB4_2909:                             ;   in Loop: Header=BB4_2911 Depth=2
	s_or_b32 exec_lo, exec_lo, s24
.LBB4_2910:                             ;   in Loop: Header=BB4_2911 Depth=2
	s_delay_alu instid0(SALU_CYCLE_1)
	s_or_b32 exec_lo, exec_lo, s7
	v_lshl_or_b32 v11, v40, 8, v119
	v_dual_lshlrev_b32 v12, 16, v102 :: v_dual_lshlrev_b32 v16, 16, v117
	v_dual_lshlrev_b32 v13, 24, v30 :: v_dual_lshlrev_b32 v54, 16, v113
	v_lshl_or_b32 v15, v116, 8, v115
	v_dual_lshlrev_b32 v17, 24, v118 :: v_dual_lshlrev_b32 v102, 24, v41
	v_lshl_or_b32 v30, v112, 8, v103
	s_delay_alu instid0(VALU_DEP_4)
	v_or3_b32 v117, v11, v12, v13
	v_dual_lshlrev_b32 v3, 24, v3 :: v_dual_lshlrev_b32 v0, 16, v0
	v_lshl_or_b32 v11, v43, 8, v42
	v_or3_b32 v116, v15, v16, v17
	v_lshl_or_b32 v12, v45, 8, v44
	v_dual_lshlrev_b32 v13, 16, v19 :: v_dual_lshlrev_b32 v15, 24, v18
	v_lshl_or_b32 v16, v23, 8, v22
	v_dual_lshlrev_b32 v17, 16, v24 :: v_dual_lshlrev_b32 v18, 24, v25
	;; [unrolled: 2-line block ×3, first 2 shown]
	v_dual_lshlrev_b32 v22, 24, v10 :: v_dual_sub_nc_u32 v114, v114, v52
	v_lshlrev_b32_e32 v14, 16, v14
	v_lshl_or_b32 v23, v57, 8, v56
	v_or3_b32 v118, v30, v54, v102
	v_or3_b32 v119, v11, v0, v3
	;; [unrolled: 1-line block ×6, first 2 shown]
	s_clause 0x1
	global_store_b128 v[100:101], v[116:119], off th:TH_STORE_NT
	global_store_b128 v[100:101], v[10:13], off offset:512 th:TH_STORE_NT
	v_add_nc_u64_e32 v[96:97], v[96:97], v[68:69]
	v_add_nc_u64_e32 v[98:99], v[98:99], v[68:69]
	v_cmp_gt_i32_e32 vcc_lo, 1, v114
	s_wait_xcnt 0x0
	v_add_nc_u64_e32 v[100:101], v[100:101], v[68:69]
	s_or_b32 s23, vcc_lo, s23
	s_delay_alu instid0(SALU_CYCLE_1)
	s_and_not1_b32 exec_lo, exec_lo, s23
	s_cbranch_execz .LBB4_4190
.LBB4_2911:                             ;   Parent Loop BB4_2835 Depth=1
                                        ; =>  This Inner Loop Header: Depth=2
	s_clause 0x1
	global_load_b128 v[22:25], v[96:97], off th:TH_LOAD_NT
	global_load_b128 v[14:17], v[96:97], off offset:512 th:TH_LOAD_NT
	s_clause 0x1
	global_load_b128 v[18:21], v[98:99], off th:TH_LOAD_NT
	global_load_b128 v[10:13], v[98:99], off offset:512 th:TH_LOAD_NT
	v_mov_b32_e32 v0, 0
	s_wait_loadcnt 0x3
	v_and_b32_e32 v3, 0xff, v22
	s_delay_alu instid0(VALU_DEP_1)
	v_cmp_ne_u16_e32 vcc_lo, 0, v3
	v_mov_b32_e32 v3, 0
	s_wait_xcnt 0x0
	s_and_saveexec_b32 s7, vcc_lo
	s_cbranch_execz .LBB4_2921
; %bb.2912:                             ;   in Loop: Header=BB4_2911 Depth=2
	v_bfe_i32 v54, v22, 0, 8
	v_bfrev_b32_e32 v3, 1
	s_mov_b32 s24, exec_lo
	s_delay_alu instid0(VALU_DEP_2)
	v_cmpx_ne_u16_e32 0xff80, v54
	s_cbranch_execz .LBB4_2920
; %bb.2913:                             ;   in Loop: Header=BB4_2911 Depth=2
	v_and_b32_e32 v3, 0x7c, v22
	v_and_b32_e32 v30, 3, v22
	s_delay_alu instid0(VALU_DEP_2) | instskip(SKIP_1) | instid1(SALU_CYCLE_1)
	v_cmp_ne_u32_e32 vcc_lo, 0x7c, v3
                                        ; implicit-def: $vgpr3
	s_and_saveexec_b32 s25, vcc_lo
	s_xor_b32 s25, exec_lo, s25
	s_cbranch_execz .LBB4_2917
; %bb.2914:                             ;   in Loop: Header=BB4_2911 Depth=2
	v_bfe_u32 v3, v22, 2, 5
	s_mov_b32 s26, exec_lo
	s_delay_alu instid0(VALU_DEP_1)
	v_cmpx_eq_u32_e32 0, v3
; %bb.2915:                             ;   in Loop: Header=BB4_2911 Depth=2
	v_clz_i32_u32_e32 v3, v30
	s_delay_alu instid0(VALU_DEP_1) | instskip(NEXT) | instid1(VALU_DEP_1)
	v_min_u32_e32 v3, 32, v3
	v_subrev_nc_u32_e32 v30, 29, v3
	s_delay_alu instid0(VALU_DEP_1) | instskip(NEXT) | instid1(VALU_DEP_1)
	v_lshlrev_b64_e32 v[102:103], v30, v[22:23]
	v_dual_sub_nc_u32 v3, 30, v3 :: v_dual_bitop2_b32 v30, 3, v102 bitop3:0x40
; %bb.2916:                             ;   in Loop: Header=BB4_2911 Depth=2
	s_or_b32 exec_lo, exec_lo, s26
	v_lshlrev_b32_e32 v54, 24, v22
	s_delay_alu instid0(VALU_DEP_1) | instskip(NEXT) | instid1(VALU_DEP_1)
	v_and_b32_e32 v54, 0x80000000, v54
	v_lshl_add_u32 v3, v3, 23, v54
                                        ; implicit-def: $vgpr54
	s_delay_alu instid0(VALU_DEP_1) | instskip(NEXT) | instid1(VALU_DEP_1)
	v_lshl_or_b32 v3, v30, 21, v3
                                        ; implicit-def: $vgpr30
	v_add_nc_u32_e32 v3, 0x38000000, v3
.LBB4_2917:                             ;   in Loop: Header=BB4_2911 Depth=2
	s_and_not1_saveexec_b32 s25, s25
; %bb.2918:                             ;   in Loop: Header=BB4_2911 Depth=2
	v_cmp_lt_i16_e32 vcc_lo, -1, v54
	v_cndmask_b32_e32 v3, 0xff800000, v109, vcc_lo
	v_cmp_eq_u32_e32 vcc_lo, 0, v30
	s_delay_alu instid0(VALU_DEP_2)
	v_cndmask_b32_e32 v3, 0x7f800001, v3, vcc_lo
; %bb.2919:                             ;   in Loop: Header=BB4_2911 Depth=2
	s_or_b32 exec_lo, exec_lo, s25
.LBB4_2920:                             ;   in Loop: Header=BB4_2911 Depth=2
	s_delay_alu instid0(SALU_CYCLE_1)
	s_or_b32 exec_lo, exec_lo, s24
.LBB4_2921:                             ;   in Loop: Header=BB4_2911 Depth=2
	s_delay_alu instid0(SALU_CYCLE_1) | instskip(SKIP_3) | instid1(VALU_DEP_1)
	s_or_b32 exec_lo, exec_lo, s7
	s_wait_loadcnt 0x1
	v_and_b32_e32 v30, 0xff, v18
	s_mov_b32 s7, exec_lo
	v_cmpx_ne_u16_e32 0, v30
	s_cbranch_execz .LBB4_2931
; %bb.2922:                             ;   in Loop: Header=BB4_2911 Depth=2
	v_bfe_i32 v54, v18, 0, 8
	v_bfrev_b32_e32 v0, 1
	s_mov_b32 s24, exec_lo
	s_delay_alu instid0(VALU_DEP_2)
	v_cmpx_ne_u16_e32 0xff80, v54
	s_cbranch_execz .LBB4_2930
; %bb.2923:                             ;   in Loop: Header=BB4_2911 Depth=2
	v_and_b32_e32 v0, 0x7c, v18
	v_and_b32_e32 v30, 3, v18
	s_delay_alu instid0(VALU_DEP_2) | instskip(SKIP_1) | instid1(SALU_CYCLE_1)
	v_cmp_ne_u32_e32 vcc_lo, 0x7c, v0
                                        ; implicit-def: $vgpr0
	s_and_saveexec_b32 s25, vcc_lo
	s_xor_b32 s25, exec_lo, s25
	s_cbranch_execz .LBB4_2927
; %bb.2924:                             ;   in Loop: Header=BB4_2911 Depth=2
	v_bfe_u32 v0, v18, 2, 5
	s_mov_b32 s26, exec_lo
	s_delay_alu instid0(VALU_DEP_1)
	v_cmpx_eq_u32_e32 0, v0
; %bb.2925:                             ;   in Loop: Header=BB4_2911 Depth=2
	v_clz_i32_u32_e32 v0, v30
	s_delay_alu instid0(VALU_DEP_1) | instskip(NEXT) | instid1(VALU_DEP_1)
	v_min_u32_e32 v0, 32, v0
	v_subrev_nc_u32_e32 v30, 29, v0
	s_delay_alu instid0(VALU_DEP_1) | instskip(NEXT) | instid1(VALU_DEP_1)
	v_lshlrev_b64_e32 v[102:103], v30, v[18:19]
	v_dual_sub_nc_u32 v0, 30, v0 :: v_dual_bitop2_b32 v30, 3, v102 bitop3:0x40
; %bb.2926:                             ;   in Loop: Header=BB4_2911 Depth=2
	s_or_b32 exec_lo, exec_lo, s26
	v_lshlrev_b32_e32 v54, 24, v18
	s_delay_alu instid0(VALU_DEP_1) | instskip(NEXT) | instid1(VALU_DEP_1)
	v_and_b32_e32 v54, 0x80000000, v54
	v_lshl_add_u32 v0, v0, 23, v54
                                        ; implicit-def: $vgpr54
	s_delay_alu instid0(VALU_DEP_1) | instskip(NEXT) | instid1(VALU_DEP_1)
	v_lshl_or_b32 v0, v30, 21, v0
                                        ; implicit-def: $vgpr30
	v_add_nc_u32_e32 v0, 0x38000000, v0
.LBB4_2927:                             ;   in Loop: Header=BB4_2911 Depth=2
	s_and_not1_saveexec_b32 s25, s25
; %bb.2928:                             ;   in Loop: Header=BB4_2911 Depth=2
	v_cmp_lt_i16_e32 vcc_lo, -1, v54
	v_cndmask_b32_e32 v0, 0xff800000, v109, vcc_lo
	v_cmp_eq_u32_e32 vcc_lo, 0, v30
	s_delay_alu instid0(VALU_DEP_2)
	v_cndmask_b32_e32 v0, 0x7f800001, v0, vcc_lo
; %bb.2929:                             ;   in Loop: Header=BB4_2911 Depth=2
	s_or_b32 exec_lo, exec_lo, s25
.LBB4_2930:                             ;   in Loop: Header=BB4_2911 Depth=2
	s_delay_alu instid0(SALU_CYCLE_1)
	s_or_b32 exec_lo, exec_lo, s24
.LBB4_2931:                             ;   in Loop: Header=BB4_2911 Depth=2
	s_delay_alu instid0(SALU_CYCLE_1) | instskip(NEXT) | instid1(VALU_DEP_1)
	s_or_b32 exec_lo, exec_lo, s7
	v_mul_f32_e32 v3, v3, v0
	v_mov_b32_e32 v103, v55
                                        ; implicit-def: $vgpr115
	s_mov_b32 s7, exec_lo
	s_delay_alu instid0(VALU_DEP_2) | instskip(SKIP_2) | instid1(VALU_DEP_3)
	v_and_b32_e32 v102, 0x7f800000, v3
	v_and_b32_e32 v54, 0x7fffff, v3
	v_lshrrev_b32_e32 v0, 24, v3
	v_cmpx_ne_u64_e32 0x7f800000, v[102:103]
	s_xor_b32 s24, exec_lo, s7
	s_cbranch_execz .LBB4_2945
; %bb.2932:                             ;   in Loop: Header=BB4_2911 Depth=2
	v_and_b32_e32 v102, 0x7fffffff, v3
	v_mov_b32_e32 v103, v55
	v_and_b32_e32 v0, 0x80, v0
                                        ; implicit-def: $vgpr115
	s_mov_b32 s7, exec_lo
	s_delay_alu instid0(VALU_DEP_2)
	v_cmpx_gt_u64_e32 0x47600001, v[102:103]
	s_xor_b32 s25, exec_lo, s7
	s_cbranch_execz .LBB4_2942
; %bb.2933:                             ;   in Loop: Header=BB4_2911 Depth=2
	v_mov_b32_e32 v115, 0
	s_mov_b32 s26, exec_lo
	v_cmpx_ne_u32_e32 0, v3
	s_cbranch_execz .LBB4_2941
; %bb.2934:                             ;   in Loop: Header=BB4_2911 Depth=2
	v_bfe_u32 v3, v3, 23, 8
	v_or_b32_e32 v112, 0x800000, v54
	s_delay_alu instid0(VALU_DEP_2) | instskip(SKIP_1) | instid1(VALU_DEP_2)
	v_sub_nc_u32_e32 v30, 0x71, v3
	v_cmp_gt_u32_e32 vcc_lo, 0x72, v3
	v_cndmask_b32_e32 v30, 0, v30, vcc_lo
	v_cmp_eq_u32_e32 vcc_lo, 0, v3
	s_delay_alu instid0(VALU_DEP_2) | instskip(SKIP_1) | instid1(VALU_DEP_2)
	v_cndmask_b32_e64 v30, v30, 0x70, vcc_lo
	v_cndmask_b32_e32 v54, v112, v54, vcc_lo
	v_dual_add_nc_u32 v102, 21, v30 :: v_dual_add_nc_u32 v113, 20, v30
	s_delay_alu instid0(VALU_DEP_1) | instskip(NEXT) | instid1(VALU_DEP_2)
	v_lshlrev_b64_e64 v[102:103], v102, -1
	v_lshlrev_b64_e64 v[112:113], v113, 1
	s_delay_alu instid0(VALU_DEP_2) | instskip(NEXT) | instid1(VALU_DEP_3)
	v_bfi_b32 v117, v103, 0, 0
	v_bfi_b32 v116, v102, 0, v54
	v_lshrrev_b64 v[102:103], v30, v[54:55]
	s_delay_alu instid0(VALU_DEP_2) | instskip(NEXT) | instid1(VALU_DEP_2)
	v_cmp_eq_u64_e64 s7, v[116:117], v[112:113]
	v_mov_b64_e32 v[112:113], v[102:103]
	s_and_saveexec_b32 s27, s7
; %bb.2935:                             ;   in Loop: Header=BB4_2911 Depth=2
	v_bfe_u32 v54, v102, 21, 1
	s_delay_alu instid0(VALU_DEP_1) | instskip(NEXT) | instid1(VALU_DEP_1)
	v_add_nc_u64_e32 v[112:113], v[102:103], v[54:55]
	v_add_nc_u64_e32 v[112:113], -1, v[112:113]
; %bb.2936:                             ;   in Loop: Header=BB4_2911 Depth=2
	s_or_b32 exec_lo, exec_lo, s27
	v_add_nc_u32_e32 v3, 0xffffff81, v3
	v_lshrrev_b32_e32 v54, 23, v102
	s_mov_b32 s7, exec_lo
	s_delay_alu instid0(VALU_DEP_2) | instskip(NEXT) | instid1(VALU_DEP_1)
	v_cndmask_b32_e64 v3, v3, 0xffffff82, vcc_lo
	v_add3_u32 v30, v30, v3, v54
	v_and_b32_e32 v3, 0x1fffff, v112
	s_delay_alu instid0(VALU_DEP_2) | instskip(NEXT) | instid1(VALU_DEP_2)
	v_add_nc_u32_e32 v112, 14, v30
	v_add_nc_u32_e32 v54, v3, v102
                                        ; implicit-def: $vgpr102_vgpr103
                                        ; implicit-def: $vgpr3
	s_delay_alu instid0(VALU_DEP_2)
	v_cmpx_ne_u32_e32 0, v112
	s_xor_b32 s7, exec_lo, s7
; %bb.2937:                             ;   in Loop: Header=BB4_2911 Depth=2
	s_delay_alu instid0(VALU_DEP_2) | instskip(SKIP_2) | instid1(VALU_DEP_2)
	v_cmp_lt_u64_e32 vcc_lo, 0xffffff, v[54:55]
	v_add_nc_u32_e32 v3, 15, v30
	v_cndmask_b32_e64 v30, 0, 1, vcc_lo
	v_cndmask_b32_e32 v3, v112, v3, vcc_lo
	s_delay_alu instid0(VALU_DEP_2)
	v_lshrrev_b64 v[102:103], v30, v[54:55]
; %bb.2938:                             ;   in Loop: Header=BB4_2911 Depth=2
	s_and_not1_saveexec_b32 s7, s7
; %bb.2939:                             ;   in Loop: Header=BB4_2911 Depth=2
	v_mov_b64_e32 v[102:103], v[54:55]
	v_bfe_u32 v3, v54, 23, 1
; %bb.2940:                             ;   in Loop: Header=BB4_2911 Depth=2
	s_or_b32 exec_lo, exec_lo, s7
	s_delay_alu instid0(VALU_DEP_2) | instskip(NEXT) | instid1(VALU_DEP_2)
	v_lshrrev_b64 v[102:103], 21, v[102:103]
	v_cmp_gt_i32_e32 vcc_lo, 32, v3
	v_min_i32_e32 v30, 31, v3
	v_cmp_eq_u32_e64 s7, 0, v3
	s_delay_alu instid0(VALU_DEP_4) | instskip(NEXT) | instid1(VALU_DEP_3)
	v_cndmask_b32_e32 v102, 3, v102, vcc_lo
	v_dual_cndmask_b32 v103, 0, v103 :: v_dual_lshlrev_b32 v30, 2, v30
	s_delay_alu instid0(VALU_DEP_1) | instskip(NEXT) | instid1(VALU_DEP_2)
	v_and_b32_e32 v30, 0xfc, v30
	v_cmp_eq_u64_e32 vcc_lo, 0, v[102:103]
	s_delay_alu instid0(VALU_DEP_2)
	v_and_or_b32 v3, v102, 3, v30
	s_and_b32 s7, s7, vcc_lo
	s_delay_alu instid0(VALU_DEP_1) | instid1(SALU_CYCLE_1)
	v_cndmask_b32_e64 v3, v3, 0, s7
	s_delay_alu instid0(VALU_DEP_1)
	v_or_b32_e32 v115, v3, v0
.LBB4_2941:                             ;   in Loop: Header=BB4_2911 Depth=2
	s_or_b32 exec_lo, exec_lo, s26
                                        ; implicit-def: $vgpr0
.LBB4_2942:                             ;   in Loop: Header=BB4_2911 Depth=2
	s_and_not1_saveexec_b32 s7, s25
; %bb.2943:                             ;   in Loop: Header=BB4_2911 Depth=2
	v_or_b32_e32 v115, 0x7b, v0
; %bb.2944:                             ;   in Loop: Header=BB4_2911 Depth=2
	s_or_b32 exec_lo, exec_lo, s7
                                        ; implicit-def: $vgpr3
                                        ; implicit-def: $vgpr0
.LBB4_2945:                             ;   in Loop: Header=BB4_2911 Depth=2
	s_and_not1_saveexec_b32 s7, s24
	s_cbranch_execz .LBB4_2951
; %bb.2946:                             ;   in Loop: Header=BB4_2911 Depth=2
	s_mov_b32 s24, exec_lo
                                        ; implicit-def: $vgpr115
	v_cmpx_ne_u64_e32 0, v[54:55]
	s_xor_b32 s24, exec_lo, s24
; %bb.2947:                             ;   in Loop: Header=BB4_2911 Depth=2
	v_or_b32_e32 v115, 0x7f, v0
                                        ; implicit-def: $vgpr3
; %bb.2948:                             ;   in Loop: Header=BB4_2911 Depth=2
	s_and_not1_saveexec_b32 s24, s24
; %bb.2949:                             ;   in Loop: Header=BB4_2911 Depth=2
	v_cmp_lt_i32_e32 vcc_lo, -1, v3
	v_cndmask_b32_e32 v115, 0xfc, v110, vcc_lo
; %bb.2950:                             ;   in Loop: Header=BB4_2911 Depth=2
	s_or_b32 exec_lo, exec_lo, s24
.LBB4_2951:                             ;   in Loop: Header=BB4_2911 Depth=2
	s_delay_alu instid0(SALU_CYCLE_1) | instskip(SKIP_3) | instid1(VALU_DEP_2)
	s_or_b32 exec_lo, exec_lo, s7
	v_lshrrev_b16 v54, 8, v22
	v_dual_mov_b32 v0, 0 :: v_dual_mov_b32 v3, 0
	s_mov_b32 s7, exec_lo
	v_cmpx_ne_u16_e32 0, v54
	s_cbranch_execz .LBB4_2961
; %bb.2952:                             ;   in Loop: Header=BB4_2911 Depth=2
	v_bfrev_b32_e32 v3, 1
	s_mov_b32 s24, exec_lo
	v_cmpx_ne_u16_e32 0x80, v54
	s_cbranch_execz .LBB4_2960
; %bb.2953:                             ;   in Loop: Header=BB4_2911 Depth=2
	v_and_b32_e32 v102, 0xffff, v54
	s_delay_alu instid0(VALU_DEP_1) | instskip(SKIP_1) | instid1(VALU_DEP_2)
	v_and_b32_e32 v3, 0x7c, v102
	v_and_b32_e32 v30, 3, v102
	v_cmp_ne_u32_e32 vcc_lo, 0x7c, v3
                                        ; implicit-def: $vgpr3
	s_and_saveexec_b32 s25, vcc_lo
	s_delay_alu instid0(SALU_CYCLE_1)
	s_xor_b32 s25, exec_lo, s25
	s_cbranch_execz .LBB4_2957
; %bb.2954:                             ;   in Loop: Header=BB4_2911 Depth=2
	v_bfe_u32 v3, v102, 2, 5
	s_mov_b32 s26, exec_lo
	s_delay_alu instid0(VALU_DEP_1)
	v_cmpx_eq_u32_e32 0, v3
; %bb.2955:                             ;   in Loop: Header=BB4_2911 Depth=2
	v_clz_i32_u32_e32 v3, v30
	s_delay_alu instid0(VALU_DEP_1) | instskip(NEXT) | instid1(VALU_DEP_1)
	v_min_u32_e32 v3, 32, v3
	v_subrev_nc_u32_e32 v30, 29, v3
	s_delay_alu instid0(VALU_DEP_1) | instskip(NEXT) | instid1(VALU_DEP_1)
	v_lshlrev_b64_e32 v[102:103], v30, v[54:55]
	v_dual_sub_nc_u32 v3, 30, v3 :: v_dual_bitop2_b32 v30, 3, v102 bitop3:0x40
; %bb.2956:                             ;   in Loop: Header=BB4_2911 Depth=2
	s_or_b32 exec_lo, exec_lo, s26
	v_lshlrev_b32_e32 v54, 16, v22
	s_delay_alu instid0(VALU_DEP_1) | instskip(NEXT) | instid1(VALU_DEP_1)
	v_and_b32_e32 v54, 0x80000000, v54
	v_lshl_add_u32 v3, v3, 23, v54
	s_delay_alu instid0(VALU_DEP_1) | instskip(NEXT) | instid1(VALU_DEP_1)
	v_lshl_or_b32 v3, v30, 21, v3
                                        ; implicit-def: $vgpr30
	v_add_nc_u32_e32 v3, 0x38000000, v3
.LBB4_2957:                             ;   in Loop: Header=BB4_2911 Depth=2
	s_and_not1_saveexec_b32 s25, s25
; %bb.2958:                             ;   in Loop: Header=BB4_2911 Depth=2
	v_cmp_lt_i16_e32 vcc_lo, -1, v22
	v_cndmask_b32_e32 v3, 0xff800000, v109, vcc_lo
	v_cmp_eq_u32_e32 vcc_lo, 0, v30
	s_delay_alu instid0(VALU_DEP_2)
	v_cndmask_b32_e32 v3, 0x7f800001, v3, vcc_lo
; %bb.2959:                             ;   in Loop: Header=BB4_2911 Depth=2
	s_or_b32 exec_lo, exec_lo, s25
.LBB4_2960:                             ;   in Loop: Header=BB4_2911 Depth=2
	s_delay_alu instid0(SALU_CYCLE_1)
	s_or_b32 exec_lo, exec_lo, s24
.LBB4_2961:                             ;   in Loop: Header=BB4_2911 Depth=2
	s_delay_alu instid0(SALU_CYCLE_1) | instskip(SKIP_2) | instid1(VALU_DEP_1)
	s_or_b32 exec_lo, exec_lo, s7
	v_lshrrev_b16 v54, 8, v18
	s_mov_b32 s7, exec_lo
	v_cmpx_ne_u16_e32 0, v54
	s_cbranch_execz .LBB4_2971
; %bb.2962:                             ;   in Loop: Header=BB4_2911 Depth=2
	v_bfrev_b32_e32 v0, 1
	s_mov_b32 s24, exec_lo
	v_cmpx_ne_u16_e32 0x80, v54
	s_cbranch_execz .LBB4_2970
; %bb.2963:                             ;   in Loop: Header=BB4_2911 Depth=2
	v_and_b32_e32 v102, 0xffff, v54
	s_delay_alu instid0(VALU_DEP_1) | instskip(SKIP_1) | instid1(VALU_DEP_2)
	v_and_b32_e32 v0, 0x7c, v102
	v_and_b32_e32 v30, 3, v102
	v_cmp_ne_u32_e32 vcc_lo, 0x7c, v0
                                        ; implicit-def: $vgpr0
	s_and_saveexec_b32 s25, vcc_lo
	s_delay_alu instid0(SALU_CYCLE_1)
	s_xor_b32 s25, exec_lo, s25
	s_cbranch_execz .LBB4_2967
; %bb.2964:                             ;   in Loop: Header=BB4_2911 Depth=2
	v_bfe_u32 v0, v102, 2, 5
	s_mov_b32 s26, exec_lo
	s_delay_alu instid0(VALU_DEP_1)
	v_cmpx_eq_u32_e32 0, v0
; %bb.2965:                             ;   in Loop: Header=BB4_2911 Depth=2
	v_clz_i32_u32_e32 v0, v30
	s_delay_alu instid0(VALU_DEP_1) | instskip(NEXT) | instid1(VALU_DEP_1)
	v_min_u32_e32 v0, 32, v0
	v_subrev_nc_u32_e32 v30, 29, v0
	s_delay_alu instid0(VALU_DEP_1) | instskip(NEXT) | instid1(VALU_DEP_1)
	v_lshlrev_b64_e32 v[102:103], v30, v[54:55]
	v_dual_sub_nc_u32 v0, 30, v0 :: v_dual_bitop2_b32 v30, 3, v102 bitop3:0x40
; %bb.2966:                             ;   in Loop: Header=BB4_2911 Depth=2
	s_or_b32 exec_lo, exec_lo, s26
	v_lshlrev_b32_e32 v54, 16, v18
	s_delay_alu instid0(VALU_DEP_1) | instskip(NEXT) | instid1(VALU_DEP_1)
	v_and_b32_e32 v54, 0x80000000, v54
	v_lshl_add_u32 v0, v0, 23, v54
	s_delay_alu instid0(VALU_DEP_1) | instskip(NEXT) | instid1(VALU_DEP_1)
	v_lshl_or_b32 v0, v30, 21, v0
                                        ; implicit-def: $vgpr30
	v_add_nc_u32_e32 v0, 0x38000000, v0
.LBB4_2967:                             ;   in Loop: Header=BB4_2911 Depth=2
	s_and_not1_saveexec_b32 s25, s25
; %bb.2968:                             ;   in Loop: Header=BB4_2911 Depth=2
	v_cmp_lt_i16_e32 vcc_lo, -1, v18
	v_cndmask_b32_e32 v0, 0xff800000, v109, vcc_lo
	v_cmp_eq_u32_e32 vcc_lo, 0, v30
	s_delay_alu instid0(VALU_DEP_2)
	v_cndmask_b32_e32 v0, 0x7f800001, v0, vcc_lo
; %bb.2969:                             ;   in Loop: Header=BB4_2911 Depth=2
	s_or_b32 exec_lo, exec_lo, s25
.LBB4_2970:                             ;   in Loop: Header=BB4_2911 Depth=2
	s_delay_alu instid0(SALU_CYCLE_1)
	s_or_b32 exec_lo, exec_lo, s24
.LBB4_2971:                             ;   in Loop: Header=BB4_2911 Depth=2
	s_delay_alu instid0(SALU_CYCLE_1) | instskip(NEXT) | instid1(VALU_DEP_1)
	s_or_b32 exec_lo, exec_lo, s7
	v_mul_f32_e32 v3, v3, v0
	v_mov_b32_e32 v103, v55
                                        ; implicit-def: $vgpr116
	s_mov_b32 s7, exec_lo
	s_delay_alu instid0(VALU_DEP_2) | instskip(SKIP_2) | instid1(VALU_DEP_3)
	v_and_b32_e32 v102, 0x7f800000, v3
	v_and_b32_e32 v54, 0x7fffff, v3
	v_lshrrev_b32_e32 v0, 24, v3
	v_cmpx_ne_u64_e32 0x7f800000, v[102:103]
	s_xor_b32 s24, exec_lo, s7
	s_cbranch_execz .LBB4_2985
; %bb.2972:                             ;   in Loop: Header=BB4_2911 Depth=2
	v_and_b32_e32 v102, 0x7fffffff, v3
	v_mov_b32_e32 v103, v55
	v_and_b32_e32 v0, 0x80, v0
                                        ; implicit-def: $vgpr116
	s_mov_b32 s7, exec_lo
	s_delay_alu instid0(VALU_DEP_2)
	v_cmpx_gt_u64_e32 0x47600001, v[102:103]
	s_xor_b32 s25, exec_lo, s7
	s_cbranch_execz .LBB4_2982
; %bb.2973:                             ;   in Loop: Header=BB4_2911 Depth=2
	v_mov_b32_e32 v116, 0
	s_mov_b32 s26, exec_lo
	v_cmpx_ne_u32_e32 0, v3
	s_cbranch_execz .LBB4_2981
; %bb.2974:                             ;   in Loop: Header=BB4_2911 Depth=2
	v_bfe_u32 v3, v3, 23, 8
	v_or_b32_e32 v112, 0x800000, v54
	s_delay_alu instid0(VALU_DEP_2) | instskip(SKIP_1) | instid1(VALU_DEP_2)
	v_sub_nc_u32_e32 v30, 0x71, v3
	v_cmp_gt_u32_e32 vcc_lo, 0x72, v3
	v_cndmask_b32_e32 v30, 0, v30, vcc_lo
	v_cmp_eq_u32_e32 vcc_lo, 0, v3
	s_delay_alu instid0(VALU_DEP_2) | instskip(SKIP_1) | instid1(VALU_DEP_2)
	v_cndmask_b32_e64 v30, v30, 0x70, vcc_lo
	v_cndmask_b32_e32 v54, v112, v54, vcc_lo
	v_dual_add_nc_u32 v102, 21, v30 :: v_dual_add_nc_u32 v113, 20, v30
	s_delay_alu instid0(VALU_DEP_1) | instskip(NEXT) | instid1(VALU_DEP_2)
	v_lshlrev_b64_e64 v[102:103], v102, -1
	v_lshlrev_b64_e64 v[112:113], v113, 1
	s_delay_alu instid0(VALU_DEP_2) | instskip(NEXT) | instid1(VALU_DEP_3)
	v_bfi_b32 v117, v103, 0, 0
	v_bfi_b32 v116, v102, 0, v54
	v_lshrrev_b64 v[102:103], v30, v[54:55]
	s_delay_alu instid0(VALU_DEP_2) | instskip(NEXT) | instid1(VALU_DEP_2)
	v_cmp_eq_u64_e64 s7, v[116:117], v[112:113]
	v_mov_b64_e32 v[112:113], v[102:103]
	s_and_saveexec_b32 s27, s7
; %bb.2975:                             ;   in Loop: Header=BB4_2911 Depth=2
	v_bfe_u32 v54, v102, 21, 1
	s_delay_alu instid0(VALU_DEP_1) | instskip(NEXT) | instid1(VALU_DEP_1)
	v_add_nc_u64_e32 v[112:113], v[102:103], v[54:55]
	v_add_nc_u64_e32 v[112:113], -1, v[112:113]
; %bb.2976:                             ;   in Loop: Header=BB4_2911 Depth=2
	s_or_b32 exec_lo, exec_lo, s27
	v_add_nc_u32_e32 v3, 0xffffff81, v3
	v_lshrrev_b32_e32 v54, 23, v102
	s_mov_b32 s7, exec_lo
	s_delay_alu instid0(VALU_DEP_2) | instskip(NEXT) | instid1(VALU_DEP_1)
	v_cndmask_b32_e64 v3, v3, 0xffffff82, vcc_lo
	v_add3_u32 v30, v30, v3, v54
	v_and_b32_e32 v3, 0x1fffff, v112
	s_delay_alu instid0(VALU_DEP_2) | instskip(NEXT) | instid1(VALU_DEP_2)
	v_add_nc_u32_e32 v112, 14, v30
	v_add_nc_u32_e32 v54, v3, v102
                                        ; implicit-def: $vgpr102_vgpr103
                                        ; implicit-def: $vgpr3
	s_delay_alu instid0(VALU_DEP_2)
	v_cmpx_ne_u32_e32 0, v112
	s_xor_b32 s7, exec_lo, s7
; %bb.2977:                             ;   in Loop: Header=BB4_2911 Depth=2
	s_delay_alu instid0(VALU_DEP_2) | instskip(SKIP_2) | instid1(VALU_DEP_2)
	v_cmp_lt_u64_e32 vcc_lo, 0xffffff, v[54:55]
	v_add_nc_u32_e32 v3, 15, v30
	v_cndmask_b32_e64 v30, 0, 1, vcc_lo
	v_cndmask_b32_e32 v3, v112, v3, vcc_lo
	s_delay_alu instid0(VALU_DEP_2)
	v_lshrrev_b64 v[102:103], v30, v[54:55]
; %bb.2978:                             ;   in Loop: Header=BB4_2911 Depth=2
	s_and_not1_saveexec_b32 s7, s7
; %bb.2979:                             ;   in Loop: Header=BB4_2911 Depth=2
	v_mov_b64_e32 v[102:103], v[54:55]
	v_bfe_u32 v3, v54, 23, 1
; %bb.2980:                             ;   in Loop: Header=BB4_2911 Depth=2
	s_or_b32 exec_lo, exec_lo, s7
	s_delay_alu instid0(VALU_DEP_2) | instskip(NEXT) | instid1(VALU_DEP_2)
	v_lshrrev_b64 v[102:103], 21, v[102:103]
	v_cmp_gt_i32_e32 vcc_lo, 32, v3
	v_min_i32_e32 v30, 31, v3
	v_cmp_eq_u32_e64 s7, 0, v3
	s_delay_alu instid0(VALU_DEP_4) | instskip(NEXT) | instid1(VALU_DEP_3)
	v_cndmask_b32_e32 v102, 3, v102, vcc_lo
	v_dual_cndmask_b32 v103, 0, v103 :: v_dual_lshlrev_b32 v30, 2, v30
	s_delay_alu instid0(VALU_DEP_1) | instskip(NEXT) | instid1(VALU_DEP_2)
	v_and_b32_e32 v30, 0xfc, v30
	v_cmp_eq_u64_e32 vcc_lo, 0, v[102:103]
	s_delay_alu instid0(VALU_DEP_2)
	v_and_or_b32 v3, v102, 3, v30
	s_and_b32 s7, s7, vcc_lo
	s_delay_alu instid0(VALU_DEP_1) | instid1(SALU_CYCLE_1)
	v_cndmask_b32_e64 v3, v3, 0, s7
	s_delay_alu instid0(VALU_DEP_1)
	v_or_b32_e32 v116, v3, v0
.LBB4_2981:                             ;   in Loop: Header=BB4_2911 Depth=2
	s_or_b32 exec_lo, exec_lo, s26
                                        ; implicit-def: $vgpr0
.LBB4_2982:                             ;   in Loop: Header=BB4_2911 Depth=2
	s_and_not1_saveexec_b32 s7, s25
; %bb.2983:                             ;   in Loop: Header=BB4_2911 Depth=2
	v_or_b32_e32 v116, 0x7b, v0
; %bb.2984:                             ;   in Loop: Header=BB4_2911 Depth=2
	s_or_b32 exec_lo, exec_lo, s7
                                        ; implicit-def: $vgpr3
                                        ; implicit-def: $vgpr0
.LBB4_2985:                             ;   in Loop: Header=BB4_2911 Depth=2
	s_and_not1_saveexec_b32 s7, s24
	s_cbranch_execz .LBB4_2991
; %bb.2986:                             ;   in Loop: Header=BB4_2911 Depth=2
	s_mov_b32 s24, exec_lo
                                        ; implicit-def: $vgpr116
	v_cmpx_ne_u64_e32 0, v[54:55]
	s_xor_b32 s24, exec_lo, s24
; %bb.2987:                             ;   in Loop: Header=BB4_2911 Depth=2
	v_or_b32_e32 v116, 0x7f, v0
                                        ; implicit-def: $vgpr3
; %bb.2988:                             ;   in Loop: Header=BB4_2911 Depth=2
	s_and_not1_saveexec_b32 s24, s24
; %bb.2989:                             ;   in Loop: Header=BB4_2911 Depth=2
	v_cmp_lt_i32_e32 vcc_lo, -1, v3
	v_cndmask_b32_e32 v116, 0xfc, v110, vcc_lo
; %bb.2990:                             ;   in Loop: Header=BB4_2911 Depth=2
	s_or_b32 exec_lo, exec_lo, s24
.LBB4_2991:                             ;   in Loop: Header=BB4_2911 Depth=2
	s_delay_alu instid0(SALU_CYCLE_1) | instskip(SKIP_3) | instid1(VALU_DEP_2)
	s_or_b32 exec_lo, exec_lo, s7
	v_dual_lshrrev_b32 v30, 16, v22 :: v_dual_mov_b32 v0, 0
	v_mov_b32_e32 v3, 0
	s_mov_b32 s7, exec_lo
	v_and_b32_e32 v54, 0xff, v30
	s_delay_alu instid0(VALU_DEP_1)
	v_cmpx_ne_u16_e32 0, v54
	s_cbranch_execz .LBB4_3001
; %bb.2992:                             ;   in Loop: Header=BB4_2911 Depth=2
	v_bfrev_b32_e32 v3, 1
	s_mov_b32 s24, exec_lo
	v_cmpx_ne_u16_e32 0x80, v54
	s_cbranch_execz .LBB4_3000
; %bb.2993:                             ;   in Loop: Header=BB4_2911 Depth=2
	v_and_b32_e32 v3, 0x7c0000, v22
	v_bfe_u32 v54, v22, 16, 2
	s_delay_alu instid0(VALU_DEP_2) | instskip(SKIP_1) | instid1(SALU_CYCLE_1)
	v_cmp_ne_u32_e32 vcc_lo, 0x7c0000, v3
                                        ; implicit-def: $vgpr3
	s_and_saveexec_b32 s25, vcc_lo
	s_xor_b32 s25, exec_lo, s25
	s_cbranch_execz .LBB4_2997
; %bb.2994:                             ;   in Loop: Header=BB4_2911 Depth=2
	v_bfe_u32 v3, v22, 18, 5
	s_mov_b32 s26, exec_lo
	s_delay_alu instid0(VALU_DEP_1)
	v_cmpx_eq_u32_e32 0, v3
; %bb.2995:                             ;   in Loop: Header=BB4_2911 Depth=2
	v_clz_i32_u32_e32 v3, v54
	s_delay_alu instid0(VALU_DEP_1) | instskip(NEXT) | instid1(VALU_DEP_1)
	v_min_u32_e32 v3, 32, v3
	v_subrev_nc_u32_e32 v54, 29, v3
	s_delay_alu instid0(VALU_DEP_1) | instskip(NEXT) | instid1(VALU_DEP_1)
	v_lshlrev_b64_e32 v[102:103], v54, v[30:31]
	v_dual_sub_nc_u32 v3, 30, v3 :: v_dual_bitop2_b32 v54, 3, v102 bitop3:0x40
; %bb.2996:                             ;   in Loop: Header=BB4_2911 Depth=2
	s_or_b32 exec_lo, exec_lo, s26
	v_lshlrev_b32_e32 v30, 24, v30
	s_delay_alu instid0(VALU_DEP_1) | instskip(NEXT) | instid1(VALU_DEP_1)
	v_and_b32_e32 v30, 0x80000000, v30
	v_lshl_add_u32 v3, v3, 23, v30
                                        ; implicit-def: $vgpr30
	s_delay_alu instid0(VALU_DEP_1) | instskip(NEXT) | instid1(VALU_DEP_1)
	v_lshl_or_b32 v3, v54, 21, v3
                                        ; implicit-def: $vgpr54
	v_add_nc_u32_e32 v3, 0x38000000, v3
.LBB4_2997:                             ;   in Loop: Header=BB4_2911 Depth=2
	s_and_not1_saveexec_b32 s25, s25
; %bb.2998:                             ;   in Loop: Header=BB4_2911 Depth=2
	v_bfe_i32 v3, v30, 0, 8
	s_delay_alu instid0(VALU_DEP_1) | instskip(SKIP_2) | instid1(VALU_DEP_2)
	v_cmp_lt_i16_e32 vcc_lo, -1, v3
	v_cndmask_b32_e32 v3, 0xff800000, v109, vcc_lo
	v_cmp_eq_u32_e32 vcc_lo, 0, v54
	v_cndmask_b32_e32 v3, 0x7f800001, v3, vcc_lo
; %bb.2999:                             ;   in Loop: Header=BB4_2911 Depth=2
	s_or_b32 exec_lo, exec_lo, s25
.LBB4_3000:                             ;   in Loop: Header=BB4_2911 Depth=2
	s_delay_alu instid0(SALU_CYCLE_1)
	s_or_b32 exec_lo, exec_lo, s24
.LBB4_3001:                             ;   in Loop: Header=BB4_2911 Depth=2
	s_delay_alu instid0(SALU_CYCLE_1) | instskip(SKIP_2) | instid1(VALU_DEP_1)
	s_or_b32 exec_lo, exec_lo, s7
	v_lshrrev_b32_e32 v30, 16, v18
	s_mov_b32 s7, exec_lo
	v_and_b32_e32 v54, 0xff, v30
	s_delay_alu instid0(VALU_DEP_1)
	v_cmpx_ne_u16_e32 0, v54
	s_cbranch_execz .LBB4_3011
; %bb.3002:                             ;   in Loop: Header=BB4_2911 Depth=2
	v_bfrev_b32_e32 v0, 1
	s_mov_b32 s24, exec_lo
	v_cmpx_ne_u16_e32 0x80, v54
	s_cbranch_execz .LBB4_3010
; %bb.3003:                             ;   in Loop: Header=BB4_2911 Depth=2
	v_and_b32_e32 v0, 0x7c0000, v18
	v_bfe_u32 v54, v18, 16, 2
	s_delay_alu instid0(VALU_DEP_2) | instskip(SKIP_1) | instid1(SALU_CYCLE_1)
	v_cmp_ne_u32_e32 vcc_lo, 0x7c0000, v0
                                        ; implicit-def: $vgpr0
	s_and_saveexec_b32 s25, vcc_lo
	s_xor_b32 s25, exec_lo, s25
	s_cbranch_execz .LBB4_3007
; %bb.3004:                             ;   in Loop: Header=BB4_2911 Depth=2
	v_bfe_u32 v0, v18, 18, 5
	s_mov_b32 s26, exec_lo
	s_delay_alu instid0(VALU_DEP_1)
	v_cmpx_eq_u32_e32 0, v0
; %bb.3005:                             ;   in Loop: Header=BB4_2911 Depth=2
	v_clz_i32_u32_e32 v0, v54
	s_delay_alu instid0(VALU_DEP_1) | instskip(NEXT) | instid1(VALU_DEP_1)
	v_min_u32_e32 v0, 32, v0
	v_subrev_nc_u32_e32 v54, 29, v0
	s_delay_alu instid0(VALU_DEP_1) | instskip(NEXT) | instid1(VALU_DEP_1)
	v_lshlrev_b64_e32 v[102:103], v54, v[30:31]
	v_dual_sub_nc_u32 v0, 30, v0 :: v_dual_bitop2_b32 v54, 3, v102 bitop3:0x40
; %bb.3006:                             ;   in Loop: Header=BB4_2911 Depth=2
	s_or_b32 exec_lo, exec_lo, s26
	v_lshlrev_b32_e32 v30, 24, v30
	s_delay_alu instid0(VALU_DEP_1) | instskip(NEXT) | instid1(VALU_DEP_1)
	v_and_b32_e32 v30, 0x80000000, v30
	v_lshl_add_u32 v0, v0, 23, v30
                                        ; implicit-def: $vgpr30
	s_delay_alu instid0(VALU_DEP_1) | instskip(NEXT) | instid1(VALU_DEP_1)
	v_lshl_or_b32 v0, v54, 21, v0
                                        ; implicit-def: $vgpr54
	v_add_nc_u32_e32 v0, 0x38000000, v0
.LBB4_3007:                             ;   in Loop: Header=BB4_2911 Depth=2
	s_and_not1_saveexec_b32 s25, s25
; %bb.3008:                             ;   in Loop: Header=BB4_2911 Depth=2
	v_bfe_i32 v0, v30, 0, 8
	s_delay_alu instid0(VALU_DEP_1) | instskip(SKIP_2) | instid1(VALU_DEP_2)
	v_cmp_lt_i16_e32 vcc_lo, -1, v0
	v_cndmask_b32_e32 v0, 0xff800000, v109, vcc_lo
	v_cmp_eq_u32_e32 vcc_lo, 0, v54
	v_cndmask_b32_e32 v0, 0x7f800001, v0, vcc_lo
; %bb.3009:                             ;   in Loop: Header=BB4_2911 Depth=2
	s_or_b32 exec_lo, exec_lo, s25
.LBB4_3010:                             ;   in Loop: Header=BB4_2911 Depth=2
	s_delay_alu instid0(SALU_CYCLE_1)
	s_or_b32 exec_lo, exec_lo, s24
.LBB4_3011:                             ;   in Loop: Header=BB4_2911 Depth=2
	s_delay_alu instid0(SALU_CYCLE_1) | instskip(NEXT) | instid1(VALU_DEP_1)
	s_or_b32 exec_lo, exec_lo, s7
	v_mul_f32_e32 v3, v3, v0
	v_mov_b32_e32 v103, v55
                                        ; implicit-def: $vgpr117
	s_mov_b32 s7, exec_lo
	s_delay_alu instid0(VALU_DEP_2) | instskip(SKIP_2) | instid1(VALU_DEP_3)
	v_and_b32_e32 v102, 0x7f800000, v3
	v_and_b32_e32 v54, 0x7fffff, v3
	v_lshrrev_b32_e32 v0, 24, v3
	v_cmpx_ne_u64_e32 0x7f800000, v[102:103]
	s_xor_b32 s24, exec_lo, s7
	s_cbranch_execz .LBB4_3025
; %bb.3012:                             ;   in Loop: Header=BB4_2911 Depth=2
	v_and_b32_e32 v102, 0x7fffffff, v3
	v_mov_b32_e32 v103, v55
	v_and_b32_e32 v0, 0x80, v0
                                        ; implicit-def: $vgpr117
	s_mov_b32 s7, exec_lo
	s_delay_alu instid0(VALU_DEP_2)
	v_cmpx_gt_u64_e32 0x47600001, v[102:103]
	s_xor_b32 s25, exec_lo, s7
	s_cbranch_execz .LBB4_3022
; %bb.3013:                             ;   in Loop: Header=BB4_2911 Depth=2
	v_mov_b32_e32 v117, 0
	s_mov_b32 s26, exec_lo
	v_cmpx_ne_u32_e32 0, v3
	s_cbranch_execz .LBB4_3021
; %bb.3014:                             ;   in Loop: Header=BB4_2911 Depth=2
	v_bfe_u32 v3, v3, 23, 8
	v_or_b32_e32 v112, 0x800000, v54
	s_delay_alu instid0(VALU_DEP_2) | instskip(SKIP_1) | instid1(VALU_DEP_2)
	v_sub_nc_u32_e32 v30, 0x71, v3
	v_cmp_gt_u32_e32 vcc_lo, 0x72, v3
	v_cndmask_b32_e32 v30, 0, v30, vcc_lo
	v_cmp_eq_u32_e32 vcc_lo, 0, v3
	s_delay_alu instid0(VALU_DEP_2) | instskip(SKIP_1) | instid1(VALU_DEP_2)
	v_cndmask_b32_e64 v30, v30, 0x70, vcc_lo
	v_cndmask_b32_e32 v54, v112, v54, vcc_lo
	v_dual_add_nc_u32 v102, 21, v30 :: v_dual_add_nc_u32 v113, 20, v30
	s_delay_alu instid0(VALU_DEP_1) | instskip(NEXT) | instid1(VALU_DEP_2)
	v_lshlrev_b64_e64 v[102:103], v102, -1
	v_lshlrev_b64_e64 v[112:113], v113, 1
	s_delay_alu instid0(VALU_DEP_2) | instskip(NEXT) | instid1(VALU_DEP_3)
	v_bfi_b32 v119, v103, 0, 0
	v_bfi_b32 v118, v102, 0, v54
	v_lshrrev_b64 v[102:103], v30, v[54:55]
	s_delay_alu instid0(VALU_DEP_2) | instskip(NEXT) | instid1(VALU_DEP_2)
	v_cmp_eq_u64_e64 s7, v[118:119], v[112:113]
	v_mov_b64_e32 v[112:113], v[102:103]
	s_and_saveexec_b32 s27, s7
; %bb.3015:                             ;   in Loop: Header=BB4_2911 Depth=2
	v_bfe_u32 v54, v102, 21, 1
	s_delay_alu instid0(VALU_DEP_1) | instskip(NEXT) | instid1(VALU_DEP_1)
	v_add_nc_u64_e32 v[112:113], v[102:103], v[54:55]
	v_add_nc_u64_e32 v[112:113], -1, v[112:113]
; %bb.3016:                             ;   in Loop: Header=BB4_2911 Depth=2
	s_or_b32 exec_lo, exec_lo, s27
	v_add_nc_u32_e32 v3, 0xffffff81, v3
	v_lshrrev_b32_e32 v54, 23, v102
	s_mov_b32 s7, exec_lo
	s_delay_alu instid0(VALU_DEP_2) | instskip(NEXT) | instid1(VALU_DEP_1)
	v_cndmask_b32_e64 v3, v3, 0xffffff82, vcc_lo
	v_add3_u32 v30, v30, v3, v54
	v_and_b32_e32 v3, 0x1fffff, v112
	s_delay_alu instid0(VALU_DEP_2) | instskip(NEXT) | instid1(VALU_DEP_2)
	v_add_nc_u32_e32 v112, 14, v30
	v_add_nc_u32_e32 v54, v3, v102
                                        ; implicit-def: $vgpr102_vgpr103
                                        ; implicit-def: $vgpr3
	s_delay_alu instid0(VALU_DEP_2)
	v_cmpx_ne_u32_e32 0, v112
	s_xor_b32 s7, exec_lo, s7
; %bb.3017:                             ;   in Loop: Header=BB4_2911 Depth=2
	s_delay_alu instid0(VALU_DEP_2) | instskip(SKIP_2) | instid1(VALU_DEP_2)
	v_cmp_lt_u64_e32 vcc_lo, 0xffffff, v[54:55]
	v_add_nc_u32_e32 v3, 15, v30
	v_cndmask_b32_e64 v30, 0, 1, vcc_lo
	v_cndmask_b32_e32 v3, v112, v3, vcc_lo
	s_delay_alu instid0(VALU_DEP_2)
	v_lshrrev_b64 v[102:103], v30, v[54:55]
; %bb.3018:                             ;   in Loop: Header=BB4_2911 Depth=2
	s_and_not1_saveexec_b32 s7, s7
; %bb.3019:                             ;   in Loop: Header=BB4_2911 Depth=2
	v_mov_b64_e32 v[102:103], v[54:55]
	v_bfe_u32 v3, v54, 23, 1
; %bb.3020:                             ;   in Loop: Header=BB4_2911 Depth=2
	s_or_b32 exec_lo, exec_lo, s7
	s_delay_alu instid0(VALU_DEP_2) | instskip(NEXT) | instid1(VALU_DEP_2)
	v_lshrrev_b64 v[102:103], 21, v[102:103]
	v_cmp_gt_i32_e32 vcc_lo, 32, v3
	v_min_i32_e32 v30, 31, v3
	v_cmp_eq_u32_e64 s7, 0, v3
	s_delay_alu instid0(VALU_DEP_4) | instskip(NEXT) | instid1(VALU_DEP_3)
	v_cndmask_b32_e32 v102, 3, v102, vcc_lo
	v_dual_cndmask_b32 v103, 0, v103 :: v_dual_lshlrev_b32 v30, 2, v30
	s_delay_alu instid0(VALU_DEP_1) | instskip(NEXT) | instid1(VALU_DEP_2)
	v_and_b32_e32 v30, 0xfc, v30
	v_cmp_eq_u64_e32 vcc_lo, 0, v[102:103]
	s_delay_alu instid0(VALU_DEP_2)
	v_and_or_b32 v3, v102, 3, v30
	s_and_b32 s7, s7, vcc_lo
	s_delay_alu instid0(VALU_DEP_1) | instid1(SALU_CYCLE_1)
	v_cndmask_b32_e64 v3, v3, 0, s7
	s_delay_alu instid0(VALU_DEP_1)
	v_or_b32_e32 v117, v3, v0
.LBB4_3021:                             ;   in Loop: Header=BB4_2911 Depth=2
	s_or_b32 exec_lo, exec_lo, s26
                                        ; implicit-def: $vgpr0
.LBB4_3022:                             ;   in Loop: Header=BB4_2911 Depth=2
	s_and_not1_saveexec_b32 s7, s25
; %bb.3023:                             ;   in Loop: Header=BB4_2911 Depth=2
	v_or_b32_e32 v117, 0x7b, v0
; %bb.3024:                             ;   in Loop: Header=BB4_2911 Depth=2
	s_or_b32 exec_lo, exec_lo, s7
                                        ; implicit-def: $vgpr3
                                        ; implicit-def: $vgpr0
.LBB4_3025:                             ;   in Loop: Header=BB4_2911 Depth=2
	s_and_not1_saveexec_b32 s7, s24
	s_cbranch_execz .LBB4_3031
; %bb.3026:                             ;   in Loop: Header=BB4_2911 Depth=2
	s_mov_b32 s24, exec_lo
                                        ; implicit-def: $vgpr117
	v_cmpx_ne_u64_e32 0, v[54:55]
	s_xor_b32 s24, exec_lo, s24
; %bb.3027:                             ;   in Loop: Header=BB4_2911 Depth=2
	v_or_b32_e32 v117, 0x7f, v0
                                        ; implicit-def: $vgpr3
; %bb.3028:                             ;   in Loop: Header=BB4_2911 Depth=2
	s_and_not1_saveexec_b32 s24, s24
; %bb.3029:                             ;   in Loop: Header=BB4_2911 Depth=2
	v_cmp_lt_i32_e32 vcc_lo, -1, v3
	v_cndmask_b32_e32 v117, 0xfc, v110, vcc_lo
; %bb.3030:                             ;   in Loop: Header=BB4_2911 Depth=2
	s_or_b32 exec_lo, exec_lo, s24
.LBB4_3031:                             ;   in Loop: Header=BB4_2911 Depth=2
	s_delay_alu instid0(SALU_CYCLE_1)
	s_or_b32 exec_lo, exec_lo, s7
	v_dual_mov_b32 v0, 0 :: v_dual_mov_b32 v3, 0
	s_mov_b32 s7, exec_lo
	v_cmpx_lt_u32_e32 0xffffff, v22
	s_cbranch_execz .LBB4_3041
; %bb.3032:                             ;   in Loop: Header=BB4_2911 Depth=2
	v_lshrrev_b32_e32 v30, 24, v22
	v_bfrev_b32_e32 v3, 1
	s_mov_b32 s24, exec_lo
	s_delay_alu instid0(VALU_DEP_2)
	v_cmpx_ne_u32_e32 0x80, v30
	s_cbranch_execz .LBB4_3040
; %bb.3033:                             ;   in Loop: Header=BB4_2911 Depth=2
	v_and_b32_e32 v3, 0x7c000000, v22
	v_bfe_u32 v54, v22, 24, 2
	s_delay_alu instid0(VALU_DEP_2) | instskip(SKIP_1) | instid1(SALU_CYCLE_1)
	v_cmp_ne_u32_e32 vcc_lo, 0x7c000000, v3
                                        ; implicit-def: $vgpr3
	s_and_saveexec_b32 s25, vcc_lo
	s_xor_b32 s25, exec_lo, s25
	s_cbranch_execz .LBB4_3037
; %bb.3034:                             ;   in Loop: Header=BB4_2911 Depth=2
	v_bfe_u32 v3, v22, 26, 5
	s_mov_b32 s26, exec_lo
	s_delay_alu instid0(VALU_DEP_1)
	v_cmpx_eq_u32_e32 0, v3
; %bb.3035:                             ;   in Loop: Header=BB4_2911 Depth=2
	v_clz_i32_u32_e32 v3, v54
	s_delay_alu instid0(VALU_DEP_1) | instskip(NEXT) | instid1(VALU_DEP_1)
	v_min_u32_e32 v3, 32, v3
	v_subrev_nc_u32_e32 v54, 29, v3
	s_delay_alu instid0(VALU_DEP_1) | instskip(NEXT) | instid1(VALU_DEP_1)
	v_lshlrev_b64_e32 v[102:103], v54, v[30:31]
	v_dual_sub_nc_u32 v3, 30, v3 :: v_dual_bitop2_b32 v54, 3, v102 bitop3:0x40
; %bb.3036:                             ;   in Loop: Header=BB4_2911 Depth=2
	s_or_b32 exec_lo, exec_lo, s26
	v_and_b32_e32 v30, 0x80000000, v22
	s_delay_alu instid0(VALU_DEP_1) | instskip(NEXT) | instid1(VALU_DEP_1)
	v_lshl_add_u32 v3, v3, 23, v30
	v_lshl_or_b32 v3, v54, 21, v3
                                        ; implicit-def: $vgpr54
	s_delay_alu instid0(VALU_DEP_1)
	v_add_nc_u32_e32 v3, 0x38000000, v3
.LBB4_3037:                             ;   in Loop: Header=BB4_2911 Depth=2
	s_and_not1_saveexec_b32 s25, s25
; %bb.3038:                             ;   in Loop: Header=BB4_2911 Depth=2
	v_cmp_lt_i32_e32 vcc_lo, -1, v22
	v_cndmask_b32_e32 v3, 0xff800000, v109, vcc_lo
	v_cmp_eq_u32_e32 vcc_lo, 0, v54
	s_delay_alu instid0(VALU_DEP_2)
	v_cndmask_b32_e32 v3, 0x7f800001, v3, vcc_lo
; %bb.3039:                             ;   in Loop: Header=BB4_2911 Depth=2
	s_or_b32 exec_lo, exec_lo, s25
.LBB4_3040:                             ;   in Loop: Header=BB4_2911 Depth=2
	s_delay_alu instid0(SALU_CYCLE_1)
	s_or_b32 exec_lo, exec_lo, s24
.LBB4_3041:                             ;   in Loop: Header=BB4_2911 Depth=2
	s_delay_alu instid0(SALU_CYCLE_1) | instskip(NEXT) | instid1(SALU_CYCLE_1)
	s_or_b32 exec_lo, exec_lo, s7
	s_mov_b32 s7, exec_lo
	v_cmpx_lt_u32_e32 0xffffff, v18
	s_cbranch_execz .LBB4_3051
; %bb.3042:                             ;   in Loop: Header=BB4_2911 Depth=2
	v_lshrrev_b32_e32 v30, 24, v18
	v_bfrev_b32_e32 v0, 1
	s_mov_b32 s24, exec_lo
	s_delay_alu instid0(VALU_DEP_2)
	v_cmpx_ne_u32_e32 0x80, v30
	s_cbranch_execz .LBB4_3050
; %bb.3043:                             ;   in Loop: Header=BB4_2911 Depth=2
	v_and_b32_e32 v0, 0x7c000000, v18
	v_bfe_u32 v54, v18, 24, 2
	s_delay_alu instid0(VALU_DEP_2) | instskip(SKIP_1) | instid1(SALU_CYCLE_1)
	v_cmp_ne_u32_e32 vcc_lo, 0x7c000000, v0
                                        ; implicit-def: $vgpr0
	s_and_saveexec_b32 s25, vcc_lo
	s_xor_b32 s25, exec_lo, s25
	s_cbranch_execz .LBB4_3047
; %bb.3044:                             ;   in Loop: Header=BB4_2911 Depth=2
	v_bfe_u32 v0, v18, 26, 5
	s_mov_b32 s26, exec_lo
	s_delay_alu instid0(VALU_DEP_1)
	v_cmpx_eq_u32_e32 0, v0
; %bb.3045:                             ;   in Loop: Header=BB4_2911 Depth=2
	v_clz_i32_u32_e32 v0, v54
	s_delay_alu instid0(VALU_DEP_1) | instskip(NEXT) | instid1(VALU_DEP_1)
	v_min_u32_e32 v0, 32, v0
	v_subrev_nc_u32_e32 v54, 29, v0
	s_delay_alu instid0(VALU_DEP_1) | instskip(NEXT) | instid1(VALU_DEP_1)
	v_lshlrev_b64_e32 v[102:103], v54, v[30:31]
	v_dual_sub_nc_u32 v0, 30, v0 :: v_dual_bitop2_b32 v54, 3, v102 bitop3:0x40
; %bb.3046:                             ;   in Loop: Header=BB4_2911 Depth=2
	s_or_b32 exec_lo, exec_lo, s26
	v_and_b32_e32 v30, 0x80000000, v18
	s_delay_alu instid0(VALU_DEP_1) | instskip(NEXT) | instid1(VALU_DEP_1)
	v_lshl_add_u32 v0, v0, 23, v30
	v_lshl_or_b32 v0, v54, 21, v0
                                        ; implicit-def: $vgpr54
	s_delay_alu instid0(VALU_DEP_1)
	v_add_nc_u32_e32 v0, 0x38000000, v0
.LBB4_3047:                             ;   in Loop: Header=BB4_2911 Depth=2
	s_and_not1_saveexec_b32 s25, s25
; %bb.3048:                             ;   in Loop: Header=BB4_2911 Depth=2
	v_cmp_lt_i32_e32 vcc_lo, -1, v18
	v_cndmask_b32_e32 v0, 0xff800000, v109, vcc_lo
	v_cmp_eq_u32_e32 vcc_lo, 0, v54
	s_delay_alu instid0(VALU_DEP_2)
	v_cndmask_b32_e32 v0, 0x7f800001, v0, vcc_lo
; %bb.3049:                             ;   in Loop: Header=BB4_2911 Depth=2
	s_or_b32 exec_lo, exec_lo, s25
.LBB4_3050:                             ;   in Loop: Header=BB4_2911 Depth=2
	s_delay_alu instid0(SALU_CYCLE_1)
	s_or_b32 exec_lo, exec_lo, s24
.LBB4_3051:                             ;   in Loop: Header=BB4_2911 Depth=2
	s_delay_alu instid0(SALU_CYCLE_1) | instskip(NEXT) | instid1(VALU_DEP_1)
	s_or_b32 exec_lo, exec_lo, s7
	v_mul_f32_e32 v3, v3, v0
	v_mov_b32_e32 v103, v55
                                        ; implicit-def: $vgpr118
	s_mov_b32 s7, exec_lo
	s_delay_alu instid0(VALU_DEP_2) | instskip(SKIP_2) | instid1(VALU_DEP_3)
	v_and_b32_e32 v102, 0x7f800000, v3
	v_and_b32_e32 v54, 0x7fffff, v3
	v_lshrrev_b32_e32 v0, 24, v3
	v_cmpx_ne_u64_e32 0x7f800000, v[102:103]
	s_xor_b32 s24, exec_lo, s7
	s_cbranch_execz .LBB4_3065
; %bb.3052:                             ;   in Loop: Header=BB4_2911 Depth=2
	v_and_b32_e32 v102, 0x7fffffff, v3
	v_mov_b32_e32 v103, v55
	v_and_b32_e32 v0, 0x80, v0
                                        ; implicit-def: $vgpr118
	s_mov_b32 s7, exec_lo
	s_delay_alu instid0(VALU_DEP_2)
	v_cmpx_gt_u64_e32 0x47600001, v[102:103]
	s_xor_b32 s25, exec_lo, s7
	s_cbranch_execz .LBB4_3062
; %bb.3053:                             ;   in Loop: Header=BB4_2911 Depth=2
	v_mov_b32_e32 v118, 0
	s_mov_b32 s26, exec_lo
	v_cmpx_ne_u32_e32 0, v3
	s_cbranch_execz .LBB4_3061
; %bb.3054:                             ;   in Loop: Header=BB4_2911 Depth=2
	v_bfe_u32 v3, v3, 23, 8
	v_or_b32_e32 v112, 0x800000, v54
	s_delay_alu instid0(VALU_DEP_2) | instskip(SKIP_1) | instid1(VALU_DEP_2)
	v_sub_nc_u32_e32 v30, 0x71, v3
	v_cmp_gt_u32_e32 vcc_lo, 0x72, v3
	v_cndmask_b32_e32 v30, 0, v30, vcc_lo
	v_cmp_eq_u32_e32 vcc_lo, 0, v3
	s_delay_alu instid0(VALU_DEP_2) | instskip(SKIP_1) | instid1(VALU_DEP_2)
	v_cndmask_b32_e64 v30, v30, 0x70, vcc_lo
	v_cndmask_b32_e32 v54, v112, v54, vcc_lo
	v_dual_add_nc_u32 v102, 21, v30 :: v_dual_add_nc_u32 v113, 20, v30
	s_delay_alu instid0(VALU_DEP_1) | instskip(NEXT) | instid1(VALU_DEP_2)
	v_lshlrev_b64_e64 v[102:103], v102, -1
	v_lshlrev_b64_e64 v[112:113], v113, 1
	s_delay_alu instid0(VALU_DEP_2) | instskip(NEXT) | instid1(VALU_DEP_3)
	v_bfi_b32 v119, v103, 0, 0
	v_bfi_b32 v118, v102, 0, v54
	v_lshrrev_b64 v[102:103], v30, v[54:55]
	s_delay_alu instid0(VALU_DEP_2) | instskip(NEXT) | instid1(VALU_DEP_2)
	v_cmp_eq_u64_e64 s7, v[118:119], v[112:113]
	v_mov_b64_e32 v[112:113], v[102:103]
	s_and_saveexec_b32 s27, s7
; %bb.3055:                             ;   in Loop: Header=BB4_2911 Depth=2
	v_bfe_u32 v54, v102, 21, 1
	s_delay_alu instid0(VALU_DEP_1) | instskip(NEXT) | instid1(VALU_DEP_1)
	v_add_nc_u64_e32 v[112:113], v[102:103], v[54:55]
	v_add_nc_u64_e32 v[112:113], -1, v[112:113]
; %bb.3056:                             ;   in Loop: Header=BB4_2911 Depth=2
	s_or_b32 exec_lo, exec_lo, s27
	v_add_nc_u32_e32 v3, 0xffffff81, v3
	v_lshrrev_b32_e32 v54, 23, v102
	s_mov_b32 s7, exec_lo
	s_delay_alu instid0(VALU_DEP_2) | instskip(NEXT) | instid1(VALU_DEP_1)
	v_cndmask_b32_e64 v3, v3, 0xffffff82, vcc_lo
	v_add3_u32 v30, v30, v3, v54
	v_and_b32_e32 v3, 0x1fffff, v112
	s_delay_alu instid0(VALU_DEP_2) | instskip(NEXT) | instid1(VALU_DEP_2)
	v_add_nc_u32_e32 v112, 14, v30
	v_add_nc_u32_e32 v54, v3, v102
                                        ; implicit-def: $vgpr102_vgpr103
                                        ; implicit-def: $vgpr3
	s_delay_alu instid0(VALU_DEP_2)
	v_cmpx_ne_u32_e32 0, v112
	s_xor_b32 s7, exec_lo, s7
; %bb.3057:                             ;   in Loop: Header=BB4_2911 Depth=2
	s_delay_alu instid0(VALU_DEP_2) | instskip(SKIP_2) | instid1(VALU_DEP_2)
	v_cmp_lt_u64_e32 vcc_lo, 0xffffff, v[54:55]
	v_add_nc_u32_e32 v3, 15, v30
	v_cndmask_b32_e64 v30, 0, 1, vcc_lo
	v_cndmask_b32_e32 v3, v112, v3, vcc_lo
	s_delay_alu instid0(VALU_DEP_2)
	v_lshrrev_b64 v[102:103], v30, v[54:55]
; %bb.3058:                             ;   in Loop: Header=BB4_2911 Depth=2
	s_and_not1_saveexec_b32 s7, s7
; %bb.3059:                             ;   in Loop: Header=BB4_2911 Depth=2
	v_mov_b64_e32 v[102:103], v[54:55]
	v_bfe_u32 v3, v54, 23, 1
; %bb.3060:                             ;   in Loop: Header=BB4_2911 Depth=2
	s_or_b32 exec_lo, exec_lo, s7
	s_delay_alu instid0(VALU_DEP_2) | instskip(NEXT) | instid1(VALU_DEP_2)
	v_lshrrev_b64 v[102:103], 21, v[102:103]
	v_cmp_gt_i32_e32 vcc_lo, 32, v3
	v_min_i32_e32 v30, 31, v3
	v_cmp_eq_u32_e64 s7, 0, v3
	s_delay_alu instid0(VALU_DEP_4) | instskip(NEXT) | instid1(VALU_DEP_3)
	v_cndmask_b32_e32 v102, 3, v102, vcc_lo
	v_dual_cndmask_b32 v103, 0, v103 :: v_dual_lshlrev_b32 v30, 2, v30
	s_delay_alu instid0(VALU_DEP_1) | instskip(NEXT) | instid1(VALU_DEP_2)
	v_and_b32_e32 v30, 0xfc, v30
	v_cmp_eq_u64_e32 vcc_lo, 0, v[102:103]
	s_delay_alu instid0(VALU_DEP_2)
	v_and_or_b32 v3, v102, 3, v30
	s_and_b32 s7, s7, vcc_lo
	s_delay_alu instid0(VALU_DEP_1) | instid1(SALU_CYCLE_1)
	v_cndmask_b32_e64 v3, v3, 0, s7
	s_delay_alu instid0(VALU_DEP_1)
	v_or_b32_e32 v118, v3, v0
.LBB4_3061:                             ;   in Loop: Header=BB4_2911 Depth=2
	s_or_b32 exec_lo, exec_lo, s26
                                        ; implicit-def: $vgpr0
.LBB4_3062:                             ;   in Loop: Header=BB4_2911 Depth=2
	s_and_not1_saveexec_b32 s7, s25
; %bb.3063:                             ;   in Loop: Header=BB4_2911 Depth=2
	v_or_b32_e32 v118, 0x7b, v0
; %bb.3064:                             ;   in Loop: Header=BB4_2911 Depth=2
	s_or_b32 exec_lo, exec_lo, s7
                                        ; implicit-def: $vgpr3
                                        ; implicit-def: $vgpr0
.LBB4_3065:                             ;   in Loop: Header=BB4_2911 Depth=2
	s_and_not1_saveexec_b32 s7, s24
	s_cbranch_execz .LBB4_3071
; %bb.3066:                             ;   in Loop: Header=BB4_2911 Depth=2
	s_mov_b32 s24, exec_lo
                                        ; implicit-def: $vgpr118
	v_cmpx_ne_u64_e32 0, v[54:55]
	s_xor_b32 s24, exec_lo, s24
; %bb.3067:                             ;   in Loop: Header=BB4_2911 Depth=2
	v_or_b32_e32 v118, 0x7f, v0
                                        ; implicit-def: $vgpr3
; %bb.3068:                             ;   in Loop: Header=BB4_2911 Depth=2
	s_and_not1_saveexec_b32 s24, s24
; %bb.3069:                             ;   in Loop: Header=BB4_2911 Depth=2
	v_cmp_lt_i32_e32 vcc_lo, -1, v3
	v_cndmask_b32_e32 v118, 0xfc, v110, vcc_lo
; %bb.3070:                             ;   in Loop: Header=BB4_2911 Depth=2
	s_or_b32 exec_lo, exec_lo, s24
.LBB4_3071:                             ;   in Loop: Header=BB4_2911 Depth=2
	s_delay_alu instid0(SALU_CYCLE_1) | instskip(SKIP_4) | instid1(VALU_DEP_3)
	s_or_b32 exec_lo, exec_lo, s7
	v_and_b32_e32 v30, 0xff, v23
	v_dual_mov_b32 v54, v23 :: v_dual_mov_b32 v3, 0
	v_mov_b32_e32 v0, 0
	s_mov_b32 s7, exec_lo
	v_cmpx_ne_u16_e32 0, v30
	s_cbranch_execz .LBB4_3081
; %bb.3072:                             ;   in Loop: Header=BB4_2911 Depth=2
	v_bfrev_b32_e32 v0, 1
	s_mov_b32 s24, exec_lo
	v_cmpx_ne_u16_e32 0x80, v30
	s_cbranch_execz .LBB4_3080
; %bb.3073:                             ;   in Loop: Header=BB4_2911 Depth=2
	v_and_b32_e32 v0, 0x7c, v23
	v_and_b32_e32 v30, 3, v23
	s_delay_alu instid0(VALU_DEP_2) | instskip(SKIP_1) | instid1(SALU_CYCLE_1)
	v_cmp_ne_u32_e32 vcc_lo, 0x7c, v0
                                        ; implicit-def: $vgpr0
	s_and_saveexec_b32 s25, vcc_lo
	s_xor_b32 s25, exec_lo, s25
	s_cbranch_execz .LBB4_3077
; %bb.3074:                             ;   in Loop: Header=BB4_2911 Depth=2
	v_bfe_u32 v0, v23, 2, 5
	s_mov_b32 s26, exec_lo
	s_delay_alu instid0(VALU_DEP_1)
	v_cmpx_eq_u32_e32 0, v0
; %bb.3075:                             ;   in Loop: Header=BB4_2911 Depth=2
	v_clz_i32_u32_e32 v0, v30
	s_delay_alu instid0(VALU_DEP_1) | instskip(NEXT) | instid1(VALU_DEP_1)
	v_min_u32_e32 v0, 32, v0
	v_subrev_nc_u32_e32 v30, 29, v0
	s_delay_alu instid0(VALU_DEP_1) | instskip(NEXT) | instid1(VALU_DEP_1)
	v_lshlrev_b64_e32 v[102:103], v30, v[54:55]
	v_dual_sub_nc_u32 v0, 30, v0 :: v_dual_bitop2_b32 v30, 3, v102 bitop3:0x40
; %bb.3076:                             ;   in Loop: Header=BB4_2911 Depth=2
	s_or_b32 exec_lo, exec_lo, s26
	v_lshlrev_b32_e32 v102, 24, v23
	s_delay_alu instid0(VALU_DEP_1) | instskip(NEXT) | instid1(VALU_DEP_1)
	v_and_b32_e32 v102, 0x80000000, v102
	v_lshl_add_u32 v0, v0, 23, v102
	s_delay_alu instid0(VALU_DEP_1) | instskip(NEXT) | instid1(VALU_DEP_1)
	v_lshl_or_b32 v0, v30, 21, v0
                                        ; implicit-def: $vgpr30
	v_add_nc_u32_e32 v0, 0x38000000, v0
.LBB4_3077:                             ;   in Loop: Header=BB4_2911 Depth=2
	s_and_not1_saveexec_b32 s25, s25
; %bb.3078:                             ;   in Loop: Header=BB4_2911 Depth=2
	v_bfe_i32 v0, v23, 0, 8
	s_delay_alu instid0(VALU_DEP_1) | instskip(SKIP_2) | instid1(VALU_DEP_2)
	v_cmp_lt_i16_e32 vcc_lo, -1, v0
	v_cndmask_b32_e32 v0, 0xff800000, v109, vcc_lo
	v_cmp_eq_u32_e32 vcc_lo, 0, v30
	v_cndmask_b32_e32 v0, 0x7f800001, v0, vcc_lo
; %bb.3079:                             ;   in Loop: Header=BB4_2911 Depth=2
	s_or_b32 exec_lo, exec_lo, s25
.LBB4_3080:                             ;   in Loop: Header=BB4_2911 Depth=2
	s_delay_alu instid0(SALU_CYCLE_1)
	s_or_b32 exec_lo, exec_lo, s24
.LBB4_3081:                             ;   in Loop: Header=BB4_2911 Depth=2
	s_delay_alu instid0(SALU_CYCLE_1) | instskip(SKIP_2) | instid1(VALU_DEP_1)
	s_or_b32 exec_lo, exec_lo, s7
	v_and_b32_e32 v30, 0xff, v19
	s_mov_b32 s7, exec_lo
	v_cmpx_ne_u16_e32 0, v30
	s_cbranch_execz .LBB4_3091
; %bb.3082:                             ;   in Loop: Header=BB4_2911 Depth=2
	v_bfrev_b32_e32 v3, 1
	s_mov_b32 s24, exec_lo
	v_cmpx_ne_u16_e32 0x80, v30
	s_cbranch_execz .LBB4_3090
; %bb.3083:                             ;   in Loop: Header=BB4_2911 Depth=2
	v_and_b32_e32 v3, 0x7c, v19
	v_and_b32_e32 v30, 3, v19
	s_delay_alu instid0(VALU_DEP_2) | instskip(SKIP_1) | instid1(SALU_CYCLE_1)
	v_cmp_ne_u32_e32 vcc_lo, 0x7c, v3
                                        ; implicit-def: $vgpr3
	s_and_saveexec_b32 s25, vcc_lo
	s_xor_b32 s25, exec_lo, s25
	s_cbranch_execz .LBB4_3087
; %bb.3084:                             ;   in Loop: Header=BB4_2911 Depth=2
	v_bfe_u32 v3, v19, 2, 5
	s_mov_b32 s26, exec_lo
	s_delay_alu instid0(VALU_DEP_1)
	v_cmpx_eq_u32_e32 0, v3
; %bb.3085:                             ;   in Loop: Header=BB4_2911 Depth=2
	v_clz_i32_u32_e32 v3, v30
	v_dual_mov_b32 v102, v19 :: v_dual_mov_b32 v103, v55
	s_delay_alu instid0(VALU_DEP_2) | instskip(NEXT) | instid1(VALU_DEP_1)
	v_min_u32_e32 v3, 32, v3
	v_subrev_nc_u32_e32 v30, 29, v3
	s_delay_alu instid0(VALU_DEP_1) | instskip(NEXT) | instid1(VALU_DEP_1)
	v_lshlrev_b64_e32 v[102:103], v30, v[102:103]
	v_dual_sub_nc_u32 v3, 30, v3 :: v_dual_bitop2_b32 v30, 3, v102 bitop3:0x40
; %bb.3086:                             ;   in Loop: Header=BB4_2911 Depth=2
	s_or_b32 exec_lo, exec_lo, s26
	v_lshlrev_b32_e32 v102, 24, v19
	s_delay_alu instid0(VALU_DEP_1) | instskip(NEXT) | instid1(VALU_DEP_1)
	v_and_b32_e32 v102, 0x80000000, v102
	v_lshl_add_u32 v3, v3, 23, v102
	s_delay_alu instid0(VALU_DEP_1) | instskip(NEXT) | instid1(VALU_DEP_1)
	v_lshl_or_b32 v3, v30, 21, v3
                                        ; implicit-def: $vgpr30
	v_add_nc_u32_e32 v3, 0x38000000, v3
.LBB4_3087:                             ;   in Loop: Header=BB4_2911 Depth=2
	s_and_not1_saveexec_b32 s25, s25
; %bb.3088:                             ;   in Loop: Header=BB4_2911 Depth=2
	v_bfe_i32 v3, v19, 0, 8
	s_delay_alu instid0(VALU_DEP_1) | instskip(SKIP_2) | instid1(VALU_DEP_2)
	v_cmp_lt_i16_e32 vcc_lo, -1, v3
	v_cndmask_b32_e32 v3, 0xff800000, v109, vcc_lo
	v_cmp_eq_u32_e32 vcc_lo, 0, v30
	v_cndmask_b32_e32 v3, 0x7f800001, v3, vcc_lo
; %bb.3089:                             ;   in Loop: Header=BB4_2911 Depth=2
	s_or_b32 exec_lo, exec_lo, s25
.LBB4_3090:                             ;   in Loop: Header=BB4_2911 Depth=2
	s_delay_alu instid0(SALU_CYCLE_1)
	s_or_b32 exec_lo, exec_lo, s24
.LBB4_3091:                             ;   in Loop: Header=BB4_2911 Depth=2
	s_delay_alu instid0(SALU_CYCLE_1) | instskip(NEXT) | instid1(VALU_DEP_1)
	s_or_b32 exec_lo, exec_lo, s7
	v_dual_mul_f32 v3, v0, v3 :: v_dual_mov_b32 v113, v55
	v_mov_b32_e32 v103, v55
                                        ; implicit-def: $vgpr119
	s_mov_b32 s7, exec_lo
	s_delay_alu instid0(VALU_DEP_2) | instskip(SKIP_2) | instid1(VALU_DEP_3)
	v_and_b32_e32 v112, 0x7f800000, v3
	v_and_b32_e32 v102, 0x7fffff, v3
	v_lshrrev_b32_e32 v0, 24, v3
	v_cmpx_ne_u64_e32 0x7f800000, v[112:113]
	s_xor_b32 s24, exec_lo, s7
	s_cbranch_execz .LBB4_3105
; %bb.3092:                             ;   in Loop: Header=BB4_2911 Depth=2
	v_and_b32_e32 v112, 0x7fffffff, v3
	v_mov_b32_e32 v113, v55
	v_and_b32_e32 v0, 0x80, v0
                                        ; implicit-def: $vgpr119
	s_mov_b32 s7, exec_lo
	s_delay_alu instid0(VALU_DEP_2)
	v_cmpx_gt_u64_e32 0x47600001, v[112:113]
	s_xor_b32 s25, exec_lo, s7
	s_cbranch_execz .LBB4_3102
; %bb.3093:                             ;   in Loop: Header=BB4_2911 Depth=2
	v_mov_b32_e32 v119, 0
	s_mov_b32 s26, exec_lo
	v_cmpx_ne_u32_e32 0, v3
	s_cbranch_execz .LBB4_3101
; %bb.3094:                             ;   in Loop: Header=BB4_2911 Depth=2
	v_bfe_u32 v3, v3, 23, 8
	v_or_b32_e32 v119, 0x800000, v102
	s_delay_alu instid0(VALU_DEP_2) | instskip(SKIP_1) | instid1(VALU_DEP_2)
	v_sub_nc_u32_e32 v30, 0x71, v3
	v_cmp_gt_u32_e32 vcc_lo, 0x72, v3
	v_cndmask_b32_e32 v30, 0, v30, vcc_lo
	v_cmp_eq_u32_e32 vcc_lo, 0, v3
	s_delay_alu instid0(VALU_DEP_2) | instskip(SKIP_1) | instid1(VALU_DEP_2)
	v_cndmask_b32_e64 v30, v30, 0x70, vcc_lo
	v_cndmask_b32_e32 v102, v119, v102, vcc_lo
	v_dual_add_nc_u32 v112, 21, v30 :: v_dual_add_nc_u32 v40, 20, v30
	s_delay_alu instid0(VALU_DEP_1) | instskip(NEXT) | instid1(VALU_DEP_2)
	v_lshlrev_b64_e64 v[112:113], v112, -1
	v_lshlrev_b64_e64 v[40:41], v40, 1
	s_delay_alu instid0(VALU_DEP_2) | instskip(SKIP_1) | instid1(VALU_DEP_4)
	v_bfi_b32 v112, v112, 0, v102
	v_lshrrev_b64 v[102:103], v30, v[102:103]
	v_bfi_b32 v113, v113, 0, 0
	s_delay_alu instid0(VALU_DEP_1) | instskip(NEXT) | instid1(VALU_DEP_3)
	v_cmp_eq_u64_e64 s7, v[112:113], v[40:41]
	v_mov_b64_e32 v[112:113], v[102:103]
	s_and_saveexec_b32 s27, s7
; %bb.3095:                             ;   in Loop: Header=BB4_2911 Depth=2
	v_bfe_u32 v112, v102, 21, 1
	v_mov_b32_e32 v113, v55
	s_delay_alu instid0(VALU_DEP_1) | instskip(NEXT) | instid1(VALU_DEP_1)
	v_add_nc_u64_e32 v[112:113], v[102:103], v[112:113]
	v_add_nc_u64_e32 v[112:113], -1, v[112:113]
; %bb.3096:                             ;   in Loop: Header=BB4_2911 Depth=2
	s_or_b32 exec_lo, exec_lo, s27
	v_add_nc_u32_e32 v3, 0xffffff81, v3
	v_lshrrev_b32_e32 v103, 23, v102
	s_mov_b32 s7, exec_lo
	s_delay_alu instid0(VALU_DEP_2) | instskip(NEXT) | instid1(VALU_DEP_1)
	v_cndmask_b32_e64 v3, v3, 0xffffff82, vcc_lo
	v_add3_u32 v30, v30, v3, v103
	v_and_b32_e32 v3, 0x1fffff, v112
	s_delay_alu instid0(VALU_DEP_2) | instskip(NEXT) | instid1(VALU_DEP_2)
	v_dual_mov_b32 v103, v55 :: v_dual_add_nc_u32 v112, 14, v30
	v_add_nc_u32_e32 v102, v3, v102
                                        ; implicit-def: $vgpr3
	s_delay_alu instid0(VALU_DEP_2)
	v_cmpx_ne_u32_e32 0, v112
	s_xor_b32 s7, exec_lo, s7
; %bb.3097:                             ;   in Loop: Header=BB4_2911 Depth=2
	s_delay_alu instid0(VALU_DEP_2) | instskip(SKIP_2) | instid1(VALU_DEP_2)
	v_cmp_lt_u64_e32 vcc_lo, 0xffffff, v[102:103]
	v_add_nc_u32_e32 v3, 15, v30
	v_cndmask_b32_e64 v30, 0, 1, vcc_lo
	v_cndmask_b32_e32 v3, v112, v3, vcc_lo
	s_delay_alu instid0(VALU_DEP_2)
	v_lshrrev_b64 v[102:103], v30, v[102:103]
; %bb.3098:                             ;   in Loop: Header=BB4_2911 Depth=2
	s_and_not1_saveexec_b32 s7, s7
; %bb.3099:                             ;   in Loop: Header=BB4_2911 Depth=2
	s_delay_alu instid0(VALU_DEP_1)
	v_bfe_u32 v3, v102, 23, 1
; %bb.3100:                             ;   in Loop: Header=BB4_2911 Depth=2
	s_or_b32 exec_lo, exec_lo, s7
	s_delay_alu instid0(VALU_DEP_2) | instskip(NEXT) | instid1(VALU_DEP_2)
	v_lshrrev_b64 v[102:103], 21, v[102:103]
	v_cmp_gt_i32_e32 vcc_lo, 32, v3
	v_min_i32_e32 v30, 31, v3
	v_cmp_eq_u32_e64 s7, 0, v3
	s_delay_alu instid0(VALU_DEP_4) | instskip(NEXT) | instid1(VALU_DEP_3)
	v_cndmask_b32_e32 v102, 3, v102, vcc_lo
	v_dual_cndmask_b32 v103, 0, v103 :: v_dual_lshlrev_b32 v30, 2, v30
	s_delay_alu instid0(VALU_DEP_1) | instskip(NEXT) | instid1(VALU_DEP_2)
	v_and_b32_e32 v30, 0xfc, v30
	v_cmp_eq_u64_e32 vcc_lo, 0, v[102:103]
	s_delay_alu instid0(VALU_DEP_2)
	v_and_or_b32 v3, v102, 3, v30
	s_and_b32 s7, s7, vcc_lo
	s_delay_alu instid0(VALU_DEP_1) | instid1(SALU_CYCLE_1)
	v_cndmask_b32_e64 v3, v3, 0, s7
	s_delay_alu instid0(VALU_DEP_1)
	v_or_b32_e32 v119, v3, v0
.LBB4_3101:                             ;   in Loop: Header=BB4_2911 Depth=2
	s_or_b32 exec_lo, exec_lo, s26
                                        ; implicit-def: $vgpr0
.LBB4_3102:                             ;   in Loop: Header=BB4_2911 Depth=2
	s_and_not1_saveexec_b32 s7, s25
; %bb.3103:                             ;   in Loop: Header=BB4_2911 Depth=2
	v_or_b32_e32 v119, 0x7b, v0
; %bb.3104:                             ;   in Loop: Header=BB4_2911 Depth=2
	s_or_b32 exec_lo, exec_lo, s7
                                        ; implicit-def: $vgpr3
                                        ; implicit-def: $vgpr102_vgpr103
                                        ; implicit-def: $vgpr0
.LBB4_3105:                             ;   in Loop: Header=BB4_2911 Depth=2
	s_and_not1_saveexec_b32 s7, s24
	s_cbranch_execz .LBB4_3111
; %bb.3106:                             ;   in Loop: Header=BB4_2911 Depth=2
	s_mov_b32 s24, exec_lo
                                        ; implicit-def: $vgpr119
	v_cmpx_ne_u64_e32 0, v[102:103]
	s_xor_b32 s24, exec_lo, s24
; %bb.3107:                             ;   in Loop: Header=BB4_2911 Depth=2
	v_or_b32_e32 v119, 0x7f, v0
                                        ; implicit-def: $vgpr3
; %bb.3108:                             ;   in Loop: Header=BB4_2911 Depth=2
	s_and_not1_saveexec_b32 s24, s24
; %bb.3109:                             ;   in Loop: Header=BB4_2911 Depth=2
	v_cmp_lt_i32_e32 vcc_lo, -1, v3
	v_cndmask_b32_e32 v119, 0xfc, v110, vcc_lo
; %bb.3110:                             ;   in Loop: Header=BB4_2911 Depth=2
	s_or_b32 exec_lo, exec_lo, s24
.LBB4_3111:                             ;   in Loop: Header=BB4_2911 Depth=2
	s_delay_alu instid0(SALU_CYCLE_1) | instskip(SKIP_3) | instid1(VALU_DEP_2)
	s_or_b32 exec_lo, exec_lo, s7
	v_lshrrev_b16 v102, 8, v54
	v_dual_mov_b32 v0, 0 :: v_dual_mov_b32 v3, 0
	s_mov_b32 s7, exec_lo
	v_cmpx_ne_u16_e32 0, v102
	s_cbranch_execz .LBB4_3121
; %bb.3112:                             ;   in Loop: Header=BB4_2911 Depth=2
	v_bfrev_b32_e32 v3, 1
	s_mov_b32 s24, exec_lo
	v_cmpx_ne_u16_e32 0x80, v102
	s_cbranch_execz .LBB4_3120
; %bb.3113:                             ;   in Loop: Header=BB4_2911 Depth=2
	v_and_b32_e32 v103, 0xffff, v102
	s_delay_alu instid0(VALU_DEP_1) | instskip(SKIP_1) | instid1(VALU_DEP_2)
	v_and_b32_e32 v3, 0x7c, v103
	v_and_b32_e32 v30, 3, v103
	v_cmp_ne_u32_e32 vcc_lo, 0x7c, v3
                                        ; implicit-def: $vgpr3
	s_and_saveexec_b32 s25, vcc_lo
	s_delay_alu instid0(SALU_CYCLE_1)
	s_xor_b32 s25, exec_lo, s25
	s_cbranch_execz .LBB4_3117
; %bb.3114:                             ;   in Loop: Header=BB4_2911 Depth=2
	v_bfe_u32 v3, v103, 2, 5
	s_mov_b32 s26, exec_lo
	s_delay_alu instid0(VALU_DEP_1)
	v_cmpx_eq_u32_e32 0, v3
	s_cbranch_execz .LBB4_3116
; %bb.3115:                             ;   in Loop: Header=BB4_2911 Depth=2
	v_clz_i32_u32_e32 v3, v30
	s_delay_alu instid0(VALU_DEP_1) | instskip(SKIP_1) | instid1(VALU_DEP_2)
	v_min_u32_e32 v3, 32, v3
	v_mov_b32_e32 v103, v55
	v_subrev_nc_u32_e32 v30, 29, v3
	v_sub_nc_u32_e32 v3, 30, v3
	s_delay_alu instid0(VALU_DEP_2) | instskip(NEXT) | instid1(VALU_DEP_1)
	v_lshlrev_b64_e32 v[102:103], v30, v[102:103]
	v_and_b32_e32 v30, 3, v102
.LBB4_3116:                             ;   in Loop: Header=BB4_2911 Depth=2
	s_or_b32 exec_lo, exec_lo, s26
	v_lshlrev_b32_e32 v54, 16, v54
	s_delay_alu instid0(VALU_DEP_1) | instskip(NEXT) | instid1(VALU_DEP_1)
	v_and_b32_e32 v54, 0x80000000, v54
	v_lshl_add_u32 v3, v3, 23, v54
	s_delay_alu instid0(VALU_DEP_1) | instskip(NEXT) | instid1(VALU_DEP_1)
	v_lshl_or_b32 v3, v30, 21, v3
                                        ; implicit-def: $vgpr30
	v_add_nc_u32_e32 v3, 0x38000000, v3
.LBB4_3117:                             ;   in Loop: Header=BB4_2911 Depth=2
	s_and_not1_saveexec_b32 s25, s25
; %bb.3118:                             ;   in Loop: Header=BB4_2911 Depth=2
	v_cmp_lt_i16_e32 vcc_lo, -1, v54
	v_cndmask_b32_e32 v3, 0xff800000, v109, vcc_lo
	v_cmp_eq_u32_e32 vcc_lo, 0, v30
	s_delay_alu instid0(VALU_DEP_2)
	v_cndmask_b32_e32 v3, 0x7f800001, v3, vcc_lo
; %bb.3119:                             ;   in Loop: Header=BB4_2911 Depth=2
	s_or_b32 exec_lo, exec_lo, s25
.LBB4_3120:                             ;   in Loop: Header=BB4_2911 Depth=2
	s_delay_alu instid0(SALU_CYCLE_1)
	s_or_b32 exec_lo, exec_lo, s24
.LBB4_3121:                             ;   in Loop: Header=BB4_2911 Depth=2
	s_delay_alu instid0(SALU_CYCLE_1) | instskip(SKIP_2) | instid1(VALU_DEP_1)
	s_or_b32 exec_lo, exec_lo, s7
	v_lshrrev_b16 v54, 8, v19
	s_mov_b32 s7, exec_lo
	v_cmpx_ne_u16_e32 0, v54
	s_cbranch_execz .LBB4_3131
; %bb.3122:                             ;   in Loop: Header=BB4_2911 Depth=2
	v_bfrev_b32_e32 v0, 1
	s_mov_b32 s24, exec_lo
	v_cmpx_ne_u16_e32 0x80, v54
	s_cbranch_execz .LBB4_3130
; %bb.3123:                             ;   in Loop: Header=BB4_2911 Depth=2
	v_and_b32_e32 v102, 0xffff, v54
	s_delay_alu instid0(VALU_DEP_1) | instskip(SKIP_1) | instid1(VALU_DEP_2)
	v_and_b32_e32 v0, 0x7c, v102
	v_and_b32_e32 v30, 3, v102
	v_cmp_ne_u32_e32 vcc_lo, 0x7c, v0
                                        ; implicit-def: $vgpr0
	s_and_saveexec_b32 s25, vcc_lo
	s_delay_alu instid0(SALU_CYCLE_1)
	s_xor_b32 s25, exec_lo, s25
	s_cbranch_execz .LBB4_3127
; %bb.3124:                             ;   in Loop: Header=BB4_2911 Depth=2
	v_bfe_u32 v0, v102, 2, 5
	s_mov_b32 s26, exec_lo
	s_delay_alu instid0(VALU_DEP_1)
	v_cmpx_eq_u32_e32 0, v0
; %bb.3125:                             ;   in Loop: Header=BB4_2911 Depth=2
	v_clz_i32_u32_e32 v0, v30
	s_delay_alu instid0(VALU_DEP_1) | instskip(NEXT) | instid1(VALU_DEP_1)
	v_min_u32_e32 v0, 32, v0
	v_subrev_nc_u32_e32 v30, 29, v0
	s_delay_alu instid0(VALU_DEP_1) | instskip(NEXT) | instid1(VALU_DEP_1)
	v_lshlrev_b64_e32 v[102:103], v30, v[54:55]
	v_dual_sub_nc_u32 v0, 30, v0 :: v_dual_bitop2_b32 v30, 3, v102 bitop3:0x40
; %bb.3126:                             ;   in Loop: Header=BB4_2911 Depth=2
	s_or_b32 exec_lo, exec_lo, s26
	v_lshlrev_b32_e32 v54, 16, v19
	s_delay_alu instid0(VALU_DEP_1) | instskip(NEXT) | instid1(VALU_DEP_1)
	v_and_b32_e32 v54, 0x80000000, v54
	v_lshl_add_u32 v0, v0, 23, v54
	s_delay_alu instid0(VALU_DEP_1) | instskip(NEXT) | instid1(VALU_DEP_1)
	v_lshl_or_b32 v0, v30, 21, v0
                                        ; implicit-def: $vgpr30
	v_add_nc_u32_e32 v0, 0x38000000, v0
.LBB4_3127:                             ;   in Loop: Header=BB4_2911 Depth=2
	s_and_not1_saveexec_b32 s25, s25
; %bb.3128:                             ;   in Loop: Header=BB4_2911 Depth=2
	v_cmp_lt_i16_e32 vcc_lo, -1, v19
	v_cndmask_b32_e32 v0, 0xff800000, v109, vcc_lo
	v_cmp_eq_u32_e32 vcc_lo, 0, v30
	s_delay_alu instid0(VALU_DEP_2)
	v_cndmask_b32_e32 v0, 0x7f800001, v0, vcc_lo
; %bb.3129:                             ;   in Loop: Header=BB4_2911 Depth=2
	s_or_b32 exec_lo, exec_lo, s25
.LBB4_3130:                             ;   in Loop: Header=BB4_2911 Depth=2
	s_delay_alu instid0(SALU_CYCLE_1)
	s_or_b32 exec_lo, exec_lo, s24
.LBB4_3131:                             ;   in Loop: Header=BB4_2911 Depth=2
	s_delay_alu instid0(SALU_CYCLE_1) | instskip(NEXT) | instid1(VALU_DEP_1)
	s_or_b32 exec_lo, exec_lo, s7
	v_mul_f32_e32 v3, v3, v0
	v_mov_b32_e32 v103, v55
                                        ; implicit-def: $vgpr40
	s_mov_b32 s7, exec_lo
	s_delay_alu instid0(VALU_DEP_2) | instskip(SKIP_2) | instid1(VALU_DEP_3)
	v_and_b32_e32 v102, 0x7f800000, v3
	v_and_b32_e32 v54, 0x7fffff, v3
	v_lshrrev_b32_e32 v0, 24, v3
	v_cmpx_ne_u64_e32 0x7f800000, v[102:103]
	s_xor_b32 s24, exec_lo, s7
	s_cbranch_execz .LBB4_3145
; %bb.3132:                             ;   in Loop: Header=BB4_2911 Depth=2
	v_and_b32_e32 v102, 0x7fffffff, v3
	v_mov_b32_e32 v103, v55
	v_and_b32_e32 v0, 0x80, v0
                                        ; implicit-def: $vgpr40
	s_mov_b32 s7, exec_lo
	s_delay_alu instid0(VALU_DEP_2)
	v_cmpx_gt_u64_e32 0x47600001, v[102:103]
	s_xor_b32 s25, exec_lo, s7
	s_cbranch_execz .LBB4_3142
; %bb.3133:                             ;   in Loop: Header=BB4_2911 Depth=2
	v_mov_b32_e32 v40, 0
	s_mov_b32 s26, exec_lo
	v_cmpx_ne_u32_e32 0, v3
	s_cbranch_execz .LBB4_3141
; %bb.3134:                             ;   in Loop: Header=BB4_2911 Depth=2
	v_bfe_u32 v3, v3, 23, 8
	v_or_b32_e32 v112, 0x800000, v54
	s_delay_alu instid0(VALU_DEP_2) | instskip(SKIP_1) | instid1(VALU_DEP_2)
	v_sub_nc_u32_e32 v30, 0x71, v3
	v_cmp_gt_u32_e32 vcc_lo, 0x72, v3
	v_cndmask_b32_e32 v30, 0, v30, vcc_lo
	v_cmp_eq_u32_e32 vcc_lo, 0, v3
	s_delay_alu instid0(VALU_DEP_2) | instskip(SKIP_1) | instid1(VALU_DEP_2)
	v_cndmask_b32_e64 v30, v30, 0x70, vcc_lo
	v_cndmask_b32_e32 v54, v112, v54, vcc_lo
	v_dual_add_nc_u32 v102, 21, v30 :: v_dual_add_nc_u32 v113, 20, v30
	s_delay_alu instid0(VALU_DEP_1) | instskip(NEXT) | instid1(VALU_DEP_2)
	v_lshlrev_b64_e64 v[102:103], v102, -1
	v_lshlrev_b64_e64 v[112:113], v113, 1
	s_delay_alu instid0(VALU_DEP_2) | instskip(NEXT) | instid1(VALU_DEP_3)
	v_bfi_b32 v41, v103, 0, 0
	v_bfi_b32 v40, v102, 0, v54
	v_lshrrev_b64 v[102:103], v30, v[54:55]
	s_delay_alu instid0(VALU_DEP_2) | instskip(NEXT) | instid1(VALU_DEP_2)
	v_cmp_eq_u64_e64 s7, v[40:41], v[112:113]
	v_mov_b64_e32 v[112:113], v[102:103]
	s_and_saveexec_b32 s27, s7
; %bb.3135:                             ;   in Loop: Header=BB4_2911 Depth=2
	v_bfe_u32 v54, v102, 21, 1
	s_delay_alu instid0(VALU_DEP_1) | instskip(NEXT) | instid1(VALU_DEP_1)
	v_add_nc_u64_e32 v[112:113], v[102:103], v[54:55]
	v_add_nc_u64_e32 v[112:113], -1, v[112:113]
; %bb.3136:                             ;   in Loop: Header=BB4_2911 Depth=2
	s_or_b32 exec_lo, exec_lo, s27
	v_add_nc_u32_e32 v3, 0xffffff81, v3
	v_lshrrev_b32_e32 v54, 23, v102
	s_mov_b32 s7, exec_lo
	s_delay_alu instid0(VALU_DEP_2) | instskip(NEXT) | instid1(VALU_DEP_1)
	v_cndmask_b32_e64 v3, v3, 0xffffff82, vcc_lo
	v_add3_u32 v30, v30, v3, v54
	v_and_b32_e32 v3, 0x1fffff, v112
	s_delay_alu instid0(VALU_DEP_2) | instskip(NEXT) | instid1(VALU_DEP_2)
	v_add_nc_u32_e32 v112, 14, v30
	v_add_nc_u32_e32 v54, v3, v102
                                        ; implicit-def: $vgpr102_vgpr103
                                        ; implicit-def: $vgpr3
	s_delay_alu instid0(VALU_DEP_2)
	v_cmpx_ne_u32_e32 0, v112
	s_xor_b32 s7, exec_lo, s7
; %bb.3137:                             ;   in Loop: Header=BB4_2911 Depth=2
	s_delay_alu instid0(VALU_DEP_2) | instskip(SKIP_2) | instid1(VALU_DEP_2)
	v_cmp_lt_u64_e32 vcc_lo, 0xffffff, v[54:55]
	v_add_nc_u32_e32 v3, 15, v30
	v_cndmask_b32_e64 v30, 0, 1, vcc_lo
	v_cndmask_b32_e32 v3, v112, v3, vcc_lo
	s_delay_alu instid0(VALU_DEP_2)
	v_lshrrev_b64 v[102:103], v30, v[54:55]
; %bb.3138:                             ;   in Loop: Header=BB4_2911 Depth=2
	s_and_not1_saveexec_b32 s7, s7
; %bb.3139:                             ;   in Loop: Header=BB4_2911 Depth=2
	v_mov_b64_e32 v[102:103], v[54:55]
	v_bfe_u32 v3, v54, 23, 1
; %bb.3140:                             ;   in Loop: Header=BB4_2911 Depth=2
	s_or_b32 exec_lo, exec_lo, s7
	s_delay_alu instid0(VALU_DEP_2) | instskip(NEXT) | instid1(VALU_DEP_2)
	v_lshrrev_b64 v[102:103], 21, v[102:103]
	v_cmp_gt_i32_e32 vcc_lo, 32, v3
	v_min_i32_e32 v30, 31, v3
	v_cmp_eq_u32_e64 s7, 0, v3
	s_delay_alu instid0(VALU_DEP_4) | instskip(NEXT) | instid1(VALU_DEP_3)
	v_cndmask_b32_e32 v102, 3, v102, vcc_lo
	v_dual_cndmask_b32 v103, 0, v103 :: v_dual_lshlrev_b32 v30, 2, v30
	s_delay_alu instid0(VALU_DEP_1) | instskip(NEXT) | instid1(VALU_DEP_2)
	v_and_b32_e32 v30, 0xfc, v30
	v_cmp_eq_u64_e32 vcc_lo, 0, v[102:103]
	s_delay_alu instid0(VALU_DEP_2)
	v_and_or_b32 v3, v102, 3, v30
	s_and_b32 s7, s7, vcc_lo
	s_delay_alu instid0(VALU_DEP_1) | instid1(SALU_CYCLE_1)
	v_cndmask_b32_e64 v3, v3, 0, s7
	s_delay_alu instid0(VALU_DEP_1)
	v_or_b32_e32 v40, v3, v0
.LBB4_3141:                             ;   in Loop: Header=BB4_2911 Depth=2
	s_or_b32 exec_lo, exec_lo, s26
                                        ; implicit-def: $vgpr0
.LBB4_3142:                             ;   in Loop: Header=BB4_2911 Depth=2
	s_and_not1_saveexec_b32 s7, s25
; %bb.3143:                             ;   in Loop: Header=BB4_2911 Depth=2
	v_or_b32_e32 v40, 0x7b, v0
; %bb.3144:                             ;   in Loop: Header=BB4_2911 Depth=2
	s_or_b32 exec_lo, exec_lo, s7
                                        ; implicit-def: $vgpr3
                                        ; implicit-def: $vgpr0
.LBB4_3145:                             ;   in Loop: Header=BB4_2911 Depth=2
	s_and_not1_saveexec_b32 s7, s24
	s_cbranch_execz .LBB4_3151
; %bb.3146:                             ;   in Loop: Header=BB4_2911 Depth=2
	s_mov_b32 s24, exec_lo
                                        ; implicit-def: $vgpr40
	v_cmpx_ne_u64_e32 0, v[54:55]
	s_xor_b32 s24, exec_lo, s24
; %bb.3147:                             ;   in Loop: Header=BB4_2911 Depth=2
	v_or_b32_e32 v40, 0x7f, v0
                                        ; implicit-def: $vgpr3
; %bb.3148:                             ;   in Loop: Header=BB4_2911 Depth=2
	s_and_not1_saveexec_b32 s24, s24
; %bb.3149:                             ;   in Loop: Header=BB4_2911 Depth=2
	v_cmp_lt_i32_e32 vcc_lo, -1, v3
	v_cndmask_b32_e32 v40, 0xfc, v110, vcc_lo
; %bb.3150:                             ;   in Loop: Header=BB4_2911 Depth=2
	s_or_b32 exec_lo, exec_lo, s24
.LBB4_3151:                             ;   in Loop: Header=BB4_2911 Depth=2
	s_delay_alu instid0(SALU_CYCLE_1) | instskip(SKIP_3) | instid1(VALU_DEP_2)
	s_or_b32 exec_lo, exec_lo, s7
	v_dual_lshrrev_b32 v30, 16, v23 :: v_dual_mov_b32 v0, 0
	v_mov_b32_e32 v3, 0
	s_mov_b32 s7, exec_lo
	v_and_b32_e32 v54, 0xff, v30
	s_delay_alu instid0(VALU_DEP_1)
	v_cmpx_ne_u16_e32 0, v54
	s_cbranch_execz .LBB4_3161
; %bb.3152:                             ;   in Loop: Header=BB4_2911 Depth=2
	v_bfrev_b32_e32 v3, 1
	s_mov_b32 s24, exec_lo
	v_cmpx_ne_u16_e32 0x80, v54
	s_cbranch_execz .LBB4_3160
; %bb.3153:                             ;   in Loop: Header=BB4_2911 Depth=2
	v_and_b32_e32 v3, 0x7c0000, v23
	v_bfe_u32 v54, v23, 16, 2
	s_delay_alu instid0(VALU_DEP_2) | instskip(SKIP_1) | instid1(SALU_CYCLE_1)
	v_cmp_ne_u32_e32 vcc_lo, 0x7c0000, v3
                                        ; implicit-def: $vgpr3
	s_and_saveexec_b32 s25, vcc_lo
	s_xor_b32 s25, exec_lo, s25
	s_cbranch_execz .LBB4_3157
; %bb.3154:                             ;   in Loop: Header=BB4_2911 Depth=2
	v_bfe_u32 v3, v23, 18, 5
	s_mov_b32 s26, exec_lo
	s_delay_alu instid0(VALU_DEP_1)
	v_cmpx_eq_u32_e32 0, v3
; %bb.3155:                             ;   in Loop: Header=BB4_2911 Depth=2
	v_clz_i32_u32_e32 v3, v54
	s_delay_alu instid0(VALU_DEP_1) | instskip(NEXT) | instid1(VALU_DEP_1)
	v_min_u32_e32 v3, 32, v3
	v_subrev_nc_u32_e32 v54, 29, v3
	s_delay_alu instid0(VALU_DEP_1) | instskip(NEXT) | instid1(VALU_DEP_1)
	v_lshlrev_b64_e32 v[102:103], v54, v[30:31]
	v_dual_sub_nc_u32 v3, 30, v3 :: v_dual_bitop2_b32 v54, 3, v102 bitop3:0x40
; %bb.3156:                             ;   in Loop: Header=BB4_2911 Depth=2
	s_or_b32 exec_lo, exec_lo, s26
	v_lshlrev_b32_e32 v30, 24, v30
	s_delay_alu instid0(VALU_DEP_1) | instskip(NEXT) | instid1(VALU_DEP_1)
	v_and_b32_e32 v30, 0x80000000, v30
	v_lshl_add_u32 v3, v3, 23, v30
                                        ; implicit-def: $vgpr30
	s_delay_alu instid0(VALU_DEP_1) | instskip(NEXT) | instid1(VALU_DEP_1)
	v_lshl_or_b32 v3, v54, 21, v3
                                        ; implicit-def: $vgpr54
	v_add_nc_u32_e32 v3, 0x38000000, v3
.LBB4_3157:                             ;   in Loop: Header=BB4_2911 Depth=2
	s_and_not1_saveexec_b32 s25, s25
; %bb.3158:                             ;   in Loop: Header=BB4_2911 Depth=2
	v_bfe_i32 v3, v30, 0, 8
	s_delay_alu instid0(VALU_DEP_1) | instskip(SKIP_2) | instid1(VALU_DEP_2)
	v_cmp_lt_i16_e32 vcc_lo, -1, v3
	v_cndmask_b32_e32 v3, 0xff800000, v109, vcc_lo
	v_cmp_eq_u32_e32 vcc_lo, 0, v54
	v_cndmask_b32_e32 v3, 0x7f800001, v3, vcc_lo
; %bb.3159:                             ;   in Loop: Header=BB4_2911 Depth=2
	s_or_b32 exec_lo, exec_lo, s25
.LBB4_3160:                             ;   in Loop: Header=BB4_2911 Depth=2
	s_delay_alu instid0(SALU_CYCLE_1)
	s_or_b32 exec_lo, exec_lo, s24
.LBB4_3161:                             ;   in Loop: Header=BB4_2911 Depth=2
	s_delay_alu instid0(SALU_CYCLE_1) | instskip(SKIP_2) | instid1(VALU_DEP_1)
	s_or_b32 exec_lo, exec_lo, s7
	v_lshrrev_b32_e32 v30, 16, v19
	s_mov_b32 s7, exec_lo
	v_and_b32_e32 v54, 0xff, v30
	s_delay_alu instid0(VALU_DEP_1)
	v_cmpx_ne_u16_e32 0, v54
	s_cbranch_execz .LBB4_3171
; %bb.3162:                             ;   in Loop: Header=BB4_2911 Depth=2
	v_bfrev_b32_e32 v0, 1
	s_mov_b32 s24, exec_lo
	v_cmpx_ne_u16_e32 0x80, v54
	s_cbranch_execz .LBB4_3170
; %bb.3163:                             ;   in Loop: Header=BB4_2911 Depth=2
	v_and_b32_e32 v0, 0x7c0000, v19
	v_bfe_u32 v54, v19, 16, 2
	s_delay_alu instid0(VALU_DEP_2) | instskip(SKIP_1) | instid1(SALU_CYCLE_1)
	v_cmp_ne_u32_e32 vcc_lo, 0x7c0000, v0
                                        ; implicit-def: $vgpr0
	s_and_saveexec_b32 s25, vcc_lo
	s_xor_b32 s25, exec_lo, s25
	s_cbranch_execz .LBB4_3167
; %bb.3164:                             ;   in Loop: Header=BB4_2911 Depth=2
	v_bfe_u32 v0, v19, 18, 5
	s_mov_b32 s26, exec_lo
	s_delay_alu instid0(VALU_DEP_1)
	v_cmpx_eq_u32_e32 0, v0
; %bb.3165:                             ;   in Loop: Header=BB4_2911 Depth=2
	v_clz_i32_u32_e32 v0, v54
	s_delay_alu instid0(VALU_DEP_1) | instskip(NEXT) | instid1(VALU_DEP_1)
	v_min_u32_e32 v0, 32, v0
	v_subrev_nc_u32_e32 v54, 29, v0
	s_delay_alu instid0(VALU_DEP_1) | instskip(NEXT) | instid1(VALU_DEP_1)
	v_lshlrev_b64_e32 v[102:103], v54, v[30:31]
	v_dual_sub_nc_u32 v0, 30, v0 :: v_dual_bitop2_b32 v54, 3, v102 bitop3:0x40
; %bb.3166:                             ;   in Loop: Header=BB4_2911 Depth=2
	s_or_b32 exec_lo, exec_lo, s26
	v_lshlrev_b32_e32 v30, 24, v30
	s_delay_alu instid0(VALU_DEP_1) | instskip(NEXT) | instid1(VALU_DEP_1)
	v_and_b32_e32 v30, 0x80000000, v30
	v_lshl_add_u32 v0, v0, 23, v30
                                        ; implicit-def: $vgpr30
	s_delay_alu instid0(VALU_DEP_1) | instskip(NEXT) | instid1(VALU_DEP_1)
	v_lshl_or_b32 v0, v54, 21, v0
                                        ; implicit-def: $vgpr54
	v_add_nc_u32_e32 v0, 0x38000000, v0
.LBB4_3167:                             ;   in Loop: Header=BB4_2911 Depth=2
	s_and_not1_saveexec_b32 s25, s25
; %bb.3168:                             ;   in Loop: Header=BB4_2911 Depth=2
	v_bfe_i32 v0, v30, 0, 8
	s_delay_alu instid0(VALU_DEP_1) | instskip(SKIP_2) | instid1(VALU_DEP_2)
	v_cmp_lt_i16_e32 vcc_lo, -1, v0
	v_cndmask_b32_e32 v0, 0xff800000, v109, vcc_lo
	v_cmp_eq_u32_e32 vcc_lo, 0, v54
	v_cndmask_b32_e32 v0, 0x7f800001, v0, vcc_lo
; %bb.3169:                             ;   in Loop: Header=BB4_2911 Depth=2
	s_or_b32 exec_lo, exec_lo, s25
.LBB4_3170:                             ;   in Loop: Header=BB4_2911 Depth=2
	s_delay_alu instid0(SALU_CYCLE_1)
	s_or_b32 exec_lo, exec_lo, s24
.LBB4_3171:                             ;   in Loop: Header=BB4_2911 Depth=2
	s_delay_alu instid0(SALU_CYCLE_1) | instskip(NEXT) | instid1(VALU_DEP_1)
	s_or_b32 exec_lo, exec_lo, s7
	v_mul_f32_e32 v3, v3, v0
	s_delay_alu instid0(VALU_DEP_1) | instskip(SKIP_2) | instid1(VALU_DEP_2)
	v_dual_mov_b32 v103, v55 :: v_dual_lshrrev_b32 v0, 24, v3
	v_and_b32_e32 v102, 0x7f800000, v3
	v_and_b32_e32 v54, 0x7fffff, v3
	v_cmp_ne_u64_e32 vcc_lo, 0x7f800000, v[102:103]
                                        ; implicit-def: $vgpr102
	s_and_saveexec_b32 s7, vcc_lo
	s_delay_alu instid0(SALU_CYCLE_1)
	s_xor_b32 s24, exec_lo, s7
	s_cbranch_execz .LBB4_3185
; %bb.3172:                             ;   in Loop: Header=BB4_2911 Depth=2
	v_and_b32_e32 v102, 0x7fffffff, v3
	v_mov_b32_e32 v103, v55
	v_and_b32_e32 v0, 0x80, v0
	s_delay_alu instid0(VALU_DEP_2) | instskip(SKIP_1) | instid1(SALU_CYCLE_1)
	v_cmp_gt_u64_e32 vcc_lo, 0x47600001, v[102:103]
                                        ; implicit-def: $vgpr102
	s_and_saveexec_b32 s7, vcc_lo
	s_xor_b32 s25, exec_lo, s7
	s_cbranch_execz .LBB4_3182
; %bb.3173:                             ;   in Loop: Header=BB4_2911 Depth=2
	v_mov_b32_e32 v102, 0
	s_mov_b32 s26, exec_lo
	v_cmpx_ne_u32_e32 0, v3
	s_cbranch_execz .LBB4_3181
; %bb.3174:                             ;   in Loop: Header=BB4_2911 Depth=2
	v_bfe_u32 v3, v3, 23, 8
	v_or_b32_e32 v112, 0x800000, v54
	s_delay_alu instid0(VALU_DEP_2) | instskip(SKIP_1) | instid1(VALU_DEP_2)
	v_sub_nc_u32_e32 v30, 0x71, v3
	v_cmp_gt_u32_e32 vcc_lo, 0x72, v3
	v_cndmask_b32_e32 v30, 0, v30, vcc_lo
	v_cmp_eq_u32_e32 vcc_lo, 0, v3
	s_delay_alu instid0(VALU_DEP_2) | instskip(SKIP_1) | instid1(VALU_DEP_2)
	v_cndmask_b32_e64 v30, v30, 0x70, vcc_lo
	v_cndmask_b32_e32 v54, v112, v54, vcc_lo
	v_dual_add_nc_u32 v102, 21, v30 :: v_dual_add_nc_u32 v113, 20, v30
	s_delay_alu instid0(VALU_DEP_1) | instskip(NEXT) | instid1(VALU_DEP_2)
	v_lshlrev_b64_e64 v[102:103], v102, -1
	v_lshlrev_b64_e64 v[112:113], v113, 1
	s_delay_alu instid0(VALU_DEP_2) | instskip(NEXT) | instid1(VALU_DEP_3)
	v_bfi_b32 v43, v103, 0, 0
	v_bfi_b32 v42, v102, 0, v54
	v_lshrrev_b64 v[102:103], v30, v[54:55]
	s_delay_alu instid0(VALU_DEP_2) | instskip(NEXT) | instid1(VALU_DEP_2)
	v_cmp_eq_u64_e64 s7, v[42:43], v[112:113]
	v_mov_b64_e32 v[112:113], v[102:103]
	s_and_saveexec_b32 s27, s7
; %bb.3175:                             ;   in Loop: Header=BB4_2911 Depth=2
	v_bfe_u32 v54, v102, 21, 1
	s_delay_alu instid0(VALU_DEP_1) | instskip(NEXT) | instid1(VALU_DEP_1)
	v_add_nc_u64_e32 v[112:113], v[102:103], v[54:55]
	v_add_nc_u64_e32 v[112:113], -1, v[112:113]
; %bb.3176:                             ;   in Loop: Header=BB4_2911 Depth=2
	s_or_b32 exec_lo, exec_lo, s27
	v_add_nc_u32_e32 v3, 0xffffff81, v3
	v_lshrrev_b32_e32 v54, 23, v102
	s_mov_b32 s7, exec_lo
	s_delay_alu instid0(VALU_DEP_2) | instskip(NEXT) | instid1(VALU_DEP_1)
	v_cndmask_b32_e64 v3, v3, 0xffffff82, vcc_lo
	v_add3_u32 v30, v30, v3, v54
	v_and_b32_e32 v3, 0x1fffff, v112
	s_delay_alu instid0(VALU_DEP_2) | instskip(NEXT) | instid1(VALU_DEP_2)
	v_add_nc_u32_e32 v112, 14, v30
	v_add_nc_u32_e32 v54, v3, v102
                                        ; implicit-def: $vgpr102_vgpr103
                                        ; implicit-def: $vgpr3
	s_delay_alu instid0(VALU_DEP_2)
	v_cmpx_ne_u32_e32 0, v112
	s_xor_b32 s7, exec_lo, s7
; %bb.3177:                             ;   in Loop: Header=BB4_2911 Depth=2
	s_delay_alu instid0(VALU_DEP_2) | instskip(SKIP_2) | instid1(VALU_DEP_2)
	v_cmp_lt_u64_e32 vcc_lo, 0xffffff, v[54:55]
	v_add_nc_u32_e32 v3, 15, v30
	v_cndmask_b32_e64 v30, 0, 1, vcc_lo
	v_cndmask_b32_e32 v3, v112, v3, vcc_lo
	s_delay_alu instid0(VALU_DEP_2)
	v_lshrrev_b64 v[102:103], v30, v[54:55]
; %bb.3178:                             ;   in Loop: Header=BB4_2911 Depth=2
	s_and_not1_saveexec_b32 s7, s7
; %bb.3179:                             ;   in Loop: Header=BB4_2911 Depth=2
	v_mov_b64_e32 v[102:103], v[54:55]
	v_bfe_u32 v3, v54, 23, 1
; %bb.3180:                             ;   in Loop: Header=BB4_2911 Depth=2
	s_or_b32 exec_lo, exec_lo, s7
	s_delay_alu instid0(VALU_DEP_2) | instskip(NEXT) | instid1(VALU_DEP_2)
	v_lshrrev_b64 v[102:103], 21, v[102:103]
	v_cmp_gt_i32_e32 vcc_lo, 32, v3
	v_min_i32_e32 v30, 31, v3
	v_cmp_eq_u32_e64 s7, 0, v3
	s_delay_alu instid0(VALU_DEP_4) | instskip(NEXT) | instid1(VALU_DEP_3)
	v_cndmask_b32_e32 v102, 3, v102, vcc_lo
	v_dual_cndmask_b32 v103, 0, v103 :: v_dual_lshlrev_b32 v30, 2, v30
	s_delay_alu instid0(VALU_DEP_1) | instskip(NEXT) | instid1(VALU_DEP_2)
	v_and_b32_e32 v30, 0xfc, v30
	v_cmp_eq_u64_e32 vcc_lo, 0, v[102:103]
	s_delay_alu instid0(VALU_DEP_2)
	v_and_or_b32 v3, v102, 3, v30
	s_and_b32 s7, s7, vcc_lo
	s_delay_alu instid0(VALU_DEP_1) | instid1(SALU_CYCLE_1)
	v_cndmask_b32_e64 v3, v3, 0, s7
	s_delay_alu instid0(VALU_DEP_1)
	v_or_b32_e32 v102, v3, v0
.LBB4_3181:                             ;   in Loop: Header=BB4_2911 Depth=2
	s_or_b32 exec_lo, exec_lo, s26
                                        ; implicit-def: $vgpr0
.LBB4_3182:                             ;   in Loop: Header=BB4_2911 Depth=2
	s_and_not1_saveexec_b32 s7, s25
; %bb.3183:                             ;   in Loop: Header=BB4_2911 Depth=2
	v_or_b32_e32 v102, 0x7b, v0
; %bb.3184:                             ;   in Loop: Header=BB4_2911 Depth=2
	s_or_b32 exec_lo, exec_lo, s7
                                        ; implicit-def: $vgpr3
                                        ; implicit-def: $vgpr0
.LBB4_3185:                             ;   in Loop: Header=BB4_2911 Depth=2
	s_and_not1_saveexec_b32 s7, s24
	s_cbranch_execz .LBB4_3191
; %bb.3186:                             ;   in Loop: Header=BB4_2911 Depth=2
	s_mov_b32 s24, exec_lo
                                        ; implicit-def: $vgpr102
	v_cmpx_ne_u64_e32 0, v[54:55]
	s_xor_b32 s24, exec_lo, s24
; %bb.3187:                             ;   in Loop: Header=BB4_2911 Depth=2
	v_or_b32_e32 v102, 0x7f, v0
                                        ; implicit-def: $vgpr3
; %bb.3188:                             ;   in Loop: Header=BB4_2911 Depth=2
	s_and_not1_saveexec_b32 s24, s24
; %bb.3189:                             ;   in Loop: Header=BB4_2911 Depth=2
	v_cmp_lt_i32_e32 vcc_lo, -1, v3
	v_cndmask_b32_e32 v102, 0xfc, v110, vcc_lo
; %bb.3190:                             ;   in Loop: Header=BB4_2911 Depth=2
	s_or_b32 exec_lo, exec_lo, s24
.LBB4_3191:                             ;   in Loop: Header=BB4_2911 Depth=2
	s_delay_alu instid0(SALU_CYCLE_1)
	s_or_b32 exec_lo, exec_lo, s7
	v_dual_mov_b32 v0, 0 :: v_dual_mov_b32 v3, 0
	s_mov_b32 s7, exec_lo
	v_cmpx_lt_u64_e64 s[12:13], v[22:23]
	s_cbranch_execz .LBB4_3201
; %bb.3192:                             ;   in Loop: Header=BB4_2911 Depth=2
	v_lshrrev_b32_e32 v30, 24, v23
	v_bfrev_b32_e32 v3, 1
	s_mov_b32 s24, exec_lo
	s_delay_alu instid0(VALU_DEP_2)
	v_cmpx_ne_u32_e32 0x80, v30
	s_cbranch_execz .LBB4_3200
; %bb.3193:                             ;   in Loop: Header=BB4_2911 Depth=2
	v_and_b32_e32 v3, 0x7c000000, v23
	v_bfe_u32 v54, v23, 24, 2
	s_delay_alu instid0(VALU_DEP_2) | instskip(SKIP_1) | instid1(SALU_CYCLE_1)
	v_cmp_ne_u32_e32 vcc_lo, 0x7c000000, v3
                                        ; implicit-def: $vgpr3
	s_and_saveexec_b32 s25, vcc_lo
	s_xor_b32 s25, exec_lo, s25
	s_cbranch_execz .LBB4_3197
; %bb.3194:                             ;   in Loop: Header=BB4_2911 Depth=2
	v_bfe_u32 v3, v23, 26, 5
	s_mov_b32 s26, exec_lo
	s_delay_alu instid0(VALU_DEP_1)
	v_cmpx_eq_u32_e32 0, v3
; %bb.3195:                             ;   in Loop: Header=BB4_2911 Depth=2
	v_clz_i32_u32_e32 v3, v54
	s_delay_alu instid0(VALU_DEP_1) | instskip(NEXT) | instid1(VALU_DEP_1)
	v_min_u32_e32 v3, 32, v3
	v_subrev_nc_u32_e32 v54, 29, v3
	s_delay_alu instid0(VALU_DEP_1) | instskip(NEXT) | instid1(VALU_DEP_1)
	v_lshlrev_b64_e32 v[112:113], v54, v[30:31]
	v_dual_sub_nc_u32 v3, 30, v3 :: v_dual_bitop2_b32 v54, 3, v112 bitop3:0x40
; %bb.3196:                             ;   in Loop: Header=BB4_2911 Depth=2
	s_or_b32 exec_lo, exec_lo, s26
	v_and_b32_e32 v30, 0x80000000, v23
	s_delay_alu instid0(VALU_DEP_1) | instskip(NEXT) | instid1(VALU_DEP_1)
	v_lshl_add_u32 v3, v3, 23, v30
	v_lshl_or_b32 v3, v54, 21, v3
                                        ; implicit-def: $vgpr54
	s_delay_alu instid0(VALU_DEP_1)
	v_add_nc_u32_e32 v3, 0x38000000, v3
.LBB4_3197:                             ;   in Loop: Header=BB4_2911 Depth=2
	s_and_not1_saveexec_b32 s25, s25
; %bb.3198:                             ;   in Loop: Header=BB4_2911 Depth=2
	v_cmp_lt_i64_e32 vcc_lo, -1, v[22:23]
	v_cndmask_b32_e32 v3, 0xff800000, v109, vcc_lo
	v_cmp_eq_u32_e32 vcc_lo, 0, v54
	s_delay_alu instid0(VALU_DEP_2)
	v_cndmask_b32_e32 v3, 0x7f800001, v3, vcc_lo
; %bb.3199:                             ;   in Loop: Header=BB4_2911 Depth=2
	s_or_b32 exec_lo, exec_lo, s25
.LBB4_3200:                             ;   in Loop: Header=BB4_2911 Depth=2
	s_delay_alu instid0(SALU_CYCLE_1)
	s_or_b32 exec_lo, exec_lo, s24
.LBB4_3201:                             ;   in Loop: Header=BB4_2911 Depth=2
	s_delay_alu instid0(SALU_CYCLE_1) | instskip(NEXT) | instid1(SALU_CYCLE_1)
	s_or_b32 exec_lo, exec_lo, s7
	s_mov_b32 s7, exec_lo
	v_cmpx_lt_u64_e64 s[12:13], v[18:19]
	s_cbranch_execz .LBB4_3211
; %bb.3202:                             ;   in Loop: Header=BB4_2911 Depth=2
	v_lshrrev_b32_e32 v22, 24, v19
	v_bfrev_b32_e32 v0, 1
	s_mov_b32 s24, exec_lo
	s_delay_alu instid0(VALU_DEP_2)
	v_cmpx_ne_u32_e32 0x80, v22
	s_cbranch_execz .LBB4_3210
; %bb.3203:                             ;   in Loop: Header=BB4_2911 Depth=2
	v_and_b32_e32 v0, 0x7c000000, v19
	v_bfe_u32 v23, v19, 24, 2
	s_delay_alu instid0(VALU_DEP_2) | instskip(SKIP_1) | instid1(SALU_CYCLE_1)
	v_cmp_ne_u32_e32 vcc_lo, 0x7c000000, v0
                                        ; implicit-def: $vgpr0
	s_and_saveexec_b32 s25, vcc_lo
	s_xor_b32 s25, exec_lo, s25
	s_cbranch_execz .LBB4_3207
; %bb.3204:                             ;   in Loop: Header=BB4_2911 Depth=2
	v_bfe_u32 v0, v19, 26, 5
	s_mov_b32 s26, exec_lo
	s_delay_alu instid0(VALU_DEP_1)
	v_cmpx_eq_u32_e32 0, v0
; %bb.3205:                             ;   in Loop: Header=BB4_2911 Depth=2
	v_clz_i32_u32_e32 v0, v23
	s_delay_alu instid0(VALU_DEP_1) | instskip(NEXT) | instid1(VALU_DEP_1)
	v_min_u32_e32 v0, 32, v0
	v_subrev_nc_u32_e32 v23, 29, v0
	s_delay_alu instid0(VALU_DEP_1) | instskip(NEXT) | instid1(VALU_DEP_1)
	v_lshlrev_b64_e32 v[22:23], v23, v[22:23]
	v_dual_sub_nc_u32 v0, 30, v0 :: v_dual_bitop2_b32 v23, 3, v22 bitop3:0x40
; %bb.3206:                             ;   in Loop: Header=BB4_2911 Depth=2
	s_or_b32 exec_lo, exec_lo, s26
	v_and_b32_e32 v22, 0x80000000, v19
	s_delay_alu instid0(VALU_DEP_1) | instskip(NEXT) | instid1(VALU_DEP_1)
	v_lshl_add_u32 v0, v0, 23, v22
	v_lshl_or_b32 v0, v23, 21, v0
                                        ; implicit-def: $vgpr23
	s_delay_alu instid0(VALU_DEP_1)
	v_add_nc_u32_e32 v0, 0x38000000, v0
.LBB4_3207:                             ;   in Loop: Header=BB4_2911 Depth=2
	s_and_not1_saveexec_b32 s25, s25
; %bb.3208:                             ;   in Loop: Header=BB4_2911 Depth=2
	v_cmp_lt_i64_e32 vcc_lo, -1, v[18:19]
	v_cndmask_b32_e32 v0, 0xff800000, v109, vcc_lo
	v_cmp_eq_u32_e32 vcc_lo, 0, v23
	s_delay_alu instid0(VALU_DEP_2)
	v_cndmask_b32_e32 v0, 0x7f800001, v0, vcc_lo
; %bb.3209:                             ;   in Loop: Header=BB4_2911 Depth=2
	s_or_b32 exec_lo, exec_lo, s25
.LBB4_3210:                             ;   in Loop: Header=BB4_2911 Depth=2
	s_delay_alu instid0(SALU_CYCLE_1)
	s_or_b32 exec_lo, exec_lo, s24
.LBB4_3211:                             ;   in Loop: Header=BB4_2911 Depth=2
	s_delay_alu instid0(SALU_CYCLE_1) | instskip(NEXT) | instid1(VALU_DEP_1)
	s_or_b32 exec_lo, exec_lo, s7
	v_mul_f32_e32 v3, v3, v0
	v_mov_b32_e32 v19, v55
                                        ; implicit-def: $vgpr30
	s_mov_b32 s7, exec_lo
	s_delay_alu instid0(VALU_DEP_2) | instskip(SKIP_2) | instid1(VALU_DEP_3)
	v_and_b32_e32 v18, 0x7f800000, v3
	v_and_b32_e32 v54, 0x7fffff, v3
	v_lshrrev_b32_e32 v0, 24, v3
	v_cmpx_ne_u64_e32 0x7f800000, v[18:19]
	s_xor_b32 s24, exec_lo, s7
	s_cbranch_execz .LBB4_3225
; %bb.3212:                             ;   in Loop: Header=BB4_2911 Depth=2
	v_and_b32_e32 v18, 0x7fffffff, v3
	v_mov_b32_e32 v19, v55
	v_and_b32_e32 v0, 0x80, v0
                                        ; implicit-def: $vgpr30
	s_mov_b32 s7, exec_lo
	s_delay_alu instid0(VALU_DEP_2)
	v_cmpx_gt_u64_e32 0x47600001, v[18:19]
	s_xor_b32 s25, exec_lo, s7
	s_cbranch_execz .LBB4_3222
; %bb.3213:                             ;   in Loop: Header=BB4_2911 Depth=2
	v_mov_b32_e32 v30, 0
	s_mov_b32 s26, exec_lo
	v_cmpx_ne_u32_e32 0, v3
	s_cbranch_execz .LBB4_3221
; %bb.3214:                             ;   in Loop: Header=BB4_2911 Depth=2
	v_bfe_u32 v3, v3, 23, 8
	v_or_b32_e32 v22, 0x800000, v54
	s_delay_alu instid0(VALU_DEP_2) | instskip(SKIP_1) | instid1(VALU_DEP_2)
	v_sub_nc_u32_e32 v18, 0x71, v3
	v_cmp_gt_u32_e32 vcc_lo, 0x72, v3
	v_cndmask_b32_e32 v18, 0, v18, vcc_lo
	v_cmp_eq_u32_e32 vcc_lo, 0, v3
	s_delay_alu instid0(VALU_DEP_2) | instskip(SKIP_1) | instid1(VALU_DEP_2)
	v_cndmask_b32_e64 v30, v18, 0x70, vcc_lo
	v_cndmask_b32_e32 v54, v22, v54, vcc_lo
	v_dual_add_nc_u32 v18, 21, v30 :: v_dual_add_nc_u32 v23, 20, v30
	s_delay_alu instid0(VALU_DEP_1) | instskip(NEXT) | instid1(VALU_DEP_2)
	v_lshlrev_b64_e64 v[18:19], v18, -1
	v_lshlrev_b64_e64 v[22:23], v23, 1
	s_delay_alu instid0(VALU_DEP_2) | instskip(NEXT) | instid1(VALU_DEP_3)
	v_bfi_b32 v113, v19, 0, 0
	v_bfi_b32 v112, v18, 0, v54
	v_lshrrev_b64 v[18:19], v30, v[54:55]
	s_delay_alu instid0(VALU_DEP_2) | instskip(NEXT) | instid1(VALU_DEP_2)
	v_cmp_eq_u64_e64 s7, v[112:113], v[22:23]
	v_mov_b64_e32 v[22:23], v[18:19]
	s_and_saveexec_b32 s27, s7
; %bb.3215:                             ;   in Loop: Header=BB4_2911 Depth=2
	v_bfe_u32 v54, v18, 21, 1
	s_delay_alu instid0(VALU_DEP_1) | instskip(NEXT) | instid1(VALU_DEP_1)
	v_add_nc_u64_e32 v[22:23], v[18:19], v[54:55]
	v_add_nc_u64_e32 v[22:23], -1, v[22:23]
; %bb.3216:                             ;   in Loop: Header=BB4_2911 Depth=2
	s_or_b32 exec_lo, exec_lo, s27
	v_add_nc_u32_e32 v3, 0xffffff81, v3
	v_lshrrev_b32_e32 v19, 23, v18
	s_mov_b32 s7, exec_lo
	s_delay_alu instid0(VALU_DEP_2) | instskip(NEXT) | instid1(VALU_DEP_1)
	v_cndmask_b32_e64 v3, v3, 0xffffff82, vcc_lo
	v_add3_u32 v23, v30, v3, v19
	v_and_b32_e32 v3, 0x1fffff, v22
	s_delay_alu instid0(VALU_DEP_1) | instskip(NEXT) | instid1(VALU_DEP_1)
	v_dual_add_nc_u32 v22, 14, v23 :: v_dual_add_nc_u32 v54, v3, v18
                                        ; implicit-def: $vgpr18_vgpr19
                                        ; implicit-def: $vgpr3
	v_cmpx_ne_u32_e32 0, v22
	s_xor_b32 s7, exec_lo, s7
; %bb.3217:                             ;   in Loop: Header=BB4_2911 Depth=2
	s_delay_alu instid0(VALU_DEP_2) | instskip(SKIP_2) | instid1(VALU_DEP_2)
	v_cmp_lt_u64_e32 vcc_lo, 0xffffff, v[54:55]
	v_add_nc_u32_e32 v3, 15, v23
	v_cndmask_b32_e64 v18, 0, 1, vcc_lo
	v_cndmask_b32_e32 v3, v22, v3, vcc_lo
	s_delay_alu instid0(VALU_DEP_2)
	v_lshrrev_b64 v[18:19], v18, v[54:55]
; %bb.3218:                             ;   in Loop: Header=BB4_2911 Depth=2
	s_and_not1_saveexec_b32 s7, s7
; %bb.3219:                             ;   in Loop: Header=BB4_2911 Depth=2
	v_mov_b64_e32 v[18:19], v[54:55]
	v_bfe_u32 v3, v54, 23, 1
; %bb.3220:                             ;   in Loop: Header=BB4_2911 Depth=2
	s_or_b32 exec_lo, exec_lo, s7
	s_delay_alu instid0(VALU_DEP_2) | instskip(NEXT) | instid1(VALU_DEP_2)
	v_lshrrev_b64 v[18:19], 21, v[18:19]
	v_cmp_gt_i32_e32 vcc_lo, 32, v3
	v_min_i32_e32 v22, 31, v3
	v_cmp_eq_u32_e64 s7, 0, v3
	s_delay_alu instid0(VALU_DEP_4) | instskip(NEXT) | instid1(VALU_DEP_3)
	v_cndmask_b32_e32 v18, 3, v18, vcc_lo
	v_dual_cndmask_b32 v19, 0, v19 :: v_dual_lshlrev_b32 v22, 2, v22
	s_delay_alu instid0(VALU_DEP_1) | instskip(NEXT) | instid1(VALU_DEP_2)
	v_and_b32_e32 v22, 0xfc, v22
	v_cmp_eq_u64_e32 vcc_lo, 0, v[18:19]
	s_delay_alu instid0(VALU_DEP_2)
	v_and_or_b32 v3, v18, 3, v22
	s_and_b32 s7, s7, vcc_lo
	s_delay_alu instid0(VALU_DEP_1) | instid1(SALU_CYCLE_1)
	v_cndmask_b32_e64 v3, v3, 0, s7
	s_delay_alu instid0(VALU_DEP_1)
	v_or_b32_e32 v30, v3, v0
.LBB4_3221:                             ;   in Loop: Header=BB4_2911 Depth=2
	s_or_b32 exec_lo, exec_lo, s26
                                        ; implicit-def: $vgpr0
.LBB4_3222:                             ;   in Loop: Header=BB4_2911 Depth=2
	s_and_not1_saveexec_b32 s7, s25
; %bb.3223:                             ;   in Loop: Header=BB4_2911 Depth=2
	v_or_b32_e32 v30, 0x7b, v0
; %bb.3224:                             ;   in Loop: Header=BB4_2911 Depth=2
	s_or_b32 exec_lo, exec_lo, s7
                                        ; implicit-def: $vgpr3
                                        ; implicit-def: $vgpr0
.LBB4_3225:                             ;   in Loop: Header=BB4_2911 Depth=2
	s_and_not1_saveexec_b32 s7, s24
	s_cbranch_execz .LBB4_3231
; %bb.3226:                             ;   in Loop: Header=BB4_2911 Depth=2
	s_mov_b32 s24, exec_lo
                                        ; implicit-def: $vgpr30
	v_cmpx_ne_u64_e32 0, v[54:55]
	s_xor_b32 s24, exec_lo, s24
; %bb.3227:                             ;   in Loop: Header=BB4_2911 Depth=2
	v_or_b32_e32 v30, 0x7f, v0
                                        ; implicit-def: $vgpr3
; %bb.3228:                             ;   in Loop: Header=BB4_2911 Depth=2
	s_and_not1_saveexec_b32 s24, s24
; %bb.3229:                             ;   in Loop: Header=BB4_2911 Depth=2
	v_cmp_lt_i32_e32 vcc_lo, -1, v3
	v_cndmask_b32_e32 v30, 0xfc, v110, vcc_lo
; %bb.3230:                             ;   in Loop: Header=BB4_2911 Depth=2
	s_or_b32 exec_lo, exec_lo, s24
.LBB4_3231:                             ;   in Loop: Header=BB4_2911 Depth=2
	s_delay_alu instid0(SALU_CYCLE_1) | instskip(SKIP_2) | instid1(VALU_DEP_2)
	s_or_b32 exec_lo, exec_lo, s7
	v_and_b32_e32 v3, 0xff, v24
	v_mov_b32_e32 v0, 0
	v_cmp_ne_u16_e32 vcc_lo, 0, v3
	v_mov_b32_e32 v3, 0
	s_and_saveexec_b32 s7, vcc_lo
	s_cbranch_execz .LBB4_3241
; %bb.3232:                             ;   in Loop: Header=BB4_2911 Depth=2
	v_bfe_i32 v19, v24, 0, 8
	v_bfrev_b32_e32 v3, 1
	s_mov_b32 s24, exec_lo
	s_delay_alu instid0(VALU_DEP_2)
	v_cmpx_ne_u16_e32 0xff80, v19
	s_cbranch_execz .LBB4_3240
; %bb.3233:                             ;   in Loop: Header=BB4_2911 Depth=2
	v_and_b32_e32 v3, 0x7c, v24
	v_and_b32_e32 v18, 3, v24
	s_delay_alu instid0(VALU_DEP_2) | instskip(SKIP_1) | instid1(SALU_CYCLE_1)
	v_cmp_ne_u32_e32 vcc_lo, 0x7c, v3
                                        ; implicit-def: $vgpr3
	s_and_saveexec_b32 s25, vcc_lo
	s_xor_b32 s25, exec_lo, s25
	s_cbranch_execz .LBB4_3237
; %bb.3234:                             ;   in Loop: Header=BB4_2911 Depth=2
	v_bfe_u32 v3, v24, 2, 5
	s_mov_b32 s26, exec_lo
	s_delay_alu instid0(VALU_DEP_1)
	v_cmpx_eq_u32_e32 0, v3
; %bb.3235:                             ;   in Loop: Header=BB4_2911 Depth=2
	v_clz_i32_u32_e32 v3, v18
	s_delay_alu instid0(VALU_DEP_1) | instskip(NEXT) | instid1(VALU_DEP_1)
	v_min_u32_e32 v3, 32, v3
	v_subrev_nc_u32_e32 v18, 29, v3
	s_delay_alu instid0(VALU_DEP_1) | instskip(NEXT) | instid1(VALU_DEP_1)
	v_lshlrev_b64_e32 v[18:19], v18, v[24:25]
	v_dual_sub_nc_u32 v3, 30, v3 :: v_dual_bitop2_b32 v18, 3, v18 bitop3:0x40
; %bb.3236:                             ;   in Loop: Header=BB4_2911 Depth=2
	s_or_b32 exec_lo, exec_lo, s26
	v_lshlrev_b32_e32 v19, 24, v24
	s_delay_alu instid0(VALU_DEP_1) | instskip(NEXT) | instid1(VALU_DEP_1)
	v_and_b32_e32 v19, 0x80000000, v19
	v_lshl_add_u32 v3, v3, 23, v19
                                        ; implicit-def: $vgpr19
	s_delay_alu instid0(VALU_DEP_1) | instskip(NEXT) | instid1(VALU_DEP_1)
	v_lshl_or_b32 v3, v18, 21, v3
                                        ; implicit-def: $vgpr18
	v_add_nc_u32_e32 v3, 0x38000000, v3
.LBB4_3237:                             ;   in Loop: Header=BB4_2911 Depth=2
	s_and_not1_saveexec_b32 s25, s25
; %bb.3238:                             ;   in Loop: Header=BB4_2911 Depth=2
	v_cmp_lt_i16_e32 vcc_lo, -1, v19
	v_cndmask_b32_e32 v3, 0xff800000, v109, vcc_lo
	v_cmp_eq_u32_e32 vcc_lo, 0, v18
	s_delay_alu instid0(VALU_DEP_2)
	v_cndmask_b32_e32 v3, 0x7f800001, v3, vcc_lo
; %bb.3239:                             ;   in Loop: Header=BB4_2911 Depth=2
	s_or_b32 exec_lo, exec_lo, s25
.LBB4_3240:                             ;   in Loop: Header=BB4_2911 Depth=2
	s_delay_alu instid0(SALU_CYCLE_1)
	s_or_b32 exec_lo, exec_lo, s24
.LBB4_3241:                             ;   in Loop: Header=BB4_2911 Depth=2
	s_delay_alu instid0(SALU_CYCLE_1) | instskip(SKIP_2) | instid1(VALU_DEP_1)
	s_or_b32 exec_lo, exec_lo, s7
	v_and_b32_e32 v18, 0xff, v20
	s_mov_b32 s7, exec_lo
	v_cmpx_ne_u16_e32 0, v18
	s_cbranch_execz .LBB4_3251
; %bb.3242:                             ;   in Loop: Header=BB4_2911 Depth=2
	v_bfe_i32 v19, v20, 0, 8
	v_bfrev_b32_e32 v0, 1
	s_mov_b32 s24, exec_lo
	s_delay_alu instid0(VALU_DEP_2)
	v_cmpx_ne_u16_e32 0xff80, v19
	s_cbranch_execz .LBB4_3250
; %bb.3243:                             ;   in Loop: Header=BB4_2911 Depth=2
	v_and_b32_e32 v0, 0x7c, v20
	v_and_b32_e32 v18, 3, v20
	s_delay_alu instid0(VALU_DEP_2) | instskip(SKIP_1) | instid1(SALU_CYCLE_1)
	v_cmp_ne_u32_e32 vcc_lo, 0x7c, v0
                                        ; implicit-def: $vgpr0
	s_and_saveexec_b32 s25, vcc_lo
	s_xor_b32 s25, exec_lo, s25
	s_cbranch_execz .LBB4_3247
; %bb.3244:                             ;   in Loop: Header=BB4_2911 Depth=2
	v_bfe_u32 v0, v20, 2, 5
	s_mov_b32 s26, exec_lo
	s_delay_alu instid0(VALU_DEP_1)
	v_cmpx_eq_u32_e32 0, v0
; %bb.3245:                             ;   in Loop: Header=BB4_2911 Depth=2
	v_clz_i32_u32_e32 v0, v18
	s_delay_alu instid0(VALU_DEP_1) | instskip(NEXT) | instid1(VALU_DEP_1)
	v_min_u32_e32 v0, 32, v0
	v_subrev_nc_u32_e32 v18, 29, v0
	s_delay_alu instid0(VALU_DEP_1) | instskip(NEXT) | instid1(VALU_DEP_1)
	v_lshlrev_b64_e32 v[18:19], v18, v[20:21]
	v_dual_sub_nc_u32 v0, 30, v0 :: v_dual_bitop2_b32 v18, 3, v18 bitop3:0x40
; %bb.3246:                             ;   in Loop: Header=BB4_2911 Depth=2
	s_or_b32 exec_lo, exec_lo, s26
	v_lshlrev_b32_e32 v19, 24, v20
	s_delay_alu instid0(VALU_DEP_1) | instskip(NEXT) | instid1(VALU_DEP_1)
	v_and_b32_e32 v19, 0x80000000, v19
	v_lshl_add_u32 v0, v0, 23, v19
                                        ; implicit-def: $vgpr19
	s_delay_alu instid0(VALU_DEP_1) | instskip(NEXT) | instid1(VALU_DEP_1)
	v_lshl_or_b32 v0, v18, 21, v0
                                        ; implicit-def: $vgpr18
	v_add_nc_u32_e32 v0, 0x38000000, v0
.LBB4_3247:                             ;   in Loop: Header=BB4_2911 Depth=2
	s_and_not1_saveexec_b32 s25, s25
; %bb.3248:                             ;   in Loop: Header=BB4_2911 Depth=2
	v_cmp_lt_i16_e32 vcc_lo, -1, v19
	v_cndmask_b32_e32 v0, 0xff800000, v109, vcc_lo
	v_cmp_eq_u32_e32 vcc_lo, 0, v18
	s_delay_alu instid0(VALU_DEP_2)
	v_cndmask_b32_e32 v0, 0x7f800001, v0, vcc_lo
; %bb.3249:                             ;   in Loop: Header=BB4_2911 Depth=2
	s_or_b32 exec_lo, exec_lo, s25
.LBB4_3250:                             ;   in Loop: Header=BB4_2911 Depth=2
	s_delay_alu instid0(SALU_CYCLE_1)
	s_or_b32 exec_lo, exec_lo, s24
.LBB4_3251:                             ;   in Loop: Header=BB4_2911 Depth=2
	s_delay_alu instid0(SALU_CYCLE_1) | instskip(NEXT) | instid1(VALU_DEP_1)
	s_or_b32 exec_lo, exec_lo, s7
	v_mul_f32_e32 v3, v3, v0
	v_mov_b32_e32 v19, v55
                                        ; implicit-def: $vgpr103
	s_mov_b32 s7, exec_lo
	s_delay_alu instid0(VALU_DEP_2) | instskip(SKIP_2) | instid1(VALU_DEP_3)
	v_and_b32_e32 v18, 0x7f800000, v3
	v_and_b32_e32 v54, 0x7fffff, v3
	v_lshrrev_b32_e32 v0, 24, v3
	v_cmpx_ne_u64_e32 0x7f800000, v[18:19]
	s_xor_b32 s24, exec_lo, s7
	s_cbranch_execz .LBB4_3265
; %bb.3252:                             ;   in Loop: Header=BB4_2911 Depth=2
	v_and_b32_e32 v18, 0x7fffffff, v3
	v_mov_b32_e32 v19, v55
	v_and_b32_e32 v0, 0x80, v0
                                        ; implicit-def: $vgpr103
	s_mov_b32 s7, exec_lo
	s_delay_alu instid0(VALU_DEP_2)
	v_cmpx_gt_u64_e32 0x47600001, v[18:19]
	s_xor_b32 s25, exec_lo, s7
	s_cbranch_execz .LBB4_3262
; %bb.3253:                             ;   in Loop: Header=BB4_2911 Depth=2
	v_mov_b32_e32 v103, 0
	s_mov_b32 s26, exec_lo
	v_cmpx_ne_u32_e32 0, v3
	s_cbranch_execz .LBB4_3261
; %bb.3254:                             ;   in Loop: Header=BB4_2911 Depth=2
	v_bfe_u32 v3, v3, 23, 8
	v_or_b32_e32 v22, 0x800000, v54
	s_delay_alu instid0(VALU_DEP_2) | instskip(SKIP_1) | instid1(VALU_DEP_2)
	v_sub_nc_u32_e32 v18, 0x71, v3
	v_cmp_gt_u32_e32 vcc_lo, 0x72, v3
	v_cndmask_b32_e32 v18, 0, v18, vcc_lo
	v_cmp_eq_u32_e32 vcc_lo, 0, v3
	s_delay_alu instid0(VALU_DEP_2) | instskip(NEXT) | instid1(VALU_DEP_1)
	v_cndmask_b32_e64 v103, v18, 0x70, vcc_lo
	v_dual_cndmask_b32 v54, v22, v54, vcc_lo :: v_dual_add_nc_u32 v18, 21, v103
	v_add_nc_u32_e32 v23, 20, v103
	s_delay_alu instid0(VALU_DEP_2) | instskip(NEXT) | instid1(VALU_DEP_2)
	v_lshlrev_b64_e64 v[18:19], v18, -1
	v_lshlrev_b64_e64 v[22:23], v23, 1
	s_delay_alu instid0(VALU_DEP_2) | instskip(NEXT) | instid1(VALU_DEP_3)
	v_bfi_b32 v113, v19, 0, 0
	v_bfi_b32 v112, v18, 0, v54
	v_lshrrev_b64 v[18:19], v103, v[54:55]
	s_delay_alu instid0(VALU_DEP_2) | instskip(NEXT) | instid1(VALU_DEP_2)
	v_cmp_eq_u64_e64 s7, v[112:113], v[22:23]
	v_mov_b64_e32 v[22:23], v[18:19]
	s_and_saveexec_b32 s27, s7
; %bb.3255:                             ;   in Loop: Header=BB4_2911 Depth=2
	v_bfe_u32 v54, v18, 21, 1
	s_delay_alu instid0(VALU_DEP_1) | instskip(NEXT) | instid1(VALU_DEP_1)
	v_add_nc_u64_e32 v[22:23], v[18:19], v[54:55]
	v_add_nc_u64_e32 v[22:23], -1, v[22:23]
; %bb.3256:                             ;   in Loop: Header=BB4_2911 Depth=2
	s_or_b32 exec_lo, exec_lo, s27
	v_add_nc_u32_e32 v3, 0xffffff81, v3
	v_lshrrev_b32_e32 v19, 23, v18
	s_mov_b32 s7, exec_lo
	s_delay_alu instid0(VALU_DEP_2) | instskip(NEXT) | instid1(VALU_DEP_1)
	v_cndmask_b32_e64 v3, v3, 0xffffff82, vcc_lo
	v_add3_u32 v23, v103, v3, v19
	v_and_b32_e32 v3, 0x1fffff, v22
	s_delay_alu instid0(VALU_DEP_1) | instskip(NEXT) | instid1(VALU_DEP_1)
	v_dual_add_nc_u32 v22, 14, v23 :: v_dual_add_nc_u32 v54, v3, v18
                                        ; implicit-def: $vgpr18_vgpr19
                                        ; implicit-def: $vgpr3
	v_cmpx_ne_u32_e32 0, v22
	s_xor_b32 s7, exec_lo, s7
; %bb.3257:                             ;   in Loop: Header=BB4_2911 Depth=2
	s_delay_alu instid0(VALU_DEP_2) | instskip(SKIP_2) | instid1(VALU_DEP_2)
	v_cmp_lt_u64_e32 vcc_lo, 0xffffff, v[54:55]
	v_add_nc_u32_e32 v3, 15, v23
	v_cndmask_b32_e64 v18, 0, 1, vcc_lo
	v_cndmask_b32_e32 v3, v22, v3, vcc_lo
	s_delay_alu instid0(VALU_DEP_2)
	v_lshrrev_b64 v[18:19], v18, v[54:55]
; %bb.3258:                             ;   in Loop: Header=BB4_2911 Depth=2
	s_and_not1_saveexec_b32 s7, s7
; %bb.3259:                             ;   in Loop: Header=BB4_2911 Depth=2
	v_mov_b64_e32 v[18:19], v[54:55]
	v_bfe_u32 v3, v54, 23, 1
; %bb.3260:                             ;   in Loop: Header=BB4_2911 Depth=2
	s_or_b32 exec_lo, exec_lo, s7
	s_delay_alu instid0(VALU_DEP_2) | instskip(NEXT) | instid1(VALU_DEP_2)
	v_lshrrev_b64 v[18:19], 21, v[18:19]
	v_cmp_gt_i32_e32 vcc_lo, 32, v3
	v_min_i32_e32 v22, 31, v3
	v_cmp_eq_u32_e64 s7, 0, v3
	s_delay_alu instid0(VALU_DEP_4) | instskip(NEXT) | instid1(VALU_DEP_3)
	v_cndmask_b32_e32 v18, 3, v18, vcc_lo
	v_dual_cndmask_b32 v19, 0, v19 :: v_dual_lshlrev_b32 v22, 2, v22
	s_delay_alu instid0(VALU_DEP_1) | instskip(NEXT) | instid1(VALU_DEP_2)
	v_and_b32_e32 v22, 0xfc, v22
	v_cmp_eq_u64_e32 vcc_lo, 0, v[18:19]
	s_delay_alu instid0(VALU_DEP_2)
	v_and_or_b32 v3, v18, 3, v22
	s_and_b32 s7, s7, vcc_lo
	s_delay_alu instid0(VALU_DEP_1) | instid1(SALU_CYCLE_1)
	v_cndmask_b32_e64 v3, v3, 0, s7
	s_delay_alu instid0(VALU_DEP_1)
	v_or_b32_e32 v103, v3, v0
.LBB4_3261:                             ;   in Loop: Header=BB4_2911 Depth=2
	s_or_b32 exec_lo, exec_lo, s26
                                        ; implicit-def: $vgpr0
.LBB4_3262:                             ;   in Loop: Header=BB4_2911 Depth=2
	s_and_not1_saveexec_b32 s7, s25
; %bb.3263:                             ;   in Loop: Header=BB4_2911 Depth=2
	v_or_b32_e32 v103, 0x7b, v0
; %bb.3264:                             ;   in Loop: Header=BB4_2911 Depth=2
	s_or_b32 exec_lo, exec_lo, s7
                                        ; implicit-def: $vgpr3
                                        ; implicit-def: $vgpr0
.LBB4_3265:                             ;   in Loop: Header=BB4_2911 Depth=2
	s_and_not1_saveexec_b32 s7, s24
	s_cbranch_execz .LBB4_3271
; %bb.3266:                             ;   in Loop: Header=BB4_2911 Depth=2
	s_mov_b32 s24, exec_lo
                                        ; implicit-def: $vgpr103
	v_cmpx_ne_u64_e32 0, v[54:55]
	s_xor_b32 s24, exec_lo, s24
; %bb.3267:                             ;   in Loop: Header=BB4_2911 Depth=2
	v_or_b32_e32 v103, 0x7f, v0
                                        ; implicit-def: $vgpr3
; %bb.3268:                             ;   in Loop: Header=BB4_2911 Depth=2
	s_and_not1_saveexec_b32 s24, s24
; %bb.3269:                             ;   in Loop: Header=BB4_2911 Depth=2
	v_cmp_lt_i32_e32 vcc_lo, -1, v3
	v_cndmask_b32_e32 v103, 0xfc, v110, vcc_lo
; %bb.3270:                             ;   in Loop: Header=BB4_2911 Depth=2
	s_or_b32 exec_lo, exec_lo, s24
.LBB4_3271:                             ;   in Loop: Header=BB4_2911 Depth=2
	s_delay_alu instid0(SALU_CYCLE_1) | instskip(SKIP_3) | instid1(VALU_DEP_2)
	s_or_b32 exec_lo, exec_lo, s7
	v_lshrrev_b16 v54, 8, v24
	v_dual_mov_b32 v0, 0 :: v_dual_mov_b32 v3, 0
	s_mov_b32 s7, exec_lo
	v_cmpx_ne_u16_e32 0, v54
	s_cbranch_execz .LBB4_3281
; %bb.3272:                             ;   in Loop: Header=BB4_2911 Depth=2
	v_bfrev_b32_e32 v3, 1
	s_mov_b32 s24, exec_lo
	v_cmpx_ne_u16_e32 0x80, v54
	s_cbranch_execz .LBB4_3280
; %bb.3273:                             ;   in Loop: Header=BB4_2911 Depth=2
	v_and_b32_e32 v19, 0xffff, v54
	s_delay_alu instid0(VALU_DEP_1) | instskip(SKIP_1) | instid1(VALU_DEP_2)
	v_and_b32_e32 v3, 0x7c, v19
	v_and_b32_e32 v18, 3, v19
	v_cmp_ne_u32_e32 vcc_lo, 0x7c, v3
                                        ; implicit-def: $vgpr3
	s_and_saveexec_b32 s25, vcc_lo
	s_delay_alu instid0(SALU_CYCLE_1)
	s_xor_b32 s25, exec_lo, s25
	s_cbranch_execz .LBB4_3277
; %bb.3274:                             ;   in Loop: Header=BB4_2911 Depth=2
	v_bfe_u32 v3, v19, 2, 5
	s_mov_b32 s26, exec_lo
	s_delay_alu instid0(VALU_DEP_1)
	v_cmpx_eq_u32_e32 0, v3
; %bb.3275:                             ;   in Loop: Header=BB4_2911 Depth=2
	v_clz_i32_u32_e32 v3, v18
	s_delay_alu instid0(VALU_DEP_1) | instskip(NEXT) | instid1(VALU_DEP_1)
	v_min_u32_e32 v3, 32, v3
	v_subrev_nc_u32_e32 v18, 29, v3
	s_delay_alu instid0(VALU_DEP_1) | instskip(NEXT) | instid1(VALU_DEP_1)
	v_lshlrev_b64_e32 v[18:19], v18, v[54:55]
	v_dual_sub_nc_u32 v3, 30, v3 :: v_dual_bitop2_b32 v18, 3, v18 bitop3:0x40
; %bb.3276:                             ;   in Loop: Header=BB4_2911 Depth=2
	s_or_b32 exec_lo, exec_lo, s26
	v_lshlrev_b32_e32 v19, 16, v24
	s_delay_alu instid0(VALU_DEP_1) | instskip(NEXT) | instid1(VALU_DEP_1)
	v_and_b32_e32 v19, 0x80000000, v19
	v_lshl_add_u32 v3, v3, 23, v19
	s_delay_alu instid0(VALU_DEP_1) | instskip(NEXT) | instid1(VALU_DEP_1)
	v_lshl_or_b32 v3, v18, 21, v3
                                        ; implicit-def: $vgpr18
	v_add_nc_u32_e32 v3, 0x38000000, v3
.LBB4_3277:                             ;   in Loop: Header=BB4_2911 Depth=2
	s_and_not1_saveexec_b32 s25, s25
; %bb.3278:                             ;   in Loop: Header=BB4_2911 Depth=2
	v_cmp_lt_i16_e32 vcc_lo, -1, v24
	v_cndmask_b32_e32 v3, 0xff800000, v109, vcc_lo
	v_cmp_eq_u32_e32 vcc_lo, 0, v18
	s_delay_alu instid0(VALU_DEP_2)
	v_cndmask_b32_e32 v3, 0x7f800001, v3, vcc_lo
; %bb.3279:                             ;   in Loop: Header=BB4_2911 Depth=2
	s_or_b32 exec_lo, exec_lo, s25
.LBB4_3280:                             ;   in Loop: Header=BB4_2911 Depth=2
	s_delay_alu instid0(SALU_CYCLE_1)
	s_or_b32 exec_lo, exec_lo, s24
.LBB4_3281:                             ;   in Loop: Header=BB4_2911 Depth=2
	s_delay_alu instid0(SALU_CYCLE_1) | instskip(SKIP_2) | instid1(VALU_DEP_1)
	s_or_b32 exec_lo, exec_lo, s7
	v_lshrrev_b16 v54, 8, v20
	s_mov_b32 s7, exec_lo
	v_cmpx_ne_u16_e32 0, v54
	s_cbranch_execz .LBB4_3291
; %bb.3282:                             ;   in Loop: Header=BB4_2911 Depth=2
	v_bfrev_b32_e32 v0, 1
	s_mov_b32 s24, exec_lo
	v_cmpx_ne_u16_e32 0x80, v54
	s_cbranch_execz .LBB4_3290
; %bb.3283:                             ;   in Loop: Header=BB4_2911 Depth=2
	v_and_b32_e32 v19, 0xffff, v54
	s_delay_alu instid0(VALU_DEP_1) | instskip(SKIP_1) | instid1(VALU_DEP_2)
	v_and_b32_e32 v0, 0x7c, v19
	v_and_b32_e32 v18, 3, v19
	v_cmp_ne_u32_e32 vcc_lo, 0x7c, v0
                                        ; implicit-def: $vgpr0
	s_and_saveexec_b32 s25, vcc_lo
	s_delay_alu instid0(SALU_CYCLE_1)
	s_xor_b32 s25, exec_lo, s25
	s_cbranch_execz .LBB4_3287
; %bb.3284:                             ;   in Loop: Header=BB4_2911 Depth=2
	v_bfe_u32 v0, v19, 2, 5
	s_mov_b32 s26, exec_lo
	s_delay_alu instid0(VALU_DEP_1)
	v_cmpx_eq_u32_e32 0, v0
; %bb.3285:                             ;   in Loop: Header=BB4_2911 Depth=2
	v_clz_i32_u32_e32 v0, v18
	s_delay_alu instid0(VALU_DEP_1) | instskip(NEXT) | instid1(VALU_DEP_1)
	v_min_u32_e32 v0, 32, v0
	v_subrev_nc_u32_e32 v18, 29, v0
	s_delay_alu instid0(VALU_DEP_1) | instskip(NEXT) | instid1(VALU_DEP_1)
	v_lshlrev_b64_e32 v[18:19], v18, v[54:55]
	v_dual_sub_nc_u32 v0, 30, v0 :: v_dual_bitop2_b32 v18, 3, v18 bitop3:0x40
; %bb.3286:                             ;   in Loop: Header=BB4_2911 Depth=2
	s_or_b32 exec_lo, exec_lo, s26
	v_lshlrev_b32_e32 v19, 16, v20
	s_delay_alu instid0(VALU_DEP_1) | instskip(NEXT) | instid1(VALU_DEP_1)
	v_and_b32_e32 v19, 0x80000000, v19
	v_lshl_add_u32 v0, v0, 23, v19
	s_delay_alu instid0(VALU_DEP_1) | instskip(NEXT) | instid1(VALU_DEP_1)
	v_lshl_or_b32 v0, v18, 21, v0
                                        ; implicit-def: $vgpr18
	v_add_nc_u32_e32 v0, 0x38000000, v0
.LBB4_3287:                             ;   in Loop: Header=BB4_2911 Depth=2
	s_and_not1_saveexec_b32 s25, s25
; %bb.3288:                             ;   in Loop: Header=BB4_2911 Depth=2
	v_cmp_lt_i16_e32 vcc_lo, -1, v20
	v_cndmask_b32_e32 v0, 0xff800000, v109, vcc_lo
	v_cmp_eq_u32_e32 vcc_lo, 0, v18
	s_delay_alu instid0(VALU_DEP_2)
	v_cndmask_b32_e32 v0, 0x7f800001, v0, vcc_lo
; %bb.3289:                             ;   in Loop: Header=BB4_2911 Depth=2
	s_or_b32 exec_lo, exec_lo, s25
.LBB4_3290:                             ;   in Loop: Header=BB4_2911 Depth=2
	s_delay_alu instid0(SALU_CYCLE_1)
	s_or_b32 exec_lo, exec_lo, s24
.LBB4_3291:                             ;   in Loop: Header=BB4_2911 Depth=2
	s_delay_alu instid0(SALU_CYCLE_1) | instskip(NEXT) | instid1(VALU_DEP_1)
	s_or_b32 exec_lo, exec_lo, s7
	v_mul_f32_e32 v3, v3, v0
	v_mov_b32_e32 v19, v55
                                        ; implicit-def: $vgpr112
	s_mov_b32 s7, exec_lo
	s_delay_alu instid0(VALU_DEP_2) | instskip(SKIP_2) | instid1(VALU_DEP_3)
	v_and_b32_e32 v18, 0x7f800000, v3
	v_and_b32_e32 v54, 0x7fffff, v3
	v_lshrrev_b32_e32 v0, 24, v3
	v_cmpx_ne_u64_e32 0x7f800000, v[18:19]
	s_xor_b32 s24, exec_lo, s7
	s_cbranch_execz .LBB4_3305
; %bb.3292:                             ;   in Loop: Header=BB4_2911 Depth=2
	v_and_b32_e32 v18, 0x7fffffff, v3
	v_mov_b32_e32 v19, v55
	v_and_b32_e32 v0, 0x80, v0
                                        ; implicit-def: $vgpr112
	s_mov_b32 s7, exec_lo
	s_delay_alu instid0(VALU_DEP_2)
	v_cmpx_gt_u64_e32 0x47600001, v[18:19]
	s_xor_b32 s25, exec_lo, s7
	s_cbranch_execz .LBB4_3302
; %bb.3293:                             ;   in Loop: Header=BB4_2911 Depth=2
	v_mov_b32_e32 v112, 0
	s_mov_b32 s26, exec_lo
	v_cmpx_ne_u32_e32 0, v3
	s_cbranch_execz .LBB4_3301
; %bb.3294:                             ;   in Loop: Header=BB4_2911 Depth=2
	v_bfe_u32 v3, v3, 23, 8
	v_or_b32_e32 v22, 0x800000, v54
	s_delay_alu instid0(VALU_DEP_2) | instskip(SKIP_1) | instid1(VALU_DEP_2)
	v_sub_nc_u32_e32 v18, 0x71, v3
	v_cmp_gt_u32_e32 vcc_lo, 0x72, v3
	v_cndmask_b32_e32 v18, 0, v18, vcc_lo
	v_cmp_eq_u32_e32 vcc_lo, 0, v3
	s_delay_alu instid0(VALU_DEP_2) | instskip(NEXT) | instid1(VALU_DEP_1)
	v_cndmask_b32_e64 v112, v18, 0x70, vcc_lo
	v_dual_cndmask_b32 v54, v22, v54, vcc_lo :: v_dual_add_nc_u32 v18, 21, v112
	v_add_nc_u32_e32 v23, 20, v112
	s_delay_alu instid0(VALU_DEP_2) | instskip(NEXT) | instid1(VALU_DEP_2)
	v_lshlrev_b64_e64 v[18:19], v18, -1
	v_lshlrev_b64_e64 v[22:23], v23, 1
	s_delay_alu instid0(VALU_DEP_2) | instskip(NEXT) | instid1(VALU_DEP_3)
	v_bfi_b32 v43, v19, 0, 0
	v_bfi_b32 v42, v18, 0, v54
	v_lshrrev_b64 v[18:19], v112, v[54:55]
	s_delay_alu instid0(VALU_DEP_2) | instskip(NEXT) | instid1(VALU_DEP_2)
	v_cmp_eq_u64_e64 s7, v[42:43], v[22:23]
	v_mov_b64_e32 v[22:23], v[18:19]
	s_and_saveexec_b32 s27, s7
; %bb.3295:                             ;   in Loop: Header=BB4_2911 Depth=2
	v_bfe_u32 v54, v18, 21, 1
	s_delay_alu instid0(VALU_DEP_1) | instskip(NEXT) | instid1(VALU_DEP_1)
	v_add_nc_u64_e32 v[22:23], v[18:19], v[54:55]
	v_add_nc_u64_e32 v[22:23], -1, v[22:23]
; %bb.3296:                             ;   in Loop: Header=BB4_2911 Depth=2
	s_or_b32 exec_lo, exec_lo, s27
	v_add_nc_u32_e32 v3, 0xffffff81, v3
	v_lshrrev_b32_e32 v19, 23, v18
	s_mov_b32 s7, exec_lo
	s_delay_alu instid0(VALU_DEP_2) | instskip(NEXT) | instid1(VALU_DEP_1)
	v_cndmask_b32_e64 v3, v3, 0xffffff82, vcc_lo
	v_add3_u32 v23, v112, v3, v19
	v_and_b32_e32 v3, 0x1fffff, v22
	s_delay_alu instid0(VALU_DEP_1) | instskip(NEXT) | instid1(VALU_DEP_1)
	v_dual_add_nc_u32 v22, 14, v23 :: v_dual_add_nc_u32 v54, v3, v18
                                        ; implicit-def: $vgpr18_vgpr19
                                        ; implicit-def: $vgpr3
	v_cmpx_ne_u32_e32 0, v22
	s_xor_b32 s7, exec_lo, s7
; %bb.3297:                             ;   in Loop: Header=BB4_2911 Depth=2
	s_delay_alu instid0(VALU_DEP_2) | instskip(SKIP_2) | instid1(VALU_DEP_2)
	v_cmp_lt_u64_e32 vcc_lo, 0xffffff, v[54:55]
	v_add_nc_u32_e32 v3, 15, v23
	v_cndmask_b32_e64 v18, 0, 1, vcc_lo
	v_cndmask_b32_e32 v3, v22, v3, vcc_lo
	s_delay_alu instid0(VALU_DEP_2)
	v_lshrrev_b64 v[18:19], v18, v[54:55]
; %bb.3298:                             ;   in Loop: Header=BB4_2911 Depth=2
	s_and_not1_saveexec_b32 s7, s7
; %bb.3299:                             ;   in Loop: Header=BB4_2911 Depth=2
	v_mov_b64_e32 v[18:19], v[54:55]
	v_bfe_u32 v3, v54, 23, 1
; %bb.3300:                             ;   in Loop: Header=BB4_2911 Depth=2
	s_or_b32 exec_lo, exec_lo, s7
	s_delay_alu instid0(VALU_DEP_2) | instskip(NEXT) | instid1(VALU_DEP_2)
	v_lshrrev_b64 v[18:19], 21, v[18:19]
	v_cmp_gt_i32_e32 vcc_lo, 32, v3
	v_min_i32_e32 v22, 31, v3
	v_cmp_eq_u32_e64 s7, 0, v3
	s_delay_alu instid0(VALU_DEP_4) | instskip(NEXT) | instid1(VALU_DEP_3)
	v_cndmask_b32_e32 v18, 3, v18, vcc_lo
	v_dual_cndmask_b32 v19, 0, v19 :: v_dual_lshlrev_b32 v22, 2, v22
	s_delay_alu instid0(VALU_DEP_1) | instskip(NEXT) | instid1(VALU_DEP_2)
	v_and_b32_e32 v22, 0xfc, v22
	v_cmp_eq_u64_e32 vcc_lo, 0, v[18:19]
	s_delay_alu instid0(VALU_DEP_2)
	v_and_or_b32 v3, v18, 3, v22
	s_and_b32 s7, s7, vcc_lo
	s_delay_alu instid0(VALU_DEP_1) | instid1(SALU_CYCLE_1)
	v_cndmask_b32_e64 v3, v3, 0, s7
	s_delay_alu instid0(VALU_DEP_1)
	v_or_b32_e32 v112, v3, v0
.LBB4_3301:                             ;   in Loop: Header=BB4_2911 Depth=2
	s_or_b32 exec_lo, exec_lo, s26
                                        ; implicit-def: $vgpr0
.LBB4_3302:                             ;   in Loop: Header=BB4_2911 Depth=2
	s_and_not1_saveexec_b32 s7, s25
; %bb.3303:                             ;   in Loop: Header=BB4_2911 Depth=2
	v_or_b32_e32 v112, 0x7b, v0
; %bb.3304:                             ;   in Loop: Header=BB4_2911 Depth=2
	s_or_b32 exec_lo, exec_lo, s7
                                        ; implicit-def: $vgpr3
                                        ; implicit-def: $vgpr0
.LBB4_3305:                             ;   in Loop: Header=BB4_2911 Depth=2
	s_and_not1_saveexec_b32 s7, s24
	s_cbranch_execz .LBB4_3311
; %bb.3306:                             ;   in Loop: Header=BB4_2911 Depth=2
	s_mov_b32 s24, exec_lo
                                        ; implicit-def: $vgpr112
	v_cmpx_ne_u64_e32 0, v[54:55]
	s_xor_b32 s24, exec_lo, s24
; %bb.3307:                             ;   in Loop: Header=BB4_2911 Depth=2
	v_or_b32_e32 v112, 0x7f, v0
                                        ; implicit-def: $vgpr3
; %bb.3308:                             ;   in Loop: Header=BB4_2911 Depth=2
	s_and_not1_saveexec_b32 s24, s24
; %bb.3309:                             ;   in Loop: Header=BB4_2911 Depth=2
	v_cmp_lt_i32_e32 vcc_lo, -1, v3
	v_cndmask_b32_e32 v112, 0xfc, v110, vcc_lo
; %bb.3310:                             ;   in Loop: Header=BB4_2911 Depth=2
	s_or_b32 exec_lo, exec_lo, s24
.LBB4_3311:                             ;   in Loop: Header=BB4_2911 Depth=2
	s_delay_alu instid0(SALU_CYCLE_1) | instskip(SKIP_3) | instid1(VALU_DEP_2)
	s_or_b32 exec_lo, exec_lo, s7
	v_dual_lshrrev_b32 v18, 16, v24 :: v_dual_mov_b32 v0, 0
	v_mov_b32_e32 v3, 0
	s_mov_b32 s7, exec_lo
	v_and_b32_e32 v19, 0xff, v18
	s_delay_alu instid0(VALU_DEP_1)
	v_cmpx_ne_u16_e32 0, v19
	s_cbranch_execz .LBB4_3321
; %bb.3312:                             ;   in Loop: Header=BB4_2911 Depth=2
	v_bfrev_b32_e32 v3, 1
	s_mov_b32 s24, exec_lo
	v_cmpx_ne_u16_e32 0x80, v19
	s_cbranch_execz .LBB4_3320
; %bb.3313:                             ;   in Loop: Header=BB4_2911 Depth=2
	v_and_b32_e32 v3, 0x7c0000, v24
	v_bfe_u32 v19, v24, 16, 2
	s_delay_alu instid0(VALU_DEP_2) | instskip(SKIP_1) | instid1(SALU_CYCLE_1)
	v_cmp_ne_u32_e32 vcc_lo, 0x7c0000, v3
                                        ; implicit-def: $vgpr3
	s_and_saveexec_b32 s25, vcc_lo
	s_xor_b32 s25, exec_lo, s25
	s_cbranch_execz .LBB4_3317
; %bb.3314:                             ;   in Loop: Header=BB4_2911 Depth=2
	v_bfe_u32 v3, v24, 18, 5
	s_mov_b32 s26, exec_lo
	s_delay_alu instid0(VALU_DEP_1)
	v_cmpx_eq_u32_e32 0, v3
; %bb.3315:                             ;   in Loop: Header=BB4_2911 Depth=2
	v_clz_i32_u32_e32 v3, v19
	s_delay_alu instid0(VALU_DEP_1) | instskip(NEXT) | instid1(VALU_DEP_1)
	v_min_u32_e32 v3, 32, v3
	v_subrev_nc_u32_e32 v19, 29, v3
	s_delay_alu instid0(VALU_DEP_1) | instskip(NEXT) | instid1(VALU_DEP_1)
	v_lshlrev_b64_e32 v[22:23], v19, v[18:19]
	v_dual_sub_nc_u32 v3, 30, v3 :: v_dual_bitop2_b32 v19, 3, v22 bitop3:0x40
; %bb.3316:                             ;   in Loop: Header=BB4_2911 Depth=2
	s_or_b32 exec_lo, exec_lo, s26
	v_lshlrev_b32_e32 v18, 24, v18
	s_delay_alu instid0(VALU_DEP_1) | instskip(NEXT) | instid1(VALU_DEP_1)
	v_and_b32_e32 v18, 0x80000000, v18
	v_lshl_add_u32 v3, v3, 23, v18
                                        ; implicit-def: $vgpr18
	s_delay_alu instid0(VALU_DEP_1) | instskip(NEXT) | instid1(VALU_DEP_1)
	v_lshl_or_b32 v3, v19, 21, v3
                                        ; implicit-def: $vgpr19
	v_add_nc_u32_e32 v3, 0x38000000, v3
.LBB4_3317:                             ;   in Loop: Header=BB4_2911 Depth=2
	s_and_not1_saveexec_b32 s25, s25
; %bb.3318:                             ;   in Loop: Header=BB4_2911 Depth=2
	v_bfe_i32 v3, v18, 0, 8
	s_delay_alu instid0(VALU_DEP_1) | instskip(SKIP_2) | instid1(VALU_DEP_2)
	v_cmp_lt_i16_e32 vcc_lo, -1, v3
	v_cndmask_b32_e32 v3, 0xff800000, v109, vcc_lo
	v_cmp_eq_u32_e32 vcc_lo, 0, v19
	v_cndmask_b32_e32 v3, 0x7f800001, v3, vcc_lo
; %bb.3319:                             ;   in Loop: Header=BB4_2911 Depth=2
	s_or_b32 exec_lo, exec_lo, s25
.LBB4_3320:                             ;   in Loop: Header=BB4_2911 Depth=2
	s_delay_alu instid0(SALU_CYCLE_1)
	s_or_b32 exec_lo, exec_lo, s24
.LBB4_3321:                             ;   in Loop: Header=BB4_2911 Depth=2
	s_delay_alu instid0(SALU_CYCLE_1) | instskip(SKIP_2) | instid1(VALU_DEP_1)
	s_or_b32 exec_lo, exec_lo, s7
	v_lshrrev_b32_e32 v18, 16, v20
	s_mov_b32 s7, exec_lo
	v_and_b32_e32 v19, 0xff, v18
	s_delay_alu instid0(VALU_DEP_1)
	v_cmpx_ne_u16_e32 0, v19
	s_cbranch_execz .LBB4_3331
; %bb.3322:                             ;   in Loop: Header=BB4_2911 Depth=2
	v_bfrev_b32_e32 v0, 1
	s_mov_b32 s24, exec_lo
	v_cmpx_ne_u16_e32 0x80, v19
	s_cbranch_execz .LBB4_3330
; %bb.3323:                             ;   in Loop: Header=BB4_2911 Depth=2
	v_and_b32_e32 v0, 0x7c0000, v20
	v_bfe_u32 v19, v20, 16, 2
	s_delay_alu instid0(VALU_DEP_2) | instskip(SKIP_1) | instid1(SALU_CYCLE_1)
	v_cmp_ne_u32_e32 vcc_lo, 0x7c0000, v0
                                        ; implicit-def: $vgpr0
	s_and_saveexec_b32 s25, vcc_lo
	s_xor_b32 s25, exec_lo, s25
	s_cbranch_execz .LBB4_3327
; %bb.3324:                             ;   in Loop: Header=BB4_2911 Depth=2
	v_bfe_u32 v0, v20, 18, 5
	s_mov_b32 s26, exec_lo
	s_delay_alu instid0(VALU_DEP_1)
	v_cmpx_eq_u32_e32 0, v0
; %bb.3325:                             ;   in Loop: Header=BB4_2911 Depth=2
	v_clz_i32_u32_e32 v0, v19
	s_delay_alu instid0(VALU_DEP_1) | instskip(NEXT) | instid1(VALU_DEP_1)
	v_min_u32_e32 v0, 32, v0
	v_subrev_nc_u32_e32 v19, 29, v0
	s_delay_alu instid0(VALU_DEP_1) | instskip(NEXT) | instid1(VALU_DEP_1)
	v_lshlrev_b64_e32 v[22:23], v19, v[18:19]
	v_dual_sub_nc_u32 v0, 30, v0 :: v_dual_bitop2_b32 v19, 3, v22 bitop3:0x40
; %bb.3326:                             ;   in Loop: Header=BB4_2911 Depth=2
	s_or_b32 exec_lo, exec_lo, s26
	v_lshlrev_b32_e32 v18, 24, v18
	s_delay_alu instid0(VALU_DEP_1) | instskip(NEXT) | instid1(VALU_DEP_1)
	v_and_b32_e32 v18, 0x80000000, v18
	v_lshl_add_u32 v0, v0, 23, v18
                                        ; implicit-def: $vgpr18
	s_delay_alu instid0(VALU_DEP_1) | instskip(NEXT) | instid1(VALU_DEP_1)
	v_lshl_or_b32 v0, v19, 21, v0
                                        ; implicit-def: $vgpr19
	v_add_nc_u32_e32 v0, 0x38000000, v0
.LBB4_3327:                             ;   in Loop: Header=BB4_2911 Depth=2
	s_and_not1_saveexec_b32 s25, s25
; %bb.3328:                             ;   in Loop: Header=BB4_2911 Depth=2
	v_bfe_i32 v0, v18, 0, 8
	s_delay_alu instid0(VALU_DEP_1) | instskip(SKIP_2) | instid1(VALU_DEP_2)
	v_cmp_lt_i16_e32 vcc_lo, -1, v0
	v_cndmask_b32_e32 v0, 0xff800000, v109, vcc_lo
	v_cmp_eq_u32_e32 vcc_lo, 0, v19
	v_cndmask_b32_e32 v0, 0x7f800001, v0, vcc_lo
; %bb.3329:                             ;   in Loop: Header=BB4_2911 Depth=2
	s_or_b32 exec_lo, exec_lo, s25
.LBB4_3330:                             ;   in Loop: Header=BB4_2911 Depth=2
	s_delay_alu instid0(SALU_CYCLE_1)
	s_or_b32 exec_lo, exec_lo, s24
.LBB4_3331:                             ;   in Loop: Header=BB4_2911 Depth=2
	s_delay_alu instid0(SALU_CYCLE_1) | instskip(NEXT) | instid1(VALU_DEP_1)
	s_or_b32 exec_lo, exec_lo, s7
	v_mul_f32_e32 v3, v3, v0
	v_mov_b32_e32 v19, v55
                                        ; implicit-def: $vgpr113
	s_mov_b32 s7, exec_lo
	s_delay_alu instid0(VALU_DEP_2) | instskip(SKIP_2) | instid1(VALU_DEP_3)
	v_and_b32_e32 v18, 0x7f800000, v3
	v_and_b32_e32 v54, 0x7fffff, v3
	v_lshrrev_b32_e32 v0, 24, v3
	v_cmpx_ne_u64_e32 0x7f800000, v[18:19]
	s_xor_b32 s24, exec_lo, s7
	s_cbranch_execz .LBB4_3345
; %bb.3332:                             ;   in Loop: Header=BB4_2911 Depth=2
	v_and_b32_e32 v18, 0x7fffffff, v3
	v_mov_b32_e32 v19, v55
	v_and_b32_e32 v0, 0x80, v0
                                        ; implicit-def: $vgpr113
	s_mov_b32 s7, exec_lo
	s_delay_alu instid0(VALU_DEP_2)
	v_cmpx_gt_u64_e32 0x47600001, v[18:19]
	s_xor_b32 s25, exec_lo, s7
	s_cbranch_execz .LBB4_3342
; %bb.3333:                             ;   in Loop: Header=BB4_2911 Depth=2
	v_mov_b32_e32 v113, 0
	s_mov_b32 s26, exec_lo
	v_cmpx_ne_u32_e32 0, v3
	s_cbranch_execz .LBB4_3341
; %bb.3334:                             ;   in Loop: Header=BB4_2911 Depth=2
	v_bfe_u32 v3, v3, 23, 8
	v_or_b32_e32 v22, 0x800000, v54
	s_delay_alu instid0(VALU_DEP_2) | instskip(SKIP_1) | instid1(VALU_DEP_2)
	v_sub_nc_u32_e32 v18, 0x71, v3
	v_cmp_gt_u32_e32 vcc_lo, 0x72, v3
	v_cndmask_b32_e32 v18, 0, v18, vcc_lo
	v_cmp_eq_u32_e32 vcc_lo, 0, v3
	s_delay_alu instid0(VALU_DEP_2) | instskip(NEXT) | instid1(VALU_DEP_1)
	v_cndmask_b32_e64 v113, v18, 0x70, vcc_lo
	v_dual_cndmask_b32 v54, v22, v54, vcc_lo :: v_dual_add_nc_u32 v18, 21, v113
	v_add_nc_u32_e32 v23, 20, v113
	s_delay_alu instid0(VALU_DEP_2) | instskip(NEXT) | instid1(VALU_DEP_2)
	v_lshlrev_b64_e64 v[18:19], v18, -1
	v_lshlrev_b64_e64 v[22:23], v23, 1
	s_delay_alu instid0(VALU_DEP_2) | instskip(NEXT) | instid1(VALU_DEP_3)
	v_bfi_b32 v43, v19, 0, 0
	v_bfi_b32 v42, v18, 0, v54
	v_lshrrev_b64 v[18:19], v113, v[54:55]
	s_delay_alu instid0(VALU_DEP_2) | instskip(NEXT) | instid1(VALU_DEP_2)
	v_cmp_eq_u64_e64 s7, v[42:43], v[22:23]
	v_mov_b64_e32 v[22:23], v[18:19]
	s_and_saveexec_b32 s27, s7
; %bb.3335:                             ;   in Loop: Header=BB4_2911 Depth=2
	v_bfe_u32 v54, v18, 21, 1
	s_delay_alu instid0(VALU_DEP_1) | instskip(NEXT) | instid1(VALU_DEP_1)
	v_add_nc_u64_e32 v[22:23], v[18:19], v[54:55]
	v_add_nc_u64_e32 v[22:23], -1, v[22:23]
; %bb.3336:                             ;   in Loop: Header=BB4_2911 Depth=2
	s_or_b32 exec_lo, exec_lo, s27
	v_add_nc_u32_e32 v3, 0xffffff81, v3
	v_lshrrev_b32_e32 v19, 23, v18
	s_mov_b32 s7, exec_lo
	s_delay_alu instid0(VALU_DEP_2) | instskip(NEXT) | instid1(VALU_DEP_1)
	v_cndmask_b32_e64 v3, v3, 0xffffff82, vcc_lo
	v_add3_u32 v23, v113, v3, v19
	v_and_b32_e32 v3, 0x1fffff, v22
	s_delay_alu instid0(VALU_DEP_1) | instskip(NEXT) | instid1(VALU_DEP_1)
	v_dual_add_nc_u32 v22, 14, v23 :: v_dual_add_nc_u32 v54, v3, v18
                                        ; implicit-def: $vgpr18_vgpr19
                                        ; implicit-def: $vgpr3
	v_cmpx_ne_u32_e32 0, v22
	s_xor_b32 s7, exec_lo, s7
; %bb.3337:                             ;   in Loop: Header=BB4_2911 Depth=2
	s_delay_alu instid0(VALU_DEP_2) | instskip(SKIP_2) | instid1(VALU_DEP_2)
	v_cmp_lt_u64_e32 vcc_lo, 0xffffff, v[54:55]
	v_add_nc_u32_e32 v3, 15, v23
	v_cndmask_b32_e64 v18, 0, 1, vcc_lo
	v_cndmask_b32_e32 v3, v22, v3, vcc_lo
	s_delay_alu instid0(VALU_DEP_2)
	v_lshrrev_b64 v[18:19], v18, v[54:55]
; %bb.3338:                             ;   in Loop: Header=BB4_2911 Depth=2
	s_and_not1_saveexec_b32 s7, s7
; %bb.3339:                             ;   in Loop: Header=BB4_2911 Depth=2
	v_mov_b64_e32 v[18:19], v[54:55]
	v_bfe_u32 v3, v54, 23, 1
; %bb.3340:                             ;   in Loop: Header=BB4_2911 Depth=2
	s_or_b32 exec_lo, exec_lo, s7
	s_delay_alu instid0(VALU_DEP_2) | instskip(NEXT) | instid1(VALU_DEP_2)
	v_lshrrev_b64 v[18:19], 21, v[18:19]
	v_cmp_gt_i32_e32 vcc_lo, 32, v3
	v_min_i32_e32 v22, 31, v3
	v_cmp_eq_u32_e64 s7, 0, v3
	s_delay_alu instid0(VALU_DEP_4) | instskip(NEXT) | instid1(VALU_DEP_3)
	v_cndmask_b32_e32 v18, 3, v18, vcc_lo
	v_dual_cndmask_b32 v19, 0, v19 :: v_dual_lshlrev_b32 v22, 2, v22
	s_delay_alu instid0(VALU_DEP_1) | instskip(NEXT) | instid1(VALU_DEP_2)
	v_and_b32_e32 v22, 0xfc, v22
	v_cmp_eq_u64_e32 vcc_lo, 0, v[18:19]
	s_delay_alu instid0(VALU_DEP_2)
	v_and_or_b32 v3, v18, 3, v22
	s_and_b32 s7, s7, vcc_lo
	s_delay_alu instid0(VALU_DEP_1) | instid1(SALU_CYCLE_1)
	v_cndmask_b32_e64 v3, v3, 0, s7
	s_delay_alu instid0(VALU_DEP_1)
	v_or_b32_e32 v113, v3, v0
.LBB4_3341:                             ;   in Loop: Header=BB4_2911 Depth=2
	s_or_b32 exec_lo, exec_lo, s26
                                        ; implicit-def: $vgpr0
.LBB4_3342:                             ;   in Loop: Header=BB4_2911 Depth=2
	s_and_not1_saveexec_b32 s7, s25
; %bb.3343:                             ;   in Loop: Header=BB4_2911 Depth=2
	v_or_b32_e32 v113, 0x7b, v0
; %bb.3344:                             ;   in Loop: Header=BB4_2911 Depth=2
	s_or_b32 exec_lo, exec_lo, s7
                                        ; implicit-def: $vgpr3
                                        ; implicit-def: $vgpr0
.LBB4_3345:                             ;   in Loop: Header=BB4_2911 Depth=2
	s_and_not1_saveexec_b32 s7, s24
	s_cbranch_execz .LBB4_3351
; %bb.3346:                             ;   in Loop: Header=BB4_2911 Depth=2
	s_mov_b32 s24, exec_lo
                                        ; implicit-def: $vgpr113
	v_cmpx_ne_u64_e32 0, v[54:55]
	s_xor_b32 s24, exec_lo, s24
; %bb.3347:                             ;   in Loop: Header=BB4_2911 Depth=2
	v_or_b32_e32 v113, 0x7f, v0
                                        ; implicit-def: $vgpr3
; %bb.3348:                             ;   in Loop: Header=BB4_2911 Depth=2
	s_and_not1_saveexec_b32 s24, s24
; %bb.3349:                             ;   in Loop: Header=BB4_2911 Depth=2
	v_cmp_lt_i32_e32 vcc_lo, -1, v3
	v_cndmask_b32_e32 v113, 0xfc, v110, vcc_lo
; %bb.3350:                             ;   in Loop: Header=BB4_2911 Depth=2
	s_or_b32 exec_lo, exec_lo, s24
.LBB4_3351:                             ;   in Loop: Header=BB4_2911 Depth=2
	s_delay_alu instid0(SALU_CYCLE_1)
	s_or_b32 exec_lo, exec_lo, s7
	v_dual_mov_b32 v0, 0 :: v_dual_mov_b32 v3, 0
	s_mov_b32 s7, exec_lo
	v_cmpx_lt_u32_e32 0xffffff, v24
	s_cbranch_execz .LBB4_3361
; %bb.3352:                             ;   in Loop: Header=BB4_2911 Depth=2
	v_lshrrev_b32_e32 v18, 24, v24
	v_bfrev_b32_e32 v3, 1
	s_mov_b32 s24, exec_lo
	s_delay_alu instid0(VALU_DEP_2)
	v_cmpx_ne_u32_e32 0x80, v18
	s_cbranch_execz .LBB4_3360
; %bb.3353:                             ;   in Loop: Header=BB4_2911 Depth=2
	v_and_b32_e32 v3, 0x7c000000, v24
	v_bfe_u32 v19, v24, 24, 2
	s_delay_alu instid0(VALU_DEP_2) | instskip(SKIP_1) | instid1(SALU_CYCLE_1)
	v_cmp_ne_u32_e32 vcc_lo, 0x7c000000, v3
                                        ; implicit-def: $vgpr3
	s_and_saveexec_b32 s25, vcc_lo
	s_xor_b32 s25, exec_lo, s25
	s_cbranch_execz .LBB4_3357
; %bb.3354:                             ;   in Loop: Header=BB4_2911 Depth=2
	v_bfe_u32 v3, v24, 26, 5
	s_mov_b32 s26, exec_lo
	s_delay_alu instid0(VALU_DEP_1)
	v_cmpx_eq_u32_e32 0, v3
; %bb.3355:                             ;   in Loop: Header=BB4_2911 Depth=2
	v_clz_i32_u32_e32 v3, v19
	s_delay_alu instid0(VALU_DEP_1) | instskip(NEXT) | instid1(VALU_DEP_1)
	v_min_u32_e32 v3, 32, v3
	v_subrev_nc_u32_e32 v19, 29, v3
	s_delay_alu instid0(VALU_DEP_1) | instskip(NEXT) | instid1(VALU_DEP_1)
	v_lshlrev_b64_e32 v[18:19], v19, v[18:19]
	v_dual_sub_nc_u32 v3, 30, v3 :: v_dual_bitop2_b32 v19, 3, v18 bitop3:0x40
; %bb.3356:                             ;   in Loop: Header=BB4_2911 Depth=2
	s_or_b32 exec_lo, exec_lo, s26
	v_and_b32_e32 v18, 0x80000000, v24
	s_delay_alu instid0(VALU_DEP_1) | instskip(NEXT) | instid1(VALU_DEP_1)
	v_lshl_add_u32 v3, v3, 23, v18
	v_lshl_or_b32 v3, v19, 21, v3
                                        ; implicit-def: $vgpr19
	s_delay_alu instid0(VALU_DEP_1)
	v_add_nc_u32_e32 v3, 0x38000000, v3
.LBB4_3357:                             ;   in Loop: Header=BB4_2911 Depth=2
	s_and_not1_saveexec_b32 s25, s25
; %bb.3358:                             ;   in Loop: Header=BB4_2911 Depth=2
	v_cmp_lt_i32_e32 vcc_lo, -1, v24
	v_cndmask_b32_e32 v3, 0xff800000, v109, vcc_lo
	v_cmp_eq_u32_e32 vcc_lo, 0, v19
	s_delay_alu instid0(VALU_DEP_2)
	v_cndmask_b32_e32 v3, 0x7f800001, v3, vcc_lo
; %bb.3359:                             ;   in Loop: Header=BB4_2911 Depth=2
	s_or_b32 exec_lo, exec_lo, s25
.LBB4_3360:                             ;   in Loop: Header=BB4_2911 Depth=2
	s_delay_alu instid0(SALU_CYCLE_1)
	s_or_b32 exec_lo, exec_lo, s24
.LBB4_3361:                             ;   in Loop: Header=BB4_2911 Depth=2
	s_delay_alu instid0(SALU_CYCLE_1) | instskip(NEXT) | instid1(SALU_CYCLE_1)
	s_or_b32 exec_lo, exec_lo, s7
	s_mov_b32 s7, exec_lo
	v_cmpx_lt_u32_e32 0xffffff, v20
	s_cbranch_execz .LBB4_3371
; %bb.3362:                             ;   in Loop: Header=BB4_2911 Depth=2
	v_lshrrev_b32_e32 v18, 24, v20
	v_bfrev_b32_e32 v0, 1
	s_mov_b32 s24, exec_lo
	s_delay_alu instid0(VALU_DEP_2)
	v_cmpx_ne_u32_e32 0x80, v18
	s_cbranch_execz .LBB4_3370
; %bb.3363:                             ;   in Loop: Header=BB4_2911 Depth=2
	v_and_b32_e32 v0, 0x7c000000, v20
	v_bfe_u32 v19, v20, 24, 2
	s_delay_alu instid0(VALU_DEP_2) | instskip(SKIP_1) | instid1(SALU_CYCLE_1)
	v_cmp_ne_u32_e32 vcc_lo, 0x7c000000, v0
                                        ; implicit-def: $vgpr0
	s_and_saveexec_b32 s25, vcc_lo
	s_xor_b32 s25, exec_lo, s25
	s_cbranch_execz .LBB4_3367
; %bb.3364:                             ;   in Loop: Header=BB4_2911 Depth=2
	v_bfe_u32 v0, v20, 26, 5
	s_mov_b32 s26, exec_lo
	s_delay_alu instid0(VALU_DEP_1)
	v_cmpx_eq_u32_e32 0, v0
; %bb.3365:                             ;   in Loop: Header=BB4_2911 Depth=2
	v_clz_i32_u32_e32 v0, v19
	s_delay_alu instid0(VALU_DEP_1) | instskip(NEXT) | instid1(VALU_DEP_1)
	v_min_u32_e32 v0, 32, v0
	v_subrev_nc_u32_e32 v19, 29, v0
	s_delay_alu instid0(VALU_DEP_1) | instskip(NEXT) | instid1(VALU_DEP_1)
	v_lshlrev_b64_e32 v[18:19], v19, v[18:19]
	v_dual_sub_nc_u32 v0, 30, v0 :: v_dual_bitop2_b32 v19, 3, v18 bitop3:0x40
; %bb.3366:                             ;   in Loop: Header=BB4_2911 Depth=2
	s_or_b32 exec_lo, exec_lo, s26
	v_and_b32_e32 v18, 0x80000000, v20
	s_delay_alu instid0(VALU_DEP_1) | instskip(NEXT) | instid1(VALU_DEP_1)
	v_lshl_add_u32 v0, v0, 23, v18
	v_lshl_or_b32 v0, v19, 21, v0
                                        ; implicit-def: $vgpr19
	s_delay_alu instid0(VALU_DEP_1)
	v_add_nc_u32_e32 v0, 0x38000000, v0
.LBB4_3367:                             ;   in Loop: Header=BB4_2911 Depth=2
	s_and_not1_saveexec_b32 s25, s25
; %bb.3368:                             ;   in Loop: Header=BB4_2911 Depth=2
	v_cmp_lt_i32_e32 vcc_lo, -1, v20
	v_cndmask_b32_e32 v0, 0xff800000, v109, vcc_lo
	v_cmp_eq_u32_e32 vcc_lo, 0, v19
	s_delay_alu instid0(VALU_DEP_2)
	v_cndmask_b32_e32 v0, 0x7f800001, v0, vcc_lo
; %bb.3369:                             ;   in Loop: Header=BB4_2911 Depth=2
	s_or_b32 exec_lo, exec_lo, s25
.LBB4_3370:                             ;   in Loop: Header=BB4_2911 Depth=2
	s_delay_alu instid0(SALU_CYCLE_1)
	s_or_b32 exec_lo, exec_lo, s24
.LBB4_3371:                             ;   in Loop: Header=BB4_2911 Depth=2
	s_delay_alu instid0(SALU_CYCLE_1) | instskip(NEXT) | instid1(VALU_DEP_1)
	s_or_b32 exec_lo, exec_lo, s7
	v_mul_f32_e32 v3, v3, v0
	v_mov_b32_e32 v19, v55
                                        ; implicit-def: $vgpr41
	s_mov_b32 s7, exec_lo
	s_delay_alu instid0(VALU_DEP_2) | instskip(SKIP_2) | instid1(VALU_DEP_3)
	v_and_b32_e32 v18, 0x7f800000, v3
	v_and_b32_e32 v54, 0x7fffff, v3
	v_lshrrev_b32_e32 v0, 24, v3
	v_cmpx_ne_u64_e32 0x7f800000, v[18:19]
	s_xor_b32 s24, exec_lo, s7
	s_cbranch_execz .LBB4_3385
; %bb.3372:                             ;   in Loop: Header=BB4_2911 Depth=2
	v_and_b32_e32 v18, 0x7fffffff, v3
	v_mov_b32_e32 v19, v55
	v_and_b32_e32 v0, 0x80, v0
                                        ; implicit-def: $vgpr41
	s_mov_b32 s7, exec_lo
	s_delay_alu instid0(VALU_DEP_2)
	v_cmpx_gt_u64_e32 0x47600001, v[18:19]
	s_xor_b32 s25, exec_lo, s7
	s_cbranch_execz .LBB4_3382
; %bb.3373:                             ;   in Loop: Header=BB4_2911 Depth=2
	v_mov_b32_e32 v41, 0
	s_mov_b32 s26, exec_lo
	v_cmpx_ne_u32_e32 0, v3
	s_cbranch_execz .LBB4_3381
; %bb.3374:                             ;   in Loop: Header=BB4_2911 Depth=2
	v_bfe_u32 v3, v3, 23, 8
	v_or_b32_e32 v22, 0x800000, v54
	s_delay_alu instid0(VALU_DEP_2) | instskip(SKIP_1) | instid1(VALU_DEP_2)
	v_sub_nc_u32_e32 v18, 0x71, v3
	v_cmp_gt_u32_e32 vcc_lo, 0x72, v3
	v_cndmask_b32_e32 v18, 0, v18, vcc_lo
	v_cmp_eq_u32_e32 vcc_lo, 0, v3
	s_delay_alu instid0(VALU_DEP_2) | instskip(NEXT) | instid1(VALU_DEP_1)
	v_cndmask_b32_e64 v41, v18, 0x70, vcc_lo
	v_dual_cndmask_b32 v54, v22, v54, vcc_lo :: v_dual_add_nc_u32 v18, 21, v41
	v_add_nc_u32_e32 v23, 20, v41
	s_delay_alu instid0(VALU_DEP_2) | instskip(NEXT) | instid1(VALU_DEP_2)
	v_lshlrev_b64_e64 v[18:19], v18, -1
	v_lshlrev_b64_e64 v[22:23], v23, 1
	s_delay_alu instid0(VALU_DEP_2) | instskip(NEXT) | instid1(VALU_DEP_3)
	v_bfi_b32 v43, v19, 0, 0
	v_bfi_b32 v42, v18, 0, v54
	v_lshrrev_b64 v[18:19], v41, v[54:55]
	s_delay_alu instid0(VALU_DEP_2) | instskip(NEXT) | instid1(VALU_DEP_2)
	v_cmp_eq_u64_e64 s7, v[42:43], v[22:23]
	v_mov_b64_e32 v[22:23], v[18:19]
	s_and_saveexec_b32 s27, s7
; %bb.3375:                             ;   in Loop: Header=BB4_2911 Depth=2
	v_bfe_u32 v54, v18, 21, 1
	s_delay_alu instid0(VALU_DEP_1) | instskip(NEXT) | instid1(VALU_DEP_1)
	v_add_nc_u64_e32 v[22:23], v[18:19], v[54:55]
	v_add_nc_u64_e32 v[22:23], -1, v[22:23]
; %bb.3376:                             ;   in Loop: Header=BB4_2911 Depth=2
	s_or_b32 exec_lo, exec_lo, s27
	v_add_nc_u32_e32 v3, 0xffffff81, v3
	v_lshrrev_b32_e32 v19, 23, v18
	s_mov_b32 s7, exec_lo
	s_delay_alu instid0(VALU_DEP_2) | instskip(NEXT) | instid1(VALU_DEP_1)
	v_cndmask_b32_e64 v3, v3, 0xffffff82, vcc_lo
	v_add3_u32 v23, v41, v3, v19
	v_and_b32_e32 v3, 0x1fffff, v22
	s_delay_alu instid0(VALU_DEP_1) | instskip(NEXT) | instid1(VALU_DEP_1)
	v_dual_add_nc_u32 v22, 14, v23 :: v_dual_add_nc_u32 v54, v3, v18
                                        ; implicit-def: $vgpr18_vgpr19
                                        ; implicit-def: $vgpr3
	v_cmpx_ne_u32_e32 0, v22
	s_xor_b32 s7, exec_lo, s7
; %bb.3377:                             ;   in Loop: Header=BB4_2911 Depth=2
	s_delay_alu instid0(VALU_DEP_2) | instskip(SKIP_2) | instid1(VALU_DEP_2)
	v_cmp_lt_u64_e32 vcc_lo, 0xffffff, v[54:55]
	v_add_nc_u32_e32 v3, 15, v23
	v_cndmask_b32_e64 v18, 0, 1, vcc_lo
	v_cndmask_b32_e32 v3, v22, v3, vcc_lo
	s_delay_alu instid0(VALU_DEP_2)
	v_lshrrev_b64 v[18:19], v18, v[54:55]
; %bb.3378:                             ;   in Loop: Header=BB4_2911 Depth=2
	s_and_not1_saveexec_b32 s7, s7
; %bb.3379:                             ;   in Loop: Header=BB4_2911 Depth=2
	v_mov_b64_e32 v[18:19], v[54:55]
	v_bfe_u32 v3, v54, 23, 1
; %bb.3380:                             ;   in Loop: Header=BB4_2911 Depth=2
	s_or_b32 exec_lo, exec_lo, s7
	s_delay_alu instid0(VALU_DEP_2) | instskip(NEXT) | instid1(VALU_DEP_2)
	v_lshrrev_b64 v[18:19], 21, v[18:19]
	v_cmp_gt_i32_e32 vcc_lo, 32, v3
	v_min_i32_e32 v22, 31, v3
	v_cmp_eq_u32_e64 s7, 0, v3
	s_delay_alu instid0(VALU_DEP_4) | instskip(NEXT) | instid1(VALU_DEP_3)
	v_cndmask_b32_e32 v18, 3, v18, vcc_lo
	v_dual_cndmask_b32 v19, 0, v19 :: v_dual_lshlrev_b32 v22, 2, v22
	s_delay_alu instid0(VALU_DEP_1) | instskip(NEXT) | instid1(VALU_DEP_2)
	v_and_b32_e32 v22, 0xfc, v22
	v_cmp_eq_u64_e32 vcc_lo, 0, v[18:19]
	s_delay_alu instid0(VALU_DEP_2)
	v_and_or_b32 v3, v18, 3, v22
	s_and_b32 s7, s7, vcc_lo
	s_delay_alu instid0(VALU_DEP_1) | instid1(SALU_CYCLE_1)
	v_cndmask_b32_e64 v3, v3, 0, s7
	s_delay_alu instid0(VALU_DEP_1)
	v_or_b32_e32 v41, v3, v0
.LBB4_3381:                             ;   in Loop: Header=BB4_2911 Depth=2
	s_or_b32 exec_lo, exec_lo, s26
                                        ; implicit-def: $vgpr0
.LBB4_3382:                             ;   in Loop: Header=BB4_2911 Depth=2
	s_and_not1_saveexec_b32 s7, s25
; %bb.3383:                             ;   in Loop: Header=BB4_2911 Depth=2
	v_or_b32_e32 v41, 0x7b, v0
; %bb.3384:                             ;   in Loop: Header=BB4_2911 Depth=2
	s_or_b32 exec_lo, exec_lo, s7
                                        ; implicit-def: $vgpr3
                                        ; implicit-def: $vgpr0
.LBB4_3385:                             ;   in Loop: Header=BB4_2911 Depth=2
	s_and_not1_saveexec_b32 s7, s24
	s_cbranch_execz .LBB4_3391
; %bb.3386:                             ;   in Loop: Header=BB4_2911 Depth=2
	s_mov_b32 s24, exec_lo
                                        ; implicit-def: $vgpr41
	v_cmpx_ne_u64_e32 0, v[54:55]
	s_xor_b32 s24, exec_lo, s24
; %bb.3387:                             ;   in Loop: Header=BB4_2911 Depth=2
	v_or_b32_e32 v41, 0x7f, v0
                                        ; implicit-def: $vgpr3
; %bb.3388:                             ;   in Loop: Header=BB4_2911 Depth=2
	s_and_not1_saveexec_b32 s24, s24
; %bb.3389:                             ;   in Loop: Header=BB4_2911 Depth=2
	v_cmp_lt_i32_e32 vcc_lo, -1, v3
	v_cndmask_b32_e32 v41, 0xfc, v110, vcc_lo
; %bb.3390:                             ;   in Loop: Header=BB4_2911 Depth=2
	s_or_b32 exec_lo, exec_lo, s24
.LBB4_3391:                             ;   in Loop: Header=BB4_2911 Depth=2
	s_delay_alu instid0(SALU_CYCLE_1) | instskip(SKIP_4) | instid1(VALU_DEP_3)
	s_or_b32 exec_lo, exec_lo, s7
	v_and_b32_e32 v18, 0xff, v25
	v_dual_mov_b32 v54, v25 :: v_dual_mov_b32 v3, 0
	v_mov_b32_e32 v0, 0
	s_mov_b32 s7, exec_lo
	v_cmpx_ne_u16_e32 0, v18
	s_cbranch_execz .LBB4_3401
; %bb.3392:                             ;   in Loop: Header=BB4_2911 Depth=2
	v_bfrev_b32_e32 v0, 1
	s_mov_b32 s24, exec_lo
	v_cmpx_ne_u16_e32 0x80, v18
	s_cbranch_execz .LBB4_3400
; %bb.3393:                             ;   in Loop: Header=BB4_2911 Depth=2
	v_and_b32_e32 v0, 0x7c, v25
	v_and_b32_e32 v18, 3, v25
	s_delay_alu instid0(VALU_DEP_2) | instskip(SKIP_1) | instid1(SALU_CYCLE_1)
	v_cmp_ne_u32_e32 vcc_lo, 0x7c, v0
                                        ; implicit-def: $vgpr0
	s_and_saveexec_b32 s25, vcc_lo
	s_xor_b32 s25, exec_lo, s25
	s_cbranch_execz .LBB4_3397
; %bb.3394:                             ;   in Loop: Header=BB4_2911 Depth=2
	v_bfe_u32 v0, v25, 2, 5
	s_mov_b32 s26, exec_lo
	s_delay_alu instid0(VALU_DEP_1)
	v_cmpx_eq_u32_e32 0, v0
; %bb.3395:                             ;   in Loop: Header=BB4_2911 Depth=2
	v_clz_i32_u32_e32 v0, v18
	s_delay_alu instid0(VALU_DEP_1) | instskip(NEXT) | instid1(VALU_DEP_1)
	v_min_u32_e32 v0, 32, v0
	v_subrev_nc_u32_e32 v18, 29, v0
	s_delay_alu instid0(VALU_DEP_1) | instskip(NEXT) | instid1(VALU_DEP_1)
	v_lshlrev_b64_e32 v[18:19], v18, v[54:55]
	v_dual_sub_nc_u32 v0, 30, v0 :: v_dual_bitop2_b32 v18, 3, v18 bitop3:0x40
; %bb.3396:                             ;   in Loop: Header=BB4_2911 Depth=2
	s_or_b32 exec_lo, exec_lo, s26
	v_lshlrev_b32_e32 v19, 24, v25
	s_delay_alu instid0(VALU_DEP_1) | instskip(NEXT) | instid1(VALU_DEP_1)
	v_and_b32_e32 v19, 0x80000000, v19
	v_lshl_add_u32 v0, v0, 23, v19
	s_delay_alu instid0(VALU_DEP_1) | instskip(NEXT) | instid1(VALU_DEP_1)
	v_lshl_or_b32 v0, v18, 21, v0
                                        ; implicit-def: $vgpr18
	v_add_nc_u32_e32 v0, 0x38000000, v0
.LBB4_3397:                             ;   in Loop: Header=BB4_2911 Depth=2
	s_and_not1_saveexec_b32 s25, s25
; %bb.3398:                             ;   in Loop: Header=BB4_2911 Depth=2
	v_bfe_i32 v0, v25, 0, 8
	s_delay_alu instid0(VALU_DEP_1) | instskip(SKIP_2) | instid1(VALU_DEP_2)
	v_cmp_lt_i16_e32 vcc_lo, -1, v0
	v_cndmask_b32_e32 v0, 0xff800000, v109, vcc_lo
	v_cmp_eq_u32_e32 vcc_lo, 0, v18
	v_cndmask_b32_e32 v0, 0x7f800001, v0, vcc_lo
; %bb.3399:                             ;   in Loop: Header=BB4_2911 Depth=2
	s_or_b32 exec_lo, exec_lo, s25
.LBB4_3400:                             ;   in Loop: Header=BB4_2911 Depth=2
	s_delay_alu instid0(SALU_CYCLE_1)
	s_or_b32 exec_lo, exec_lo, s24
.LBB4_3401:                             ;   in Loop: Header=BB4_2911 Depth=2
	s_delay_alu instid0(SALU_CYCLE_1) | instskip(SKIP_2) | instid1(VALU_DEP_1)
	s_or_b32 exec_lo, exec_lo, s7
	v_and_b32_e32 v18, 0xff, v21
	s_mov_b32 s7, exec_lo
	v_cmpx_ne_u16_e32 0, v18
	s_cbranch_execz .LBB4_3411
; %bb.3402:                             ;   in Loop: Header=BB4_2911 Depth=2
	v_bfrev_b32_e32 v3, 1
	s_mov_b32 s24, exec_lo
	v_cmpx_ne_u16_e32 0x80, v18
	s_cbranch_execz .LBB4_3410
; %bb.3403:                             ;   in Loop: Header=BB4_2911 Depth=2
	v_and_b32_e32 v3, 0x7c, v21
	v_and_b32_e32 v18, 3, v21
	s_delay_alu instid0(VALU_DEP_2) | instskip(SKIP_1) | instid1(SALU_CYCLE_1)
	v_cmp_ne_u32_e32 vcc_lo, 0x7c, v3
                                        ; implicit-def: $vgpr3
	s_and_saveexec_b32 s25, vcc_lo
	s_xor_b32 s25, exec_lo, s25
	s_cbranch_execz .LBB4_3407
; %bb.3404:                             ;   in Loop: Header=BB4_2911 Depth=2
	v_bfe_u32 v3, v21, 2, 5
	s_mov_b32 s26, exec_lo
	s_delay_alu instid0(VALU_DEP_1)
	v_cmpx_eq_u32_e32 0, v3
; %bb.3405:                             ;   in Loop: Header=BB4_2911 Depth=2
	v_clz_i32_u32_e32 v3, v18
	v_dual_mov_b32 v18, v21 :: v_dual_mov_b32 v19, v55
	s_delay_alu instid0(VALU_DEP_2) | instskip(NEXT) | instid1(VALU_DEP_1)
	v_min_u32_e32 v3, 32, v3
	v_subrev_nc_u32_e32 v22, 29, v3
	s_delay_alu instid0(VALU_DEP_1) | instskip(NEXT) | instid1(VALU_DEP_1)
	v_lshlrev_b64_e32 v[18:19], v22, v[18:19]
	v_dual_sub_nc_u32 v3, 30, v3 :: v_dual_bitop2_b32 v18, 3, v18 bitop3:0x40
; %bb.3406:                             ;   in Loop: Header=BB4_2911 Depth=2
	s_or_b32 exec_lo, exec_lo, s26
	v_lshlrev_b32_e32 v19, 24, v21
	s_delay_alu instid0(VALU_DEP_1) | instskip(NEXT) | instid1(VALU_DEP_1)
	v_and_b32_e32 v19, 0x80000000, v19
	v_lshl_add_u32 v3, v3, 23, v19
	s_delay_alu instid0(VALU_DEP_1) | instskip(NEXT) | instid1(VALU_DEP_1)
	v_lshl_or_b32 v3, v18, 21, v3
                                        ; implicit-def: $vgpr18
	v_add_nc_u32_e32 v3, 0x38000000, v3
.LBB4_3407:                             ;   in Loop: Header=BB4_2911 Depth=2
	s_and_not1_saveexec_b32 s25, s25
; %bb.3408:                             ;   in Loop: Header=BB4_2911 Depth=2
	v_bfe_i32 v3, v21, 0, 8
	s_delay_alu instid0(VALU_DEP_1) | instskip(SKIP_2) | instid1(VALU_DEP_2)
	v_cmp_lt_i16_e32 vcc_lo, -1, v3
	v_cndmask_b32_e32 v3, 0xff800000, v109, vcc_lo
	v_cmp_eq_u32_e32 vcc_lo, 0, v18
	v_cndmask_b32_e32 v3, 0x7f800001, v3, vcc_lo
; %bb.3409:                             ;   in Loop: Header=BB4_2911 Depth=2
	s_or_b32 exec_lo, exec_lo, s25
.LBB4_3410:                             ;   in Loop: Header=BB4_2911 Depth=2
	s_delay_alu instid0(SALU_CYCLE_1)
	s_or_b32 exec_lo, exec_lo, s24
.LBB4_3411:                             ;   in Loop: Header=BB4_2911 Depth=2
	s_delay_alu instid0(SALU_CYCLE_1) | instskip(NEXT) | instid1(VALU_DEP_1)
	s_or_b32 exec_lo, exec_lo, s7
	v_dual_mul_f32 v3, v0, v3 :: v_dual_mov_b32 v23, v55
	v_mov_b32_e32 v19, v55
                                        ; implicit-def: $vgpr42
	s_mov_b32 s7, exec_lo
	s_delay_alu instid0(VALU_DEP_2) | instskip(SKIP_2) | instid1(VALU_DEP_3)
	v_and_b32_e32 v22, 0x7f800000, v3
	v_and_b32_e32 v18, 0x7fffff, v3
	v_lshrrev_b32_e32 v0, 24, v3
	v_cmpx_ne_u64_e32 0x7f800000, v[22:23]
	s_xor_b32 s24, exec_lo, s7
	s_cbranch_execz .LBB4_3425
; %bb.3412:                             ;   in Loop: Header=BB4_2911 Depth=2
	v_and_b32_e32 v22, 0x7fffffff, v3
	v_mov_b32_e32 v23, v55
	v_and_b32_e32 v0, 0x80, v0
                                        ; implicit-def: $vgpr42
	s_mov_b32 s7, exec_lo
	s_delay_alu instid0(VALU_DEP_2)
	v_cmpx_gt_u64_e32 0x47600001, v[22:23]
	s_xor_b32 s25, exec_lo, s7
	s_cbranch_execz .LBB4_3422
; %bb.3413:                             ;   in Loop: Header=BB4_2911 Depth=2
	v_mov_b32_e32 v42, 0
	s_mov_b32 s26, exec_lo
	v_cmpx_ne_u32_e32 0, v3
	s_cbranch_execz .LBB4_3421
; %bb.3414:                             ;   in Loop: Header=BB4_2911 Depth=2
	v_bfe_u32 v3, v3, 23, 8
	v_or_b32_e32 v43, 0x800000, v18
	s_delay_alu instid0(VALU_DEP_2) | instskip(SKIP_1) | instid1(VALU_DEP_2)
	v_sub_nc_u32_e32 v22, 0x71, v3
	v_cmp_gt_u32_e32 vcc_lo, 0x72, v3
	v_cndmask_b32_e32 v22, 0, v22, vcc_lo
	v_cmp_eq_u32_e32 vcc_lo, 0, v3
	s_delay_alu instid0(VALU_DEP_2) | instskip(SKIP_1) | instid1(VALU_DEP_2)
	v_cndmask_b32_e64 v42, v22, 0x70, vcc_lo
	v_cndmask_b32_e32 v18, v43, v18, vcc_lo
	v_dual_add_nc_u32 v22, 21, v42 :: v_dual_add_nc_u32 v44, 20, v42
	s_delay_alu instid0(VALU_DEP_1) | instskip(NEXT) | instid1(VALU_DEP_2)
	v_lshlrev_b64_e64 v[22:23], v22, -1
	v_lshlrev_b64_e64 v[44:45], v44, 1
	s_delay_alu instid0(VALU_DEP_2) | instskip(SKIP_1) | instid1(VALU_DEP_4)
	v_bfi_b32 v22, v22, 0, v18
	v_lshrrev_b64 v[18:19], v42, v[18:19]
	v_bfi_b32 v23, v23, 0, 0
	s_delay_alu instid0(VALU_DEP_1) | instskip(NEXT) | instid1(VALU_DEP_3)
	v_cmp_eq_u64_e64 s7, v[22:23], v[44:45]
	v_mov_b64_e32 v[22:23], v[18:19]
	s_and_saveexec_b32 s27, s7
; %bb.3415:                             ;   in Loop: Header=BB4_2911 Depth=2
	v_bfe_u32 v22, v18, 21, 1
	v_mov_b32_e32 v23, v55
	s_delay_alu instid0(VALU_DEP_1) | instskip(NEXT) | instid1(VALU_DEP_1)
	v_add_nc_u64_e32 v[22:23], v[18:19], v[22:23]
	v_add_nc_u64_e32 v[22:23], -1, v[22:23]
; %bb.3416:                             ;   in Loop: Header=BB4_2911 Depth=2
	s_or_b32 exec_lo, exec_lo, s27
	v_add_nc_u32_e32 v3, 0xffffff81, v3
	v_lshrrev_b32_e32 v19, 23, v18
	s_mov_b32 s7, exec_lo
	s_delay_alu instid0(VALU_DEP_2) | instskip(NEXT) | instid1(VALU_DEP_1)
	v_cndmask_b32_e64 v3, v3, 0xffffff82, vcc_lo
	v_add3_u32 v23, v42, v3, v19
	v_and_b32_e32 v3, 0x1fffff, v22
	s_delay_alu instid0(VALU_DEP_2) | instskip(NEXT) | instid1(VALU_DEP_2)
	v_dual_mov_b32 v19, v55 :: v_dual_add_nc_u32 v22, 14, v23
	v_add_nc_u32_e32 v18, v3, v18
                                        ; implicit-def: $vgpr3
	s_delay_alu instid0(VALU_DEP_2)
	v_cmpx_ne_u32_e32 0, v22
	s_xor_b32 s7, exec_lo, s7
; %bb.3417:                             ;   in Loop: Header=BB4_2911 Depth=2
	s_delay_alu instid0(VALU_DEP_2) | instskip(SKIP_1) | instid1(VALU_DEP_1)
	v_cmp_lt_u64_e32 vcc_lo, 0xffffff, v[18:19]
	v_add_nc_u32_e32 v3, 15, v23
	v_cndmask_b32_e32 v3, v22, v3, vcc_lo
	v_cndmask_b32_e64 v22, 0, 1, vcc_lo
	s_delay_alu instid0(VALU_DEP_1)
	v_lshrrev_b64 v[18:19], v22, v[18:19]
; %bb.3418:                             ;   in Loop: Header=BB4_2911 Depth=2
	s_and_not1_saveexec_b32 s7, s7
; %bb.3419:                             ;   in Loop: Header=BB4_2911 Depth=2
	s_delay_alu instid0(VALU_DEP_1)
	v_bfe_u32 v3, v18, 23, 1
; %bb.3420:                             ;   in Loop: Header=BB4_2911 Depth=2
	s_or_b32 exec_lo, exec_lo, s7
	s_delay_alu instid0(VALU_DEP_2) | instskip(NEXT) | instid1(VALU_DEP_2)
	v_lshrrev_b64 v[18:19], 21, v[18:19]
	v_cmp_gt_i32_e32 vcc_lo, 32, v3
	v_min_i32_e32 v22, 31, v3
	v_cmp_eq_u32_e64 s7, 0, v3
	s_delay_alu instid0(VALU_DEP_4) | instskip(NEXT) | instid1(VALU_DEP_3)
	v_cndmask_b32_e32 v18, 3, v18, vcc_lo
	v_dual_cndmask_b32 v19, 0, v19 :: v_dual_lshlrev_b32 v22, 2, v22
	s_delay_alu instid0(VALU_DEP_1) | instskip(NEXT) | instid1(VALU_DEP_2)
	v_and_b32_e32 v22, 0xfc, v22
	v_cmp_eq_u64_e32 vcc_lo, 0, v[18:19]
	s_delay_alu instid0(VALU_DEP_2)
	v_and_or_b32 v3, v18, 3, v22
	s_and_b32 s7, s7, vcc_lo
	s_delay_alu instid0(VALU_DEP_1) | instid1(SALU_CYCLE_1)
	v_cndmask_b32_e64 v3, v3, 0, s7
	s_delay_alu instid0(VALU_DEP_1)
	v_or_b32_e32 v42, v3, v0
.LBB4_3421:                             ;   in Loop: Header=BB4_2911 Depth=2
	s_or_b32 exec_lo, exec_lo, s26
                                        ; implicit-def: $vgpr0
.LBB4_3422:                             ;   in Loop: Header=BB4_2911 Depth=2
	s_and_not1_saveexec_b32 s7, s25
; %bb.3423:                             ;   in Loop: Header=BB4_2911 Depth=2
	v_or_b32_e32 v42, 0x7b, v0
; %bb.3424:                             ;   in Loop: Header=BB4_2911 Depth=2
	s_or_b32 exec_lo, exec_lo, s7
                                        ; implicit-def: $vgpr3
                                        ; implicit-def: $vgpr18_vgpr19
                                        ; implicit-def: $vgpr0
.LBB4_3425:                             ;   in Loop: Header=BB4_2911 Depth=2
	s_and_not1_saveexec_b32 s7, s24
	s_cbranch_execz .LBB4_3431
; %bb.3426:                             ;   in Loop: Header=BB4_2911 Depth=2
	s_mov_b32 s24, exec_lo
                                        ; implicit-def: $vgpr42
	v_cmpx_ne_u64_e32 0, v[18:19]
	s_xor_b32 s24, exec_lo, s24
; %bb.3427:                             ;   in Loop: Header=BB4_2911 Depth=2
	v_or_b32_e32 v42, 0x7f, v0
                                        ; implicit-def: $vgpr3
; %bb.3428:                             ;   in Loop: Header=BB4_2911 Depth=2
	s_and_not1_saveexec_b32 s24, s24
; %bb.3429:                             ;   in Loop: Header=BB4_2911 Depth=2
	v_cmp_lt_i32_e32 vcc_lo, -1, v3
	v_cndmask_b32_e32 v42, 0xfc, v110, vcc_lo
; %bb.3430:                             ;   in Loop: Header=BB4_2911 Depth=2
	s_or_b32 exec_lo, exec_lo, s24
.LBB4_3431:                             ;   in Loop: Header=BB4_2911 Depth=2
	s_delay_alu instid0(SALU_CYCLE_1) | instskip(SKIP_3) | instid1(VALU_DEP_2)
	s_or_b32 exec_lo, exec_lo, s7
	v_lshrrev_b16 v18, 8, v54
	v_dual_mov_b32 v0, 0 :: v_dual_mov_b32 v3, 0
	s_mov_b32 s7, exec_lo
	v_cmpx_ne_u16_e32 0, v18
	s_cbranch_execz .LBB4_3441
; %bb.3432:                             ;   in Loop: Header=BB4_2911 Depth=2
	v_bfrev_b32_e32 v3, 1
	s_mov_b32 s24, exec_lo
	v_cmpx_ne_u16_e32 0x80, v18
	s_cbranch_execz .LBB4_3440
; %bb.3433:                             ;   in Loop: Header=BB4_2911 Depth=2
	v_and_b32_e32 v22, 0xffff, v18
	s_delay_alu instid0(VALU_DEP_1) | instskip(SKIP_1) | instid1(VALU_DEP_2)
	v_and_b32_e32 v3, 0x7c, v22
	v_and_b32_e32 v19, 3, v22
	v_cmp_ne_u32_e32 vcc_lo, 0x7c, v3
                                        ; implicit-def: $vgpr3
	s_and_saveexec_b32 s25, vcc_lo
	s_delay_alu instid0(SALU_CYCLE_1)
	s_xor_b32 s25, exec_lo, s25
	s_cbranch_execz .LBB4_3437
; %bb.3434:                             ;   in Loop: Header=BB4_2911 Depth=2
	v_bfe_u32 v3, v22, 2, 5
	s_mov_b32 s26, exec_lo
	s_delay_alu instid0(VALU_DEP_1)
	v_cmpx_eq_u32_e32 0, v3
	s_cbranch_execz .LBB4_3436
; %bb.3435:                             ;   in Loop: Header=BB4_2911 Depth=2
	v_clz_i32_u32_e32 v3, v19
	s_delay_alu instid0(VALU_DEP_1) | instskip(SKIP_1) | instid1(VALU_DEP_2)
	v_min_u32_e32 v3, 32, v3
	v_mov_b32_e32 v19, v55
	v_subrev_nc_u32_e32 v22, 29, v3
	v_sub_nc_u32_e32 v3, 30, v3
	s_delay_alu instid0(VALU_DEP_2) | instskip(NEXT) | instid1(VALU_DEP_1)
	v_lshlrev_b64_e32 v[18:19], v22, v[18:19]
	v_and_b32_e32 v19, 3, v18
.LBB4_3436:                             ;   in Loop: Header=BB4_2911 Depth=2
	s_or_b32 exec_lo, exec_lo, s26
	v_lshlrev_b32_e32 v18, 16, v54
	s_delay_alu instid0(VALU_DEP_1) | instskip(NEXT) | instid1(VALU_DEP_1)
	v_and_b32_e32 v18, 0x80000000, v18
	v_lshl_add_u32 v3, v3, 23, v18
	s_delay_alu instid0(VALU_DEP_1) | instskip(NEXT) | instid1(VALU_DEP_1)
	v_lshl_or_b32 v3, v19, 21, v3
                                        ; implicit-def: $vgpr19
	v_add_nc_u32_e32 v3, 0x38000000, v3
.LBB4_3437:                             ;   in Loop: Header=BB4_2911 Depth=2
	s_and_not1_saveexec_b32 s25, s25
; %bb.3438:                             ;   in Loop: Header=BB4_2911 Depth=2
	v_cmp_lt_i16_e32 vcc_lo, -1, v54
	v_cndmask_b32_e32 v3, 0xff800000, v109, vcc_lo
	v_cmp_eq_u32_e32 vcc_lo, 0, v19
	s_delay_alu instid0(VALU_DEP_2)
	v_cndmask_b32_e32 v3, 0x7f800001, v3, vcc_lo
; %bb.3439:                             ;   in Loop: Header=BB4_2911 Depth=2
	s_or_b32 exec_lo, exec_lo, s25
.LBB4_3440:                             ;   in Loop: Header=BB4_2911 Depth=2
	s_delay_alu instid0(SALU_CYCLE_1)
	s_or_b32 exec_lo, exec_lo, s24
.LBB4_3441:                             ;   in Loop: Header=BB4_2911 Depth=2
	s_delay_alu instid0(SALU_CYCLE_1) | instskip(SKIP_2) | instid1(VALU_DEP_1)
	s_or_b32 exec_lo, exec_lo, s7
	v_lshrrev_b16 v54, 8, v21
	s_mov_b32 s7, exec_lo
	v_cmpx_ne_u16_e32 0, v54
	s_cbranch_execz .LBB4_3451
; %bb.3442:                             ;   in Loop: Header=BB4_2911 Depth=2
	v_bfrev_b32_e32 v0, 1
	s_mov_b32 s24, exec_lo
	v_cmpx_ne_u16_e32 0x80, v54
	s_cbranch_execz .LBB4_3450
; %bb.3443:                             ;   in Loop: Header=BB4_2911 Depth=2
	v_and_b32_e32 v19, 0xffff, v54
	s_delay_alu instid0(VALU_DEP_1) | instskip(SKIP_1) | instid1(VALU_DEP_2)
	v_and_b32_e32 v0, 0x7c, v19
	v_and_b32_e32 v18, 3, v19
	v_cmp_ne_u32_e32 vcc_lo, 0x7c, v0
                                        ; implicit-def: $vgpr0
	s_and_saveexec_b32 s25, vcc_lo
	s_delay_alu instid0(SALU_CYCLE_1)
	s_xor_b32 s25, exec_lo, s25
	s_cbranch_execz .LBB4_3447
; %bb.3444:                             ;   in Loop: Header=BB4_2911 Depth=2
	v_bfe_u32 v0, v19, 2, 5
	s_mov_b32 s26, exec_lo
	s_delay_alu instid0(VALU_DEP_1)
	v_cmpx_eq_u32_e32 0, v0
; %bb.3445:                             ;   in Loop: Header=BB4_2911 Depth=2
	v_clz_i32_u32_e32 v0, v18
	s_delay_alu instid0(VALU_DEP_1) | instskip(NEXT) | instid1(VALU_DEP_1)
	v_min_u32_e32 v0, 32, v0
	v_subrev_nc_u32_e32 v18, 29, v0
	s_delay_alu instid0(VALU_DEP_1) | instskip(NEXT) | instid1(VALU_DEP_1)
	v_lshlrev_b64_e32 v[18:19], v18, v[54:55]
	v_dual_sub_nc_u32 v0, 30, v0 :: v_dual_bitop2_b32 v18, 3, v18 bitop3:0x40
; %bb.3446:                             ;   in Loop: Header=BB4_2911 Depth=2
	s_or_b32 exec_lo, exec_lo, s26
	v_lshlrev_b32_e32 v19, 16, v21
	s_delay_alu instid0(VALU_DEP_1) | instskip(NEXT) | instid1(VALU_DEP_1)
	v_and_b32_e32 v19, 0x80000000, v19
	v_lshl_add_u32 v0, v0, 23, v19
	s_delay_alu instid0(VALU_DEP_1) | instskip(NEXT) | instid1(VALU_DEP_1)
	v_lshl_or_b32 v0, v18, 21, v0
                                        ; implicit-def: $vgpr18
	v_add_nc_u32_e32 v0, 0x38000000, v0
.LBB4_3447:                             ;   in Loop: Header=BB4_2911 Depth=2
	s_and_not1_saveexec_b32 s25, s25
; %bb.3448:                             ;   in Loop: Header=BB4_2911 Depth=2
	v_cmp_lt_i16_e32 vcc_lo, -1, v21
	v_cndmask_b32_e32 v0, 0xff800000, v109, vcc_lo
	v_cmp_eq_u32_e32 vcc_lo, 0, v18
	s_delay_alu instid0(VALU_DEP_2)
	v_cndmask_b32_e32 v0, 0x7f800001, v0, vcc_lo
; %bb.3449:                             ;   in Loop: Header=BB4_2911 Depth=2
	s_or_b32 exec_lo, exec_lo, s25
.LBB4_3450:                             ;   in Loop: Header=BB4_2911 Depth=2
	s_delay_alu instid0(SALU_CYCLE_1)
	s_or_b32 exec_lo, exec_lo, s24
.LBB4_3451:                             ;   in Loop: Header=BB4_2911 Depth=2
	s_delay_alu instid0(SALU_CYCLE_1) | instskip(NEXT) | instid1(VALU_DEP_1)
	s_or_b32 exec_lo, exec_lo, s7
	v_mul_f32_e32 v3, v3, v0
	v_mov_b32_e32 v19, v55
                                        ; implicit-def: $vgpr43
	s_mov_b32 s7, exec_lo
	s_delay_alu instid0(VALU_DEP_2) | instskip(SKIP_2) | instid1(VALU_DEP_3)
	v_and_b32_e32 v18, 0x7f800000, v3
	v_and_b32_e32 v54, 0x7fffff, v3
	v_lshrrev_b32_e32 v0, 24, v3
	v_cmpx_ne_u64_e32 0x7f800000, v[18:19]
	s_xor_b32 s24, exec_lo, s7
	s_cbranch_execz .LBB4_3465
; %bb.3452:                             ;   in Loop: Header=BB4_2911 Depth=2
	v_and_b32_e32 v18, 0x7fffffff, v3
	v_mov_b32_e32 v19, v55
	v_and_b32_e32 v0, 0x80, v0
                                        ; implicit-def: $vgpr43
	s_mov_b32 s7, exec_lo
	s_delay_alu instid0(VALU_DEP_2)
	v_cmpx_gt_u64_e32 0x47600001, v[18:19]
	s_xor_b32 s25, exec_lo, s7
	s_cbranch_execz .LBB4_3462
; %bb.3453:                             ;   in Loop: Header=BB4_2911 Depth=2
	v_mov_b32_e32 v43, 0
	s_mov_b32 s26, exec_lo
	v_cmpx_ne_u32_e32 0, v3
	s_cbranch_execz .LBB4_3461
; %bb.3454:                             ;   in Loop: Header=BB4_2911 Depth=2
	v_bfe_u32 v3, v3, 23, 8
	v_or_b32_e32 v22, 0x800000, v54
	s_delay_alu instid0(VALU_DEP_2) | instskip(SKIP_1) | instid1(VALU_DEP_2)
	v_sub_nc_u32_e32 v18, 0x71, v3
	v_cmp_gt_u32_e32 vcc_lo, 0x72, v3
	v_cndmask_b32_e32 v18, 0, v18, vcc_lo
	v_cmp_eq_u32_e32 vcc_lo, 0, v3
	s_delay_alu instid0(VALU_DEP_2) | instskip(NEXT) | instid1(VALU_DEP_1)
	v_cndmask_b32_e64 v43, v18, 0x70, vcc_lo
	v_dual_cndmask_b32 v54, v22, v54, vcc_lo :: v_dual_add_nc_u32 v18, 21, v43
	v_add_nc_u32_e32 v23, 20, v43
	s_delay_alu instid0(VALU_DEP_2) | instskip(NEXT) | instid1(VALU_DEP_2)
	v_lshlrev_b64_e64 v[18:19], v18, -1
	v_lshlrev_b64_e64 v[22:23], v23, 1
	s_delay_alu instid0(VALU_DEP_2) | instskip(NEXT) | instid1(VALU_DEP_3)
	v_bfi_b32 v45, v19, 0, 0
	v_bfi_b32 v44, v18, 0, v54
	v_lshrrev_b64 v[18:19], v43, v[54:55]
	s_delay_alu instid0(VALU_DEP_2) | instskip(NEXT) | instid1(VALU_DEP_2)
	v_cmp_eq_u64_e64 s7, v[44:45], v[22:23]
	v_mov_b64_e32 v[22:23], v[18:19]
	s_and_saveexec_b32 s27, s7
; %bb.3455:                             ;   in Loop: Header=BB4_2911 Depth=2
	v_bfe_u32 v54, v18, 21, 1
	s_delay_alu instid0(VALU_DEP_1) | instskip(NEXT) | instid1(VALU_DEP_1)
	v_add_nc_u64_e32 v[22:23], v[18:19], v[54:55]
	v_add_nc_u64_e32 v[22:23], -1, v[22:23]
; %bb.3456:                             ;   in Loop: Header=BB4_2911 Depth=2
	s_or_b32 exec_lo, exec_lo, s27
	v_add_nc_u32_e32 v3, 0xffffff81, v3
	v_lshrrev_b32_e32 v19, 23, v18
	s_mov_b32 s7, exec_lo
	s_delay_alu instid0(VALU_DEP_2) | instskip(NEXT) | instid1(VALU_DEP_1)
	v_cndmask_b32_e64 v3, v3, 0xffffff82, vcc_lo
	v_add3_u32 v23, v43, v3, v19
	v_and_b32_e32 v3, 0x1fffff, v22
	s_delay_alu instid0(VALU_DEP_1) | instskip(NEXT) | instid1(VALU_DEP_1)
	v_dual_add_nc_u32 v22, 14, v23 :: v_dual_add_nc_u32 v54, v3, v18
                                        ; implicit-def: $vgpr18_vgpr19
                                        ; implicit-def: $vgpr3
	v_cmpx_ne_u32_e32 0, v22
	s_xor_b32 s7, exec_lo, s7
; %bb.3457:                             ;   in Loop: Header=BB4_2911 Depth=2
	s_delay_alu instid0(VALU_DEP_2) | instskip(SKIP_2) | instid1(VALU_DEP_2)
	v_cmp_lt_u64_e32 vcc_lo, 0xffffff, v[54:55]
	v_add_nc_u32_e32 v3, 15, v23
	v_cndmask_b32_e64 v18, 0, 1, vcc_lo
	v_cndmask_b32_e32 v3, v22, v3, vcc_lo
	s_delay_alu instid0(VALU_DEP_2)
	v_lshrrev_b64 v[18:19], v18, v[54:55]
; %bb.3458:                             ;   in Loop: Header=BB4_2911 Depth=2
	s_and_not1_saveexec_b32 s7, s7
; %bb.3459:                             ;   in Loop: Header=BB4_2911 Depth=2
	v_mov_b64_e32 v[18:19], v[54:55]
	v_bfe_u32 v3, v54, 23, 1
; %bb.3460:                             ;   in Loop: Header=BB4_2911 Depth=2
	s_or_b32 exec_lo, exec_lo, s7
	s_delay_alu instid0(VALU_DEP_2) | instskip(NEXT) | instid1(VALU_DEP_2)
	v_lshrrev_b64 v[18:19], 21, v[18:19]
	v_cmp_gt_i32_e32 vcc_lo, 32, v3
	v_min_i32_e32 v22, 31, v3
	v_cmp_eq_u32_e64 s7, 0, v3
	s_delay_alu instid0(VALU_DEP_4) | instskip(NEXT) | instid1(VALU_DEP_3)
	v_cndmask_b32_e32 v18, 3, v18, vcc_lo
	v_dual_cndmask_b32 v19, 0, v19 :: v_dual_lshlrev_b32 v22, 2, v22
	s_delay_alu instid0(VALU_DEP_1) | instskip(NEXT) | instid1(VALU_DEP_2)
	v_and_b32_e32 v22, 0xfc, v22
	v_cmp_eq_u64_e32 vcc_lo, 0, v[18:19]
	s_delay_alu instid0(VALU_DEP_2)
	v_and_or_b32 v3, v18, 3, v22
	s_and_b32 s7, s7, vcc_lo
	s_delay_alu instid0(VALU_DEP_1) | instid1(SALU_CYCLE_1)
	v_cndmask_b32_e64 v3, v3, 0, s7
	s_delay_alu instid0(VALU_DEP_1)
	v_or_b32_e32 v43, v3, v0
.LBB4_3461:                             ;   in Loop: Header=BB4_2911 Depth=2
	s_or_b32 exec_lo, exec_lo, s26
                                        ; implicit-def: $vgpr0
.LBB4_3462:                             ;   in Loop: Header=BB4_2911 Depth=2
	s_and_not1_saveexec_b32 s7, s25
; %bb.3463:                             ;   in Loop: Header=BB4_2911 Depth=2
	v_or_b32_e32 v43, 0x7b, v0
; %bb.3464:                             ;   in Loop: Header=BB4_2911 Depth=2
	s_or_b32 exec_lo, exec_lo, s7
                                        ; implicit-def: $vgpr3
                                        ; implicit-def: $vgpr0
.LBB4_3465:                             ;   in Loop: Header=BB4_2911 Depth=2
	s_and_not1_saveexec_b32 s7, s24
	s_cbranch_execz .LBB4_3471
; %bb.3466:                             ;   in Loop: Header=BB4_2911 Depth=2
	s_mov_b32 s24, exec_lo
                                        ; implicit-def: $vgpr43
	v_cmpx_ne_u64_e32 0, v[54:55]
	s_xor_b32 s24, exec_lo, s24
; %bb.3467:                             ;   in Loop: Header=BB4_2911 Depth=2
	v_or_b32_e32 v43, 0x7f, v0
                                        ; implicit-def: $vgpr3
; %bb.3468:                             ;   in Loop: Header=BB4_2911 Depth=2
	s_and_not1_saveexec_b32 s24, s24
; %bb.3469:                             ;   in Loop: Header=BB4_2911 Depth=2
	v_cmp_lt_i32_e32 vcc_lo, -1, v3
	v_cndmask_b32_e32 v43, 0xfc, v110, vcc_lo
; %bb.3470:                             ;   in Loop: Header=BB4_2911 Depth=2
	s_or_b32 exec_lo, exec_lo, s24
.LBB4_3471:                             ;   in Loop: Header=BB4_2911 Depth=2
	s_delay_alu instid0(SALU_CYCLE_1) | instskip(SKIP_3) | instid1(VALU_DEP_2)
	s_or_b32 exec_lo, exec_lo, s7
	v_dual_lshrrev_b32 v18, 16, v25 :: v_dual_mov_b32 v0, 0
	v_mov_b32_e32 v3, 0
	s_mov_b32 s7, exec_lo
	v_and_b32_e32 v19, 0xff, v18
	s_delay_alu instid0(VALU_DEP_1)
	v_cmpx_ne_u16_e32 0, v19
	s_cbranch_execz .LBB4_3481
; %bb.3472:                             ;   in Loop: Header=BB4_2911 Depth=2
	v_bfrev_b32_e32 v3, 1
	s_mov_b32 s24, exec_lo
	v_cmpx_ne_u16_e32 0x80, v19
	s_cbranch_execz .LBB4_3480
; %bb.3473:                             ;   in Loop: Header=BB4_2911 Depth=2
	v_and_b32_e32 v3, 0x7c0000, v25
	v_bfe_u32 v19, v25, 16, 2
	s_delay_alu instid0(VALU_DEP_2) | instskip(SKIP_1) | instid1(SALU_CYCLE_1)
	v_cmp_ne_u32_e32 vcc_lo, 0x7c0000, v3
                                        ; implicit-def: $vgpr3
	s_and_saveexec_b32 s25, vcc_lo
	s_xor_b32 s25, exec_lo, s25
	s_cbranch_execz .LBB4_3477
; %bb.3474:                             ;   in Loop: Header=BB4_2911 Depth=2
	v_bfe_u32 v3, v25, 18, 5
	s_mov_b32 s26, exec_lo
	s_delay_alu instid0(VALU_DEP_1)
	v_cmpx_eq_u32_e32 0, v3
; %bb.3475:                             ;   in Loop: Header=BB4_2911 Depth=2
	v_clz_i32_u32_e32 v3, v19
	s_delay_alu instid0(VALU_DEP_1) | instskip(NEXT) | instid1(VALU_DEP_1)
	v_min_u32_e32 v3, 32, v3
	v_subrev_nc_u32_e32 v19, 29, v3
	s_delay_alu instid0(VALU_DEP_1) | instskip(NEXT) | instid1(VALU_DEP_1)
	v_lshlrev_b64_e32 v[22:23], v19, v[18:19]
	v_dual_sub_nc_u32 v3, 30, v3 :: v_dual_bitop2_b32 v19, 3, v22 bitop3:0x40
; %bb.3476:                             ;   in Loop: Header=BB4_2911 Depth=2
	s_or_b32 exec_lo, exec_lo, s26
	v_lshlrev_b32_e32 v18, 24, v18
	s_delay_alu instid0(VALU_DEP_1) | instskip(NEXT) | instid1(VALU_DEP_1)
	v_and_b32_e32 v18, 0x80000000, v18
	v_lshl_add_u32 v3, v3, 23, v18
                                        ; implicit-def: $vgpr18
	s_delay_alu instid0(VALU_DEP_1) | instskip(NEXT) | instid1(VALU_DEP_1)
	v_lshl_or_b32 v3, v19, 21, v3
                                        ; implicit-def: $vgpr19
	v_add_nc_u32_e32 v3, 0x38000000, v3
.LBB4_3477:                             ;   in Loop: Header=BB4_2911 Depth=2
	s_and_not1_saveexec_b32 s25, s25
; %bb.3478:                             ;   in Loop: Header=BB4_2911 Depth=2
	v_bfe_i32 v3, v18, 0, 8
	s_delay_alu instid0(VALU_DEP_1) | instskip(SKIP_2) | instid1(VALU_DEP_2)
	v_cmp_lt_i16_e32 vcc_lo, -1, v3
	v_cndmask_b32_e32 v3, 0xff800000, v109, vcc_lo
	v_cmp_eq_u32_e32 vcc_lo, 0, v19
	v_cndmask_b32_e32 v3, 0x7f800001, v3, vcc_lo
; %bb.3479:                             ;   in Loop: Header=BB4_2911 Depth=2
	s_or_b32 exec_lo, exec_lo, s25
.LBB4_3480:                             ;   in Loop: Header=BB4_2911 Depth=2
	s_delay_alu instid0(SALU_CYCLE_1)
	s_or_b32 exec_lo, exec_lo, s24
.LBB4_3481:                             ;   in Loop: Header=BB4_2911 Depth=2
	s_delay_alu instid0(SALU_CYCLE_1) | instskip(SKIP_2) | instid1(VALU_DEP_1)
	s_or_b32 exec_lo, exec_lo, s7
	v_lshrrev_b32_e32 v18, 16, v21
	s_mov_b32 s7, exec_lo
	v_and_b32_e32 v19, 0xff, v18
	s_delay_alu instid0(VALU_DEP_1)
	v_cmpx_ne_u16_e32 0, v19
	s_cbranch_execz .LBB4_3491
; %bb.3482:                             ;   in Loop: Header=BB4_2911 Depth=2
	v_bfrev_b32_e32 v0, 1
	s_mov_b32 s24, exec_lo
	v_cmpx_ne_u16_e32 0x80, v19
	s_cbranch_execz .LBB4_3490
; %bb.3483:                             ;   in Loop: Header=BB4_2911 Depth=2
	v_and_b32_e32 v0, 0x7c0000, v21
	v_bfe_u32 v19, v21, 16, 2
	s_delay_alu instid0(VALU_DEP_2) | instskip(SKIP_1) | instid1(SALU_CYCLE_1)
	v_cmp_ne_u32_e32 vcc_lo, 0x7c0000, v0
                                        ; implicit-def: $vgpr0
	s_and_saveexec_b32 s25, vcc_lo
	s_xor_b32 s25, exec_lo, s25
	s_cbranch_execz .LBB4_3487
; %bb.3484:                             ;   in Loop: Header=BB4_2911 Depth=2
	v_bfe_u32 v0, v21, 18, 5
	s_mov_b32 s26, exec_lo
	s_delay_alu instid0(VALU_DEP_1)
	v_cmpx_eq_u32_e32 0, v0
; %bb.3485:                             ;   in Loop: Header=BB4_2911 Depth=2
	v_clz_i32_u32_e32 v0, v19
	s_delay_alu instid0(VALU_DEP_1) | instskip(NEXT) | instid1(VALU_DEP_1)
	v_min_u32_e32 v0, 32, v0
	v_subrev_nc_u32_e32 v19, 29, v0
	s_delay_alu instid0(VALU_DEP_1) | instskip(NEXT) | instid1(VALU_DEP_1)
	v_lshlrev_b64_e32 v[22:23], v19, v[18:19]
	v_dual_sub_nc_u32 v0, 30, v0 :: v_dual_bitop2_b32 v19, 3, v22 bitop3:0x40
; %bb.3486:                             ;   in Loop: Header=BB4_2911 Depth=2
	s_or_b32 exec_lo, exec_lo, s26
	v_lshlrev_b32_e32 v18, 24, v18
	s_delay_alu instid0(VALU_DEP_1) | instskip(NEXT) | instid1(VALU_DEP_1)
	v_and_b32_e32 v18, 0x80000000, v18
	v_lshl_add_u32 v0, v0, 23, v18
                                        ; implicit-def: $vgpr18
	s_delay_alu instid0(VALU_DEP_1) | instskip(NEXT) | instid1(VALU_DEP_1)
	v_lshl_or_b32 v0, v19, 21, v0
                                        ; implicit-def: $vgpr19
	v_add_nc_u32_e32 v0, 0x38000000, v0
.LBB4_3487:                             ;   in Loop: Header=BB4_2911 Depth=2
	s_and_not1_saveexec_b32 s25, s25
; %bb.3488:                             ;   in Loop: Header=BB4_2911 Depth=2
	v_bfe_i32 v0, v18, 0, 8
	s_delay_alu instid0(VALU_DEP_1) | instskip(SKIP_2) | instid1(VALU_DEP_2)
	v_cmp_lt_i16_e32 vcc_lo, -1, v0
	v_cndmask_b32_e32 v0, 0xff800000, v109, vcc_lo
	v_cmp_eq_u32_e32 vcc_lo, 0, v19
	v_cndmask_b32_e32 v0, 0x7f800001, v0, vcc_lo
; %bb.3489:                             ;   in Loop: Header=BB4_2911 Depth=2
	s_or_b32 exec_lo, exec_lo, s25
.LBB4_3490:                             ;   in Loop: Header=BB4_2911 Depth=2
	s_delay_alu instid0(SALU_CYCLE_1)
	s_or_b32 exec_lo, exec_lo, s24
.LBB4_3491:                             ;   in Loop: Header=BB4_2911 Depth=2
	s_delay_alu instid0(SALU_CYCLE_1) | instskip(NEXT) | instid1(VALU_DEP_1)
	s_or_b32 exec_lo, exec_lo, s7
	v_mul_f32_e32 v18, v3, v0
	v_mov_b32_e32 v23, v55
                                        ; implicit-def: $vgpr0
	s_mov_b32 s7, exec_lo
	s_delay_alu instid0(VALU_DEP_2) | instskip(SKIP_2) | instid1(VALU_DEP_3)
	v_and_b32_e32 v22, 0x7f800000, v18
	v_and_b32_e32 v54, 0x7fffff, v18
	v_lshrrev_b32_e32 v3, 24, v18
	v_cmpx_ne_u64_e32 0x7f800000, v[22:23]
	s_xor_b32 s24, exec_lo, s7
	s_cbranch_execz .LBB4_3505
; %bb.3492:                             ;   in Loop: Header=BB4_2911 Depth=2
	v_and_b32_e32 v22, 0x7fffffff, v18
	v_mov_b32_e32 v23, v55
	v_and_b32_e32 v3, 0x80, v3
                                        ; implicit-def: $vgpr0
	s_mov_b32 s7, exec_lo
	s_delay_alu instid0(VALU_DEP_2)
	v_cmpx_gt_u64_e32 0x47600001, v[22:23]
	s_xor_b32 s25, exec_lo, s7
	s_cbranch_execz .LBB4_3502
; %bb.3493:                             ;   in Loop: Header=BB4_2911 Depth=2
	v_mov_b32_e32 v0, 0
	s_mov_b32 s26, exec_lo
	v_cmpx_ne_u32_e32 0, v18
	s_cbranch_execz .LBB4_3501
; %bb.3494:                             ;   in Loop: Header=BB4_2911 Depth=2
	v_bfe_u32 v0, v18, 23, 8
	v_or_b32_e32 v22, 0x800000, v54
	s_delay_alu instid0(VALU_DEP_2) | instskip(SKIP_1) | instid1(VALU_DEP_2)
	v_sub_nc_u32_e32 v18, 0x71, v0
	v_cmp_gt_u32_e32 vcc_lo, 0x72, v0
	v_cndmask_b32_e32 v18, 0, v18, vcc_lo
	v_cmp_eq_u32_e32 vcc_lo, 0, v0
	s_delay_alu instid0(VALU_DEP_2) | instskip(NEXT) | instid1(VALU_DEP_1)
	v_cndmask_b32_e64 v44, v18, 0x70, vcc_lo
	v_dual_cndmask_b32 v54, v22, v54, vcc_lo :: v_dual_add_nc_u32 v18, 21, v44
	v_add_nc_u32_e32 v23, 20, v44
	s_delay_alu instid0(VALU_DEP_2) | instskip(NEXT) | instid1(VALU_DEP_2)
	v_lshlrev_b64_e64 v[18:19], v18, -1
	v_lshlrev_b64_e64 v[22:23], v23, 1
	s_delay_alu instid0(VALU_DEP_2) | instskip(NEXT) | instid1(VALU_DEP_3)
	v_bfi_b32 v47, v19, 0, 0
	v_bfi_b32 v46, v18, 0, v54
	v_lshrrev_b64 v[18:19], v44, v[54:55]
	s_delay_alu instid0(VALU_DEP_2) | instskip(NEXT) | instid1(VALU_DEP_2)
	v_cmp_eq_u64_e64 s7, v[46:47], v[22:23]
	v_mov_b64_e32 v[22:23], v[18:19]
	s_and_saveexec_b32 s27, s7
; %bb.3495:                             ;   in Loop: Header=BB4_2911 Depth=2
	v_bfe_u32 v54, v18, 21, 1
	s_delay_alu instid0(VALU_DEP_1) | instskip(NEXT) | instid1(VALU_DEP_1)
	v_add_nc_u64_e32 v[22:23], v[18:19], v[54:55]
	v_add_nc_u64_e32 v[22:23], -1, v[22:23]
; %bb.3496:                             ;   in Loop: Header=BB4_2911 Depth=2
	s_or_b32 exec_lo, exec_lo, s27
	v_add_nc_u32_e32 v0, 0xffffff81, v0
	v_lshrrev_b32_e32 v19, 23, v18
	s_mov_b32 s7, exec_lo
	s_delay_alu instid0(VALU_DEP_2) | instskip(NEXT) | instid1(VALU_DEP_1)
	v_cndmask_b32_e64 v0, v0, 0xffffff82, vcc_lo
	v_add3_u32 v23, v44, v0, v19
	v_and_b32_e32 v0, 0x1fffff, v22
	s_delay_alu instid0(VALU_DEP_1) | instskip(NEXT) | instid1(VALU_DEP_1)
	v_dual_add_nc_u32 v22, 14, v23 :: v_dual_add_nc_u32 v54, v0, v18
                                        ; implicit-def: $vgpr18_vgpr19
                                        ; implicit-def: $vgpr0
	v_cmpx_ne_u32_e32 0, v22
	s_xor_b32 s7, exec_lo, s7
; %bb.3497:                             ;   in Loop: Header=BB4_2911 Depth=2
	s_delay_alu instid0(VALU_DEP_2) | instskip(SKIP_2) | instid1(VALU_DEP_2)
	v_cmp_lt_u64_e32 vcc_lo, 0xffffff, v[54:55]
	v_add_nc_u32_e32 v0, 15, v23
	v_cndmask_b32_e64 v18, 0, 1, vcc_lo
	v_cndmask_b32_e32 v0, v22, v0, vcc_lo
	s_delay_alu instid0(VALU_DEP_2)
	v_lshrrev_b64 v[18:19], v18, v[54:55]
; %bb.3498:                             ;   in Loop: Header=BB4_2911 Depth=2
	s_and_not1_saveexec_b32 s7, s7
; %bb.3499:                             ;   in Loop: Header=BB4_2911 Depth=2
	v_mov_b64_e32 v[18:19], v[54:55]
	v_bfe_u32 v0, v54, 23, 1
; %bb.3500:                             ;   in Loop: Header=BB4_2911 Depth=2
	s_or_b32 exec_lo, exec_lo, s7
	s_delay_alu instid0(VALU_DEP_2) | instskip(NEXT) | instid1(VALU_DEP_2)
	v_lshrrev_b64 v[18:19], 21, v[18:19]
	v_cmp_gt_i32_e32 vcc_lo, 32, v0
	v_min_i32_e32 v22, 31, v0
	v_cmp_eq_u32_e64 s7, 0, v0
	s_delay_alu instid0(VALU_DEP_2) | instskip(SKIP_1) | instid1(VALU_DEP_2)
	v_dual_cndmask_b32 v19, 0, v19 :: v_dual_lshlrev_b32 v22, 2, v22
	v_cndmask_b32_e32 v18, 3, v18, vcc_lo
	v_and_b32_e32 v22, 0xfc, v22
	s_delay_alu instid0(VALU_DEP_2) | instskip(NEXT) | instid1(VALU_DEP_2)
	v_cmp_eq_u64_e32 vcc_lo, 0, v[18:19]
	v_and_or_b32 v0, v18, 3, v22
	s_and_b32 s7, s7, vcc_lo
	s_delay_alu instid0(VALU_DEP_1) | instid1(SALU_CYCLE_1)
	v_cndmask_b32_e64 v0, v0, 0, s7
	s_delay_alu instid0(VALU_DEP_1)
	v_or_b32_e32 v0, v0, v3
.LBB4_3501:                             ;   in Loop: Header=BB4_2911 Depth=2
	s_or_b32 exec_lo, exec_lo, s26
                                        ; implicit-def: $vgpr3
.LBB4_3502:                             ;   in Loop: Header=BB4_2911 Depth=2
	s_and_not1_saveexec_b32 s7, s25
; %bb.3503:                             ;   in Loop: Header=BB4_2911 Depth=2
	v_or_b32_e32 v0, 0x7b, v3
; %bb.3504:                             ;   in Loop: Header=BB4_2911 Depth=2
	s_or_b32 exec_lo, exec_lo, s7
                                        ; implicit-def: $vgpr18
                                        ; implicit-def: $vgpr3
.LBB4_3505:                             ;   in Loop: Header=BB4_2911 Depth=2
	s_and_not1_saveexec_b32 s7, s24
	s_cbranch_execz .LBB4_3511
; %bb.3506:                             ;   in Loop: Header=BB4_2911 Depth=2
	s_mov_b32 s24, exec_lo
                                        ; implicit-def: $vgpr0
	v_cmpx_ne_u64_e32 0, v[54:55]
	s_xor_b32 s24, exec_lo, s24
; %bb.3507:                             ;   in Loop: Header=BB4_2911 Depth=2
	v_or_b32_e32 v0, 0x7f, v3
                                        ; implicit-def: $vgpr18
; %bb.3508:                             ;   in Loop: Header=BB4_2911 Depth=2
	s_and_not1_saveexec_b32 s24, s24
; %bb.3509:                             ;   in Loop: Header=BB4_2911 Depth=2
	v_cmp_lt_i32_e32 vcc_lo, -1, v18
	v_cndmask_b32_e32 v0, 0xfc, v110, vcc_lo
; %bb.3510:                             ;   in Loop: Header=BB4_2911 Depth=2
	s_or_b32 exec_lo, exec_lo, s24
.LBB4_3511:                             ;   in Loop: Header=BB4_2911 Depth=2
	s_delay_alu instid0(SALU_CYCLE_1)
	s_or_b32 exec_lo, exec_lo, s7
	v_dual_mov_b32 v3, 0 :: v_dual_mov_b32 v19, 0
	s_mov_b32 s7, exec_lo
	v_cmpx_lt_u64_e64 s[12:13], v[24:25]
	s_cbranch_execz .LBB4_3521
; %bb.3512:                             ;   in Loop: Header=BB4_2911 Depth=2
	v_lshrrev_b32_e32 v18, 24, v25
	v_bfrev_b32_e32 v19, 1
	s_mov_b32 s24, exec_lo
	s_delay_alu instid0(VALU_DEP_2)
	v_cmpx_ne_u32_e32 0x80, v18
	s_cbranch_execz .LBB4_3520
; %bb.3513:                             ;   in Loop: Header=BB4_2911 Depth=2
	v_and_b32_e32 v19, 0x7c000000, v25
	v_bfe_u32 v22, v25, 24, 2
	s_delay_alu instid0(VALU_DEP_2) | instskip(SKIP_1) | instid1(SALU_CYCLE_1)
	v_cmp_ne_u32_e32 vcc_lo, 0x7c000000, v19
                                        ; implicit-def: $vgpr19
	s_and_saveexec_b32 s25, vcc_lo
	s_xor_b32 s25, exec_lo, s25
	s_cbranch_execz .LBB4_3517
; %bb.3514:                             ;   in Loop: Header=BB4_2911 Depth=2
	v_bfe_u32 v19, v25, 26, 5
	s_mov_b32 s26, exec_lo
	s_delay_alu instid0(VALU_DEP_1)
	v_cmpx_eq_u32_e32 0, v19
; %bb.3515:                             ;   in Loop: Header=BB4_2911 Depth=2
	v_clz_i32_u32_e32 v19, v22
	s_delay_alu instid0(VALU_DEP_1) | instskip(NEXT) | instid1(VALU_DEP_1)
	v_min_u32_e32 v22, 32, v19
	v_subrev_nc_u32_e32 v19, 29, v22
	s_delay_alu instid0(VALU_DEP_1) | instskip(SKIP_1) | instid1(VALU_DEP_2)
	v_lshlrev_b64_e32 v[18:19], v19, v[18:19]
	v_sub_nc_u32_e32 v19, 30, v22
	v_and_b32_e32 v22, 3, v18
; %bb.3516:                             ;   in Loop: Header=BB4_2911 Depth=2
	s_or_b32 exec_lo, exec_lo, s26
	v_and_b32_e32 v18, 0x80000000, v25
                                        ; implicit-def: $vgpr24_vgpr25
	s_delay_alu instid0(VALU_DEP_1) | instskip(NEXT) | instid1(VALU_DEP_1)
	v_lshl_add_u32 v18, v19, 23, v18
	v_lshl_or_b32 v18, v22, 21, v18
                                        ; implicit-def: $vgpr22
	s_delay_alu instid0(VALU_DEP_1)
	v_add_nc_u32_e32 v19, 0x38000000, v18
.LBB4_3517:                             ;   in Loop: Header=BB4_2911 Depth=2
	s_and_not1_saveexec_b32 s25, s25
; %bb.3518:                             ;   in Loop: Header=BB4_2911 Depth=2
	v_cmp_lt_i64_e32 vcc_lo, -1, v[24:25]
	v_cndmask_b32_e32 v18, 0xff800000, v109, vcc_lo
	v_cmp_eq_u32_e32 vcc_lo, 0, v22
	s_delay_alu instid0(VALU_DEP_2)
	v_cndmask_b32_e32 v19, 0x7f800001, v18, vcc_lo
; %bb.3519:                             ;   in Loop: Header=BB4_2911 Depth=2
	s_or_b32 exec_lo, exec_lo, s25
.LBB4_3520:                             ;   in Loop: Header=BB4_2911 Depth=2
	s_delay_alu instid0(SALU_CYCLE_1)
	s_or_b32 exec_lo, exec_lo, s24
.LBB4_3521:                             ;   in Loop: Header=BB4_2911 Depth=2
	s_delay_alu instid0(SALU_CYCLE_1) | instskip(NEXT) | instid1(SALU_CYCLE_1)
	s_or_b32 exec_lo, exec_lo, s7
	s_mov_b32 s7, exec_lo
	v_cmpx_lt_u64_e64 s[12:13], v[20:21]
	s_cbranch_execz .LBB4_3531
; %bb.3522:                             ;   in Loop: Header=BB4_2911 Depth=2
	v_lshrrev_b32_e32 v18, 24, v21
	v_bfrev_b32_e32 v3, 1
	s_mov_b32 s24, exec_lo
	s_delay_alu instid0(VALU_DEP_2)
	v_cmpx_ne_u32_e32 0x80, v18
	s_cbranch_execz .LBB4_3530
; %bb.3523:                             ;   in Loop: Header=BB4_2911 Depth=2
	v_and_b32_e32 v3, 0x7c000000, v21
	v_bfe_u32 v22, v21, 24, 2
	s_delay_alu instid0(VALU_DEP_2) | instskip(SKIP_1) | instid1(SALU_CYCLE_1)
	v_cmp_ne_u32_e32 vcc_lo, 0x7c000000, v3
                                        ; implicit-def: $vgpr3
	s_and_saveexec_b32 s25, vcc_lo
	s_xor_b32 s25, exec_lo, s25
	s_cbranch_execz .LBB4_3527
; %bb.3524:                             ;   in Loop: Header=BB4_2911 Depth=2
	v_bfe_u32 v3, v21, 26, 5
	s_mov_b32 s26, exec_lo
	s_delay_alu instid0(VALU_DEP_1)
	v_cmpx_eq_u32_e32 0, v3
; %bb.3525:                             ;   in Loop: Header=BB4_2911 Depth=2
	v_clz_i32_u32_e32 v3, v22
	s_delay_alu instid0(VALU_DEP_1) | instskip(NEXT) | instid1(VALU_DEP_1)
	v_min_u32_e32 v3, 32, v3
	v_subrev_nc_u32_e32 v20, 29, v3
	s_delay_alu instid0(VALU_DEP_1) | instskip(NEXT) | instid1(VALU_DEP_1)
	v_lshlrev_b64_e32 v[22:23], v20, v[18:19]
	v_dual_sub_nc_u32 v3, 30, v3 :: v_dual_bitop2_b32 v22, 3, v22 bitop3:0x40
; %bb.3526:                             ;   in Loop: Header=BB4_2911 Depth=2
	s_or_b32 exec_lo, exec_lo, s26
	v_and_b32_e32 v18, 0x80000000, v21
                                        ; implicit-def: $vgpr20_vgpr21
	s_delay_alu instid0(VALU_DEP_1) | instskip(NEXT) | instid1(VALU_DEP_1)
	v_lshl_add_u32 v3, v3, 23, v18
	v_lshl_or_b32 v3, v22, 21, v3
                                        ; implicit-def: $vgpr22
	s_delay_alu instid0(VALU_DEP_1)
	v_add_nc_u32_e32 v3, 0x38000000, v3
.LBB4_3527:                             ;   in Loop: Header=BB4_2911 Depth=2
	s_and_not1_saveexec_b32 s25, s25
; %bb.3528:                             ;   in Loop: Header=BB4_2911 Depth=2
	v_cmp_lt_i64_e32 vcc_lo, -1, v[20:21]
	v_cndmask_b32_e32 v3, 0xff800000, v109, vcc_lo
	v_cmp_eq_u32_e32 vcc_lo, 0, v22
	s_delay_alu instid0(VALU_DEP_2)
	v_cndmask_b32_e32 v3, 0x7f800001, v3, vcc_lo
; %bb.3529:                             ;   in Loop: Header=BB4_2911 Depth=2
	s_or_b32 exec_lo, exec_lo, s25
.LBB4_3530:                             ;   in Loop: Header=BB4_2911 Depth=2
	s_delay_alu instid0(SALU_CYCLE_1)
	s_or_b32 exec_lo, exec_lo, s24
.LBB4_3531:                             ;   in Loop: Header=BB4_2911 Depth=2
	s_delay_alu instid0(SALU_CYCLE_1) | instskip(NEXT) | instid1(VALU_DEP_1)
	s_or_b32 exec_lo, exec_lo, s7
	v_mul_f32_e32 v18, v19, v3
	v_mov_b32_e32 v21, v55
                                        ; implicit-def: $vgpr3
	s_mov_b32 s7, exec_lo
	s_delay_alu instid0(VALU_DEP_2) | instskip(SKIP_2) | instid1(VALU_DEP_3)
	v_and_b32_e32 v20, 0x7f800000, v18
	v_and_b32_e32 v54, 0x7fffff, v18
	v_lshrrev_b32_e32 v19, 24, v18
	v_cmpx_ne_u64_e32 0x7f800000, v[20:21]
	s_xor_b32 s24, exec_lo, s7
	s_cbranch_execz .LBB4_3545
; %bb.3532:                             ;   in Loop: Header=BB4_2911 Depth=2
	v_and_b32_e32 v20, 0x7fffffff, v18
	v_mov_b32_e32 v21, v55
	v_and_b32_e32 v22, 0x80, v19
                                        ; implicit-def: $vgpr3
	s_mov_b32 s7, exec_lo
	s_delay_alu instid0(VALU_DEP_2)
	v_cmpx_gt_u64_e32 0x47600001, v[20:21]
	s_xor_b32 s25, exec_lo, s7
	s_cbranch_execz .LBB4_3542
; %bb.3533:                             ;   in Loop: Header=BB4_2911 Depth=2
	v_mov_b32_e32 v3, 0
	s_mov_b32 s26, exec_lo
	v_cmpx_ne_u32_e32 0, v18
	s_cbranch_execz .LBB4_3541
; %bb.3534:                             ;   in Loop: Header=BB4_2911 Depth=2
	v_bfe_u32 v3, v18, 23, 8
	v_or_b32_e32 v20, 0x800000, v54
	s_delay_alu instid0(VALU_DEP_2) | instskip(SKIP_1) | instid1(VALU_DEP_2)
	v_sub_nc_u32_e32 v18, 0x71, v3
	v_cmp_gt_u32_e32 vcc_lo, 0x72, v3
	v_cndmask_b32_e32 v18, 0, v18, vcc_lo
	v_cmp_eq_u32_e32 vcc_lo, 0, v3
	s_delay_alu instid0(VALU_DEP_2) | instskip(NEXT) | instid1(VALU_DEP_1)
	v_cndmask_b32_e64 v23, v18, 0x70, vcc_lo
	v_dual_cndmask_b32 v54, v20, v54, vcc_lo :: v_dual_add_nc_u32 v18, 21, v23
	v_add_nc_u32_e32 v21, 20, v23
	s_delay_alu instid0(VALU_DEP_2) | instskip(NEXT) | instid1(VALU_DEP_2)
	v_lshlrev_b64_e64 v[18:19], v18, -1
	v_lshlrev_b64_e64 v[20:21], v21, 1
	s_delay_alu instid0(VALU_DEP_2) | instskip(NEXT) | instid1(VALU_DEP_3)
	v_bfi_b32 v25, v19, 0, 0
	v_bfi_b32 v24, v18, 0, v54
	v_lshrrev_b64 v[18:19], v23, v[54:55]
	s_delay_alu instid0(VALU_DEP_2) | instskip(NEXT) | instid1(VALU_DEP_2)
	v_cmp_eq_u64_e64 s7, v[24:25], v[20:21]
	v_mov_b64_e32 v[20:21], v[18:19]
	s_and_saveexec_b32 s27, s7
; %bb.3535:                             ;   in Loop: Header=BB4_2911 Depth=2
	v_bfe_u32 v54, v18, 21, 1
	s_delay_alu instid0(VALU_DEP_1) | instskip(NEXT) | instid1(VALU_DEP_1)
	v_add_nc_u64_e32 v[20:21], v[18:19], v[54:55]
	v_add_nc_u64_e32 v[20:21], -1, v[20:21]
; %bb.3536:                             ;   in Loop: Header=BB4_2911 Depth=2
	s_or_b32 exec_lo, exec_lo, s27
	v_add_nc_u32_e32 v3, 0xffffff81, v3
	v_lshrrev_b32_e32 v19, 23, v18
	s_mov_b32 s7, exec_lo
	s_delay_alu instid0(VALU_DEP_2) | instskip(NEXT) | instid1(VALU_DEP_1)
	v_cndmask_b32_e64 v3, v3, 0xffffff82, vcc_lo
	v_add3_u32 v21, v23, v3, v19
	v_and_b32_e32 v3, 0x1fffff, v20
	s_delay_alu instid0(VALU_DEP_1) | instskip(NEXT) | instid1(VALU_DEP_1)
	v_dual_add_nc_u32 v20, 14, v21 :: v_dual_add_nc_u32 v54, v3, v18
                                        ; implicit-def: $vgpr18_vgpr19
                                        ; implicit-def: $vgpr3
	v_cmpx_ne_u32_e32 0, v20
	s_xor_b32 s7, exec_lo, s7
; %bb.3537:                             ;   in Loop: Header=BB4_2911 Depth=2
	s_delay_alu instid0(VALU_DEP_2) | instskip(SKIP_2) | instid1(VALU_DEP_2)
	v_cmp_lt_u64_e32 vcc_lo, 0xffffff, v[54:55]
	v_add_nc_u32_e32 v3, 15, v21
	v_cndmask_b32_e64 v18, 0, 1, vcc_lo
	v_cndmask_b32_e32 v3, v20, v3, vcc_lo
	s_delay_alu instid0(VALU_DEP_2)
	v_lshrrev_b64 v[18:19], v18, v[54:55]
; %bb.3538:                             ;   in Loop: Header=BB4_2911 Depth=2
	s_and_not1_saveexec_b32 s7, s7
; %bb.3539:                             ;   in Loop: Header=BB4_2911 Depth=2
	v_mov_b64_e32 v[18:19], v[54:55]
	v_bfe_u32 v3, v54, 23, 1
; %bb.3540:                             ;   in Loop: Header=BB4_2911 Depth=2
	s_or_b32 exec_lo, exec_lo, s7
	s_delay_alu instid0(VALU_DEP_2) | instskip(NEXT) | instid1(VALU_DEP_2)
	v_lshrrev_b64 v[18:19], 21, v[18:19]
	v_cmp_gt_i32_e32 vcc_lo, 32, v3
	v_min_i32_e32 v20, 31, v3
	v_cmp_eq_u32_e64 s7, 0, v3
	s_delay_alu instid0(VALU_DEP_2) | instskip(SKIP_1) | instid1(VALU_DEP_2)
	v_dual_cndmask_b32 v18, 3, v18, vcc_lo :: v_dual_lshlrev_b32 v20, 2, v20
	v_cndmask_b32_e32 v19, 0, v19, vcc_lo
	v_and_b32_e32 v20, 0xfc, v20
	s_delay_alu instid0(VALU_DEP_2) | instskip(NEXT) | instid1(VALU_DEP_2)
	v_cmp_eq_u64_e32 vcc_lo, 0, v[18:19]
	v_and_or_b32 v3, v18, 3, v20
	s_and_b32 s7, s7, vcc_lo
	s_delay_alu instid0(VALU_DEP_1) | instid1(SALU_CYCLE_1)
	v_cndmask_b32_e64 v3, v3, 0, s7
	s_delay_alu instid0(VALU_DEP_1)
	v_or_b32_e32 v3, v3, v22
.LBB4_3541:                             ;   in Loop: Header=BB4_2911 Depth=2
	s_or_b32 exec_lo, exec_lo, s26
                                        ; implicit-def: $vgpr22
.LBB4_3542:                             ;   in Loop: Header=BB4_2911 Depth=2
	s_and_not1_saveexec_b32 s7, s25
; %bb.3543:                             ;   in Loop: Header=BB4_2911 Depth=2
	v_or_b32_e32 v3, 0x7b, v22
; %bb.3544:                             ;   in Loop: Header=BB4_2911 Depth=2
	s_or_b32 exec_lo, exec_lo, s7
                                        ; implicit-def: $vgpr18
                                        ; implicit-def: $vgpr19
.LBB4_3545:                             ;   in Loop: Header=BB4_2911 Depth=2
	s_and_not1_saveexec_b32 s7, s24
	s_cbranch_execz .LBB4_3551
; %bb.3546:                             ;   in Loop: Header=BB4_2911 Depth=2
	s_mov_b32 s24, exec_lo
                                        ; implicit-def: $vgpr3
	v_cmpx_ne_u64_e32 0, v[54:55]
	s_xor_b32 s24, exec_lo, s24
; %bb.3547:                             ;   in Loop: Header=BB4_2911 Depth=2
	v_or_b32_e32 v3, 0x7f, v19
                                        ; implicit-def: $vgpr18
; %bb.3548:                             ;   in Loop: Header=BB4_2911 Depth=2
	s_and_not1_saveexec_b32 s24, s24
; %bb.3549:                             ;   in Loop: Header=BB4_2911 Depth=2
	v_cmp_lt_i32_e32 vcc_lo, -1, v18
	v_cndmask_b32_e32 v3, 0xfc, v110, vcc_lo
; %bb.3550:                             ;   in Loop: Header=BB4_2911 Depth=2
	s_or_b32 exec_lo, exec_lo, s24
.LBB4_3551:                             ;   in Loop: Header=BB4_2911 Depth=2
	s_delay_alu instid0(SALU_CYCLE_1) | instskip(SKIP_2) | instid1(VALU_DEP_2)
	s_or_b32 exec_lo, exec_lo, s7
	v_and_b32_e32 v19, 0xff, v14
	v_mov_b32_e32 v18, 0
	v_cmp_ne_u16_e32 vcc_lo, 0, v19
	v_mov_b32_e32 v19, 0
	s_and_saveexec_b32 s7, vcc_lo
	s_cbranch_execz .LBB4_3561
; %bb.3552:                             ;   in Loop: Header=BB4_2911 Depth=2
	v_bfe_i32 v21, v14, 0, 8
	v_bfrev_b32_e32 v19, 1
	s_mov_b32 s24, exec_lo
	s_delay_alu instid0(VALU_DEP_2)
	v_cmpx_ne_u16_e32 0xff80, v21
	s_cbranch_execz .LBB4_3560
; %bb.3553:                             ;   in Loop: Header=BB4_2911 Depth=2
	v_and_b32_e32 v19, 0x7c, v14
	v_and_b32_e32 v20, 3, v14
	s_delay_alu instid0(VALU_DEP_2) | instskip(SKIP_1) | instid1(SALU_CYCLE_1)
	v_cmp_ne_u32_e32 vcc_lo, 0x7c, v19
                                        ; implicit-def: $vgpr19
	s_and_saveexec_b32 s25, vcc_lo
	s_xor_b32 s25, exec_lo, s25
	s_cbranch_execz .LBB4_3557
; %bb.3554:                             ;   in Loop: Header=BB4_2911 Depth=2
	v_bfe_u32 v19, v14, 2, 5
	s_mov_b32 s26, exec_lo
	s_delay_alu instid0(VALU_DEP_1)
	v_cmpx_eq_u32_e32 0, v19
; %bb.3555:                             ;   in Loop: Header=BB4_2911 Depth=2
	v_clz_i32_u32_e32 v19, v20
	s_delay_alu instid0(VALU_DEP_1) | instskip(NEXT) | instid1(VALU_DEP_1)
	v_min_u32_e32 v19, 32, v19
	v_subrev_nc_u32_e32 v20, 29, v19
	s_delay_alu instid0(VALU_DEP_1) | instskip(NEXT) | instid1(VALU_DEP_1)
	v_lshlrev_b64_e32 v[20:21], v20, v[14:15]
	v_dual_sub_nc_u32 v19, 30, v19 :: v_dual_bitop2_b32 v20, 3, v20 bitop3:0x40
; %bb.3556:                             ;   in Loop: Header=BB4_2911 Depth=2
	s_or_b32 exec_lo, exec_lo, s26
	v_lshlrev_b32_e32 v21, 24, v14
	s_delay_alu instid0(VALU_DEP_1) | instskip(NEXT) | instid1(VALU_DEP_1)
	v_and_b32_e32 v21, 0x80000000, v21
	v_lshl_add_u32 v19, v19, 23, v21
                                        ; implicit-def: $vgpr21
	s_delay_alu instid0(VALU_DEP_1) | instskip(NEXT) | instid1(VALU_DEP_1)
	v_lshl_or_b32 v19, v20, 21, v19
                                        ; implicit-def: $vgpr20
	v_add_nc_u32_e32 v19, 0x38000000, v19
.LBB4_3557:                             ;   in Loop: Header=BB4_2911 Depth=2
	s_and_not1_saveexec_b32 s25, s25
; %bb.3558:                             ;   in Loop: Header=BB4_2911 Depth=2
	v_cmp_lt_i16_e32 vcc_lo, -1, v21
	v_cndmask_b32_e32 v19, 0xff800000, v109, vcc_lo
	v_cmp_eq_u32_e32 vcc_lo, 0, v20
	s_delay_alu instid0(VALU_DEP_2)
	v_cndmask_b32_e32 v19, 0x7f800001, v19, vcc_lo
; %bb.3559:                             ;   in Loop: Header=BB4_2911 Depth=2
	s_or_b32 exec_lo, exec_lo, s25
.LBB4_3560:                             ;   in Loop: Header=BB4_2911 Depth=2
	s_delay_alu instid0(SALU_CYCLE_1)
	s_or_b32 exec_lo, exec_lo, s24
.LBB4_3561:                             ;   in Loop: Header=BB4_2911 Depth=2
	s_delay_alu instid0(SALU_CYCLE_1) | instskip(SKIP_3) | instid1(VALU_DEP_1)
	s_or_b32 exec_lo, exec_lo, s7
	s_wait_loadcnt 0x0
	v_and_b32_e32 v20, 0xff, v10
	s_mov_b32 s7, exec_lo
	v_cmpx_ne_u16_e32 0, v20
	s_cbranch_execz .LBB4_3571
; %bb.3562:                             ;   in Loop: Header=BB4_2911 Depth=2
	v_bfe_i32 v21, v10, 0, 8
	v_bfrev_b32_e32 v18, 1
	s_mov_b32 s24, exec_lo
	s_delay_alu instid0(VALU_DEP_2)
	v_cmpx_ne_u16_e32 0xff80, v21
	s_cbranch_execz .LBB4_3570
; %bb.3563:                             ;   in Loop: Header=BB4_2911 Depth=2
	v_and_b32_e32 v18, 0x7c, v10
	v_and_b32_e32 v20, 3, v10
	s_delay_alu instid0(VALU_DEP_2) | instskip(SKIP_1) | instid1(SALU_CYCLE_1)
	v_cmp_ne_u32_e32 vcc_lo, 0x7c, v18
                                        ; implicit-def: $vgpr18
	s_and_saveexec_b32 s25, vcc_lo
	s_xor_b32 s25, exec_lo, s25
	s_cbranch_execz .LBB4_3567
; %bb.3564:                             ;   in Loop: Header=BB4_2911 Depth=2
	v_bfe_u32 v18, v10, 2, 5
	s_mov_b32 s26, exec_lo
	s_delay_alu instid0(VALU_DEP_1)
	v_cmpx_eq_u32_e32 0, v18
; %bb.3565:                             ;   in Loop: Header=BB4_2911 Depth=2
	v_clz_i32_u32_e32 v18, v20
	s_delay_alu instid0(VALU_DEP_1) | instskip(NEXT) | instid1(VALU_DEP_1)
	v_min_u32_e32 v18, 32, v18
	v_subrev_nc_u32_e32 v20, 29, v18
	s_delay_alu instid0(VALU_DEP_1) | instskip(NEXT) | instid1(VALU_DEP_1)
	v_lshlrev_b64_e32 v[20:21], v20, v[10:11]
	v_dual_sub_nc_u32 v18, 30, v18 :: v_dual_bitop2_b32 v20, 3, v20 bitop3:0x40
; %bb.3566:                             ;   in Loop: Header=BB4_2911 Depth=2
	s_or_b32 exec_lo, exec_lo, s26
	v_lshlrev_b32_e32 v21, 24, v10
	s_delay_alu instid0(VALU_DEP_1) | instskip(NEXT) | instid1(VALU_DEP_1)
	v_and_b32_e32 v21, 0x80000000, v21
	v_lshl_add_u32 v18, v18, 23, v21
                                        ; implicit-def: $vgpr21
	s_delay_alu instid0(VALU_DEP_1) | instskip(NEXT) | instid1(VALU_DEP_1)
	v_lshl_or_b32 v18, v20, 21, v18
                                        ; implicit-def: $vgpr20
	v_add_nc_u32_e32 v18, 0x38000000, v18
.LBB4_3567:                             ;   in Loop: Header=BB4_2911 Depth=2
	s_and_not1_saveexec_b32 s25, s25
; %bb.3568:                             ;   in Loop: Header=BB4_2911 Depth=2
	v_cmp_lt_i16_e32 vcc_lo, -1, v21
	v_cndmask_b32_e32 v18, 0xff800000, v109, vcc_lo
	v_cmp_eq_u32_e32 vcc_lo, 0, v20
	s_delay_alu instid0(VALU_DEP_2)
	v_cndmask_b32_e32 v18, 0x7f800001, v18, vcc_lo
; %bb.3569:                             ;   in Loop: Header=BB4_2911 Depth=2
	s_or_b32 exec_lo, exec_lo, s25
.LBB4_3570:                             ;   in Loop: Header=BB4_2911 Depth=2
	s_delay_alu instid0(SALU_CYCLE_1)
	s_or_b32 exec_lo, exec_lo, s24
.LBB4_3571:                             ;   in Loop: Header=BB4_2911 Depth=2
	s_delay_alu instid0(SALU_CYCLE_1) | instskip(NEXT) | instid1(VALU_DEP_1)
	s_or_b32 exec_lo, exec_lo, s7
	v_mul_f32_e32 v18, v19, v18
	v_mov_b32_e32 v21, v55
                                        ; implicit-def: $vgpr22
	s_mov_b32 s7, exec_lo
	s_delay_alu instid0(VALU_DEP_2) | instskip(SKIP_2) | instid1(VALU_DEP_3)
	v_and_b32_e32 v20, 0x7f800000, v18
	v_and_b32_e32 v54, 0x7fffff, v18
	v_lshrrev_b32_e32 v19, 24, v18
	v_cmpx_ne_u64_e32 0x7f800000, v[20:21]
	s_xor_b32 s24, exec_lo, s7
	s_cbranch_execz .LBB4_3585
; %bb.3572:                             ;   in Loop: Header=BB4_2911 Depth=2
	v_and_b32_e32 v20, 0x7fffffff, v18
	v_mov_b32_e32 v21, v55
	v_and_b32_e32 v23, 0x80, v19
                                        ; implicit-def: $vgpr22
	s_mov_b32 s7, exec_lo
	s_delay_alu instid0(VALU_DEP_2)
	v_cmpx_gt_u64_e32 0x47600001, v[20:21]
	s_xor_b32 s25, exec_lo, s7
	s_cbranch_execz .LBB4_3582
; %bb.3573:                             ;   in Loop: Header=BB4_2911 Depth=2
	v_mov_b32_e32 v22, 0
	s_mov_b32 s26, exec_lo
	v_cmpx_ne_u32_e32 0, v18
	s_cbranch_execz .LBB4_3581
; %bb.3574:                             ;   in Loop: Header=BB4_2911 Depth=2
	v_bfe_u32 v22, v18, 23, 8
	v_or_b32_e32 v20, 0x800000, v54
	s_delay_alu instid0(VALU_DEP_2) | instskip(SKIP_1) | instid1(VALU_DEP_2)
	v_sub_nc_u32_e32 v18, 0x71, v22
	v_cmp_gt_u32_e32 vcc_lo, 0x72, v22
	v_cndmask_b32_e32 v18, 0, v18, vcc_lo
	v_cmp_eq_u32_e32 vcc_lo, 0, v22
	s_delay_alu instid0(VALU_DEP_2) | instskip(NEXT) | instid1(VALU_DEP_1)
	v_cndmask_b32_e64 v24, v18, 0x70, vcc_lo
	v_dual_cndmask_b32 v54, v20, v54, vcc_lo :: v_dual_add_nc_u32 v18, 21, v24
	v_add_nc_u32_e32 v21, 20, v24
	s_delay_alu instid0(VALU_DEP_2) | instskip(NEXT) | instid1(VALU_DEP_2)
	v_lshlrev_b64_e64 v[18:19], v18, -1
	v_lshlrev_b64_e64 v[20:21], v21, 1
	s_delay_alu instid0(VALU_DEP_2) | instskip(NEXT) | instid1(VALU_DEP_3)
	v_bfi_b32 v45, v19, 0, 0
	v_bfi_b32 v44, v18, 0, v54
	v_lshrrev_b64 v[18:19], v24, v[54:55]
	s_delay_alu instid0(VALU_DEP_2) | instskip(NEXT) | instid1(VALU_DEP_2)
	v_cmp_eq_u64_e64 s7, v[44:45], v[20:21]
	v_mov_b64_e32 v[20:21], v[18:19]
	s_and_saveexec_b32 s27, s7
; %bb.3575:                             ;   in Loop: Header=BB4_2911 Depth=2
	v_bfe_u32 v54, v18, 21, 1
	s_delay_alu instid0(VALU_DEP_1) | instskip(NEXT) | instid1(VALU_DEP_1)
	v_add_nc_u64_e32 v[20:21], v[18:19], v[54:55]
	v_add_nc_u64_e32 v[20:21], -1, v[20:21]
; %bb.3576:                             ;   in Loop: Header=BB4_2911 Depth=2
	s_or_b32 exec_lo, exec_lo, s27
	v_add_nc_u32_e32 v19, 0xffffff81, v22
	v_lshrrev_b32_e32 v21, 23, v18
	s_mov_b32 s7, exec_lo
	s_delay_alu instid0(VALU_DEP_2) | instskip(NEXT) | instid1(VALU_DEP_1)
	v_cndmask_b32_e64 v19, v19, 0xffffff82, vcc_lo
	v_add3_u32 v21, v24, v19, v21
	v_and_b32_e32 v19, 0x1fffff, v20
                                        ; implicit-def: $vgpr20
	s_delay_alu instid0(VALU_DEP_1) | instskip(NEXT) | instid1(VALU_DEP_1)
	v_dual_add_nc_u32 v22, 14, v21 :: v_dual_add_nc_u32 v54, v19, v18
                                        ; implicit-def: $vgpr18_vgpr19
	v_cmpx_ne_u32_e32 0, v22
	s_xor_b32 s7, exec_lo, s7
; %bb.3577:                             ;   in Loop: Header=BB4_2911 Depth=2
	s_delay_alu instid0(VALU_DEP_2) | instskip(SKIP_1) | instid1(VALU_DEP_1)
	v_cmp_lt_u64_e32 vcc_lo, 0xffffff, v[54:55]
	v_add_nc_u32_e32 v18, 15, v21
	v_cndmask_b32_e32 v20, v22, v18, vcc_lo
	v_cndmask_b32_e64 v18, 0, 1, vcc_lo
	s_delay_alu instid0(VALU_DEP_1)
	v_lshrrev_b64 v[18:19], v18, v[54:55]
; %bb.3578:                             ;   in Loop: Header=BB4_2911 Depth=2
	s_and_not1_saveexec_b32 s7, s7
; %bb.3579:                             ;   in Loop: Header=BB4_2911 Depth=2
	v_mov_b64_e32 v[18:19], v[54:55]
	v_bfe_u32 v20, v54, 23, 1
; %bb.3580:                             ;   in Loop: Header=BB4_2911 Depth=2
	s_or_b32 exec_lo, exec_lo, s7
	s_delay_alu instid0(VALU_DEP_2) | instskip(NEXT) | instid1(VALU_DEP_2)
	v_lshrrev_b64 v[18:19], 21, v[18:19]
	v_cmp_gt_i32_e32 vcc_lo, 32, v20
	v_min_i32_e32 v21, 31, v20
	v_cmp_eq_u32_e64 s7, 0, v20
	s_delay_alu instid0(VALU_DEP_2) | instskip(SKIP_1) | instid1(VALU_DEP_2)
	v_dual_cndmask_b32 v19, 0, v19, vcc_lo :: v_dual_lshlrev_b32 v21, 2, v21
	v_cndmask_b32_e32 v18, 3, v18, vcc_lo
	v_and_b32_e32 v21, 0xfc, v21
	s_delay_alu instid0(VALU_DEP_2) | instskip(NEXT) | instid1(VALU_DEP_2)
	v_cmp_eq_u64_e32 vcc_lo, 0, v[18:19]
	v_and_or_b32 v18, v18, 3, v21
	s_and_b32 s7, s7, vcc_lo
	s_delay_alu instid0(VALU_DEP_1) | instid1(SALU_CYCLE_1)
	v_cndmask_b32_e64 v18, v18, 0, s7
	s_delay_alu instid0(VALU_DEP_1)
	v_or_b32_e32 v22, v18, v23
.LBB4_3581:                             ;   in Loop: Header=BB4_2911 Depth=2
	s_or_b32 exec_lo, exec_lo, s26
                                        ; implicit-def: $vgpr23
.LBB4_3582:                             ;   in Loop: Header=BB4_2911 Depth=2
	s_and_not1_saveexec_b32 s7, s25
; %bb.3583:                             ;   in Loop: Header=BB4_2911 Depth=2
	v_or_b32_e32 v22, 0x7b, v23
; %bb.3584:                             ;   in Loop: Header=BB4_2911 Depth=2
	s_or_b32 exec_lo, exec_lo, s7
                                        ; implicit-def: $vgpr18
                                        ; implicit-def: $vgpr19
.LBB4_3585:                             ;   in Loop: Header=BB4_2911 Depth=2
	s_and_not1_saveexec_b32 s7, s24
	s_cbranch_execz .LBB4_3591
; %bb.3586:                             ;   in Loop: Header=BB4_2911 Depth=2
	s_mov_b32 s24, exec_lo
                                        ; implicit-def: $vgpr22
	v_cmpx_ne_u64_e32 0, v[54:55]
	s_xor_b32 s24, exec_lo, s24
; %bb.3587:                             ;   in Loop: Header=BB4_2911 Depth=2
	v_or_b32_e32 v22, 0x7f, v19
                                        ; implicit-def: $vgpr18
; %bb.3588:                             ;   in Loop: Header=BB4_2911 Depth=2
	s_and_not1_saveexec_b32 s24, s24
; %bb.3589:                             ;   in Loop: Header=BB4_2911 Depth=2
	v_cmp_lt_i32_e32 vcc_lo, -1, v18
	v_cndmask_b32_e32 v22, 0xfc, v110, vcc_lo
; %bb.3590:                             ;   in Loop: Header=BB4_2911 Depth=2
	s_or_b32 exec_lo, exec_lo, s24
.LBB4_3591:                             ;   in Loop: Header=BB4_2911 Depth=2
	s_delay_alu instid0(SALU_CYCLE_1) | instskip(SKIP_3) | instid1(VALU_DEP_2)
	s_or_b32 exec_lo, exec_lo, s7
	v_lshrrev_b16 v54, 8, v14
	v_dual_mov_b32 v18, 0 :: v_dual_mov_b32 v19, 0
	s_mov_b32 s7, exec_lo
	v_cmpx_ne_u16_e32 0, v54
	s_cbranch_execz .LBB4_3601
; %bb.3592:                             ;   in Loop: Header=BB4_2911 Depth=2
	v_bfrev_b32_e32 v19, 1
	s_mov_b32 s24, exec_lo
	v_cmpx_ne_u16_e32 0x80, v54
	s_cbranch_execz .LBB4_3600
; %bb.3593:                             ;   in Loop: Header=BB4_2911 Depth=2
	v_and_b32_e32 v21, 0xffff, v54
	s_delay_alu instid0(VALU_DEP_1) | instskip(SKIP_1) | instid1(VALU_DEP_2)
	v_and_b32_e32 v19, 0x7c, v21
	v_and_b32_e32 v20, 3, v21
	v_cmp_ne_u32_e32 vcc_lo, 0x7c, v19
                                        ; implicit-def: $vgpr19
	s_and_saveexec_b32 s25, vcc_lo
	s_delay_alu instid0(SALU_CYCLE_1)
	s_xor_b32 s25, exec_lo, s25
	s_cbranch_execz .LBB4_3597
; %bb.3594:                             ;   in Loop: Header=BB4_2911 Depth=2
	v_bfe_u32 v19, v21, 2, 5
	s_mov_b32 s26, exec_lo
	s_delay_alu instid0(VALU_DEP_1)
	v_cmpx_eq_u32_e32 0, v19
; %bb.3595:                             ;   in Loop: Header=BB4_2911 Depth=2
	v_clz_i32_u32_e32 v19, v20
	s_delay_alu instid0(VALU_DEP_1) | instskip(NEXT) | instid1(VALU_DEP_1)
	v_min_u32_e32 v19, 32, v19
	v_subrev_nc_u32_e32 v20, 29, v19
	s_delay_alu instid0(VALU_DEP_1) | instskip(NEXT) | instid1(VALU_DEP_1)
	v_lshlrev_b64_e32 v[20:21], v20, v[54:55]
	v_dual_sub_nc_u32 v19, 30, v19 :: v_dual_bitop2_b32 v20, 3, v20 bitop3:0x40
; %bb.3596:                             ;   in Loop: Header=BB4_2911 Depth=2
	s_or_b32 exec_lo, exec_lo, s26
	v_lshlrev_b32_e32 v21, 16, v14
	s_delay_alu instid0(VALU_DEP_1) | instskip(NEXT) | instid1(VALU_DEP_1)
	v_and_b32_e32 v21, 0x80000000, v21
	v_lshl_add_u32 v19, v19, 23, v21
	s_delay_alu instid0(VALU_DEP_1) | instskip(NEXT) | instid1(VALU_DEP_1)
	v_lshl_or_b32 v19, v20, 21, v19
                                        ; implicit-def: $vgpr20
	v_add_nc_u32_e32 v19, 0x38000000, v19
.LBB4_3597:                             ;   in Loop: Header=BB4_2911 Depth=2
	s_and_not1_saveexec_b32 s25, s25
; %bb.3598:                             ;   in Loop: Header=BB4_2911 Depth=2
	v_cmp_lt_i16_e32 vcc_lo, -1, v14
	v_cndmask_b32_e32 v19, 0xff800000, v109, vcc_lo
	v_cmp_eq_u32_e32 vcc_lo, 0, v20
	s_delay_alu instid0(VALU_DEP_2)
	v_cndmask_b32_e32 v19, 0x7f800001, v19, vcc_lo
; %bb.3599:                             ;   in Loop: Header=BB4_2911 Depth=2
	s_or_b32 exec_lo, exec_lo, s25
.LBB4_3600:                             ;   in Loop: Header=BB4_2911 Depth=2
	s_delay_alu instid0(SALU_CYCLE_1)
	s_or_b32 exec_lo, exec_lo, s24
.LBB4_3601:                             ;   in Loop: Header=BB4_2911 Depth=2
	s_delay_alu instid0(SALU_CYCLE_1) | instskip(SKIP_2) | instid1(VALU_DEP_1)
	s_or_b32 exec_lo, exec_lo, s7
	v_lshrrev_b16 v54, 8, v10
	s_mov_b32 s7, exec_lo
	v_cmpx_ne_u16_e32 0, v54
	s_cbranch_execz .LBB4_3611
; %bb.3602:                             ;   in Loop: Header=BB4_2911 Depth=2
	v_bfrev_b32_e32 v18, 1
	s_mov_b32 s24, exec_lo
	v_cmpx_ne_u16_e32 0x80, v54
	s_cbranch_execz .LBB4_3610
; %bb.3603:                             ;   in Loop: Header=BB4_2911 Depth=2
	v_and_b32_e32 v21, 0xffff, v54
	s_delay_alu instid0(VALU_DEP_1) | instskip(SKIP_1) | instid1(VALU_DEP_2)
	v_and_b32_e32 v18, 0x7c, v21
	v_and_b32_e32 v20, 3, v21
	v_cmp_ne_u32_e32 vcc_lo, 0x7c, v18
                                        ; implicit-def: $vgpr18
	s_and_saveexec_b32 s25, vcc_lo
	s_delay_alu instid0(SALU_CYCLE_1)
	s_xor_b32 s25, exec_lo, s25
	s_cbranch_execz .LBB4_3607
; %bb.3604:                             ;   in Loop: Header=BB4_2911 Depth=2
	v_bfe_u32 v18, v21, 2, 5
	s_mov_b32 s26, exec_lo
	s_delay_alu instid0(VALU_DEP_1)
	v_cmpx_eq_u32_e32 0, v18
; %bb.3605:                             ;   in Loop: Header=BB4_2911 Depth=2
	v_clz_i32_u32_e32 v18, v20
	s_delay_alu instid0(VALU_DEP_1) | instskip(NEXT) | instid1(VALU_DEP_1)
	v_min_u32_e32 v18, 32, v18
	v_subrev_nc_u32_e32 v20, 29, v18
	s_delay_alu instid0(VALU_DEP_1) | instskip(NEXT) | instid1(VALU_DEP_1)
	v_lshlrev_b64_e32 v[20:21], v20, v[54:55]
	v_dual_sub_nc_u32 v18, 30, v18 :: v_dual_bitop2_b32 v20, 3, v20 bitop3:0x40
; %bb.3606:                             ;   in Loop: Header=BB4_2911 Depth=2
	s_or_b32 exec_lo, exec_lo, s26
	v_lshlrev_b32_e32 v21, 16, v10
	s_delay_alu instid0(VALU_DEP_1) | instskip(NEXT) | instid1(VALU_DEP_1)
	v_and_b32_e32 v21, 0x80000000, v21
	v_lshl_add_u32 v18, v18, 23, v21
	s_delay_alu instid0(VALU_DEP_1) | instskip(NEXT) | instid1(VALU_DEP_1)
	v_lshl_or_b32 v18, v20, 21, v18
                                        ; implicit-def: $vgpr20
	v_add_nc_u32_e32 v18, 0x38000000, v18
.LBB4_3607:                             ;   in Loop: Header=BB4_2911 Depth=2
	s_and_not1_saveexec_b32 s25, s25
; %bb.3608:                             ;   in Loop: Header=BB4_2911 Depth=2
	v_cmp_lt_i16_e32 vcc_lo, -1, v10
	v_cndmask_b32_e32 v18, 0xff800000, v109, vcc_lo
	v_cmp_eq_u32_e32 vcc_lo, 0, v20
	s_delay_alu instid0(VALU_DEP_2)
	v_cndmask_b32_e32 v18, 0x7f800001, v18, vcc_lo
; %bb.3609:                             ;   in Loop: Header=BB4_2911 Depth=2
	s_or_b32 exec_lo, exec_lo, s25
.LBB4_3610:                             ;   in Loop: Header=BB4_2911 Depth=2
	s_delay_alu instid0(SALU_CYCLE_1)
	s_or_b32 exec_lo, exec_lo, s24
.LBB4_3611:                             ;   in Loop: Header=BB4_2911 Depth=2
	s_delay_alu instid0(SALU_CYCLE_1) | instskip(NEXT) | instid1(VALU_DEP_1)
	s_or_b32 exec_lo, exec_lo, s7
	v_mul_f32_e32 v18, v19, v18
	v_mov_b32_e32 v21, v55
                                        ; implicit-def: $vgpr23
	s_mov_b32 s7, exec_lo
	s_delay_alu instid0(VALU_DEP_2) | instskip(SKIP_2) | instid1(VALU_DEP_3)
	v_and_b32_e32 v20, 0x7f800000, v18
	v_and_b32_e32 v54, 0x7fffff, v18
	v_lshrrev_b32_e32 v19, 24, v18
	v_cmpx_ne_u64_e32 0x7f800000, v[20:21]
	s_xor_b32 s24, exec_lo, s7
	s_cbranch_execz .LBB4_3625
; %bb.3612:                             ;   in Loop: Header=BB4_2911 Depth=2
	v_and_b32_e32 v20, 0x7fffffff, v18
	v_mov_b32_e32 v21, v55
	v_and_b32_e32 v24, 0x80, v19
                                        ; implicit-def: $vgpr23
	s_mov_b32 s7, exec_lo
	s_delay_alu instid0(VALU_DEP_2)
	v_cmpx_gt_u64_e32 0x47600001, v[20:21]
	s_xor_b32 s25, exec_lo, s7
	s_cbranch_execz .LBB4_3622
; %bb.3613:                             ;   in Loop: Header=BB4_2911 Depth=2
	v_mov_b32_e32 v23, 0
	s_mov_b32 s26, exec_lo
	v_cmpx_ne_u32_e32 0, v18
	s_cbranch_execz .LBB4_3621
; %bb.3614:                             ;   in Loop: Header=BB4_2911 Depth=2
	v_bfe_u32 v23, v18, 23, 8
	v_or_b32_e32 v20, 0x800000, v54
	s_delay_alu instid0(VALU_DEP_2) | instskip(SKIP_1) | instid1(VALU_DEP_2)
	v_sub_nc_u32_e32 v18, 0x71, v23
	v_cmp_gt_u32_e32 vcc_lo, 0x72, v23
	v_cndmask_b32_e32 v18, 0, v18, vcc_lo
	v_cmp_eq_u32_e32 vcc_lo, 0, v23
	s_delay_alu instid0(VALU_DEP_2) | instskip(NEXT) | instid1(VALU_DEP_1)
	v_cndmask_b32_e64 v25, v18, 0x70, vcc_lo
	v_dual_cndmask_b32 v54, v20, v54, vcc_lo :: v_dual_add_nc_u32 v18, 21, v25
	v_add_nc_u32_e32 v21, 20, v25
	s_delay_alu instid0(VALU_DEP_2) | instskip(NEXT) | instid1(VALU_DEP_2)
	v_lshlrev_b64_e64 v[18:19], v18, -1
	v_lshlrev_b64_e64 v[20:21], v21, 1
	s_delay_alu instid0(VALU_DEP_2) | instskip(NEXT) | instid1(VALU_DEP_3)
	v_bfi_b32 v45, v19, 0, 0
	v_bfi_b32 v44, v18, 0, v54
	v_lshrrev_b64 v[18:19], v25, v[54:55]
	s_delay_alu instid0(VALU_DEP_2) | instskip(NEXT) | instid1(VALU_DEP_2)
	v_cmp_eq_u64_e64 s7, v[44:45], v[20:21]
	v_mov_b64_e32 v[20:21], v[18:19]
	s_and_saveexec_b32 s27, s7
; %bb.3615:                             ;   in Loop: Header=BB4_2911 Depth=2
	v_bfe_u32 v54, v18, 21, 1
	s_delay_alu instid0(VALU_DEP_1) | instskip(NEXT) | instid1(VALU_DEP_1)
	v_add_nc_u64_e32 v[20:21], v[18:19], v[54:55]
	v_add_nc_u64_e32 v[20:21], -1, v[20:21]
; %bb.3616:                             ;   in Loop: Header=BB4_2911 Depth=2
	s_or_b32 exec_lo, exec_lo, s27
	v_add_nc_u32_e32 v19, 0xffffff81, v23
	v_lshrrev_b32_e32 v21, 23, v18
	s_mov_b32 s7, exec_lo
	s_delay_alu instid0(VALU_DEP_2) | instskip(NEXT) | instid1(VALU_DEP_1)
	v_cndmask_b32_e64 v19, v19, 0xffffff82, vcc_lo
	v_add3_u32 v21, v25, v19, v21
	v_and_b32_e32 v19, 0x1fffff, v20
                                        ; implicit-def: $vgpr20
	s_delay_alu instid0(VALU_DEP_1) | instskip(NEXT) | instid1(VALU_DEP_1)
	v_dual_add_nc_u32 v23, 14, v21 :: v_dual_add_nc_u32 v54, v19, v18
                                        ; implicit-def: $vgpr18_vgpr19
	v_cmpx_ne_u32_e32 0, v23
	s_xor_b32 s7, exec_lo, s7
; %bb.3617:                             ;   in Loop: Header=BB4_2911 Depth=2
	s_delay_alu instid0(VALU_DEP_2) | instskip(SKIP_1) | instid1(VALU_DEP_1)
	v_cmp_lt_u64_e32 vcc_lo, 0xffffff, v[54:55]
	v_add_nc_u32_e32 v18, 15, v21
	v_cndmask_b32_e32 v20, v23, v18, vcc_lo
	v_cndmask_b32_e64 v18, 0, 1, vcc_lo
	s_delay_alu instid0(VALU_DEP_1)
	v_lshrrev_b64 v[18:19], v18, v[54:55]
; %bb.3618:                             ;   in Loop: Header=BB4_2911 Depth=2
	s_and_not1_saveexec_b32 s7, s7
; %bb.3619:                             ;   in Loop: Header=BB4_2911 Depth=2
	v_mov_b64_e32 v[18:19], v[54:55]
	v_bfe_u32 v20, v54, 23, 1
; %bb.3620:                             ;   in Loop: Header=BB4_2911 Depth=2
	s_or_b32 exec_lo, exec_lo, s7
	s_delay_alu instid0(VALU_DEP_2) | instskip(NEXT) | instid1(VALU_DEP_2)
	v_lshrrev_b64 v[18:19], 21, v[18:19]
	v_cmp_gt_i32_e32 vcc_lo, 32, v20
	v_min_i32_e32 v21, 31, v20
	v_cmp_eq_u32_e64 s7, 0, v20
	s_delay_alu instid0(VALU_DEP_2) | instskip(SKIP_1) | instid1(VALU_DEP_2)
	v_dual_cndmask_b32 v19, 0, v19, vcc_lo :: v_dual_lshlrev_b32 v21, 2, v21
	v_cndmask_b32_e32 v18, 3, v18, vcc_lo
	v_and_b32_e32 v21, 0xfc, v21
	s_delay_alu instid0(VALU_DEP_2) | instskip(NEXT) | instid1(VALU_DEP_2)
	v_cmp_eq_u64_e32 vcc_lo, 0, v[18:19]
	v_and_or_b32 v18, v18, 3, v21
	s_and_b32 s7, s7, vcc_lo
	s_delay_alu instid0(VALU_DEP_1) | instid1(SALU_CYCLE_1)
	v_cndmask_b32_e64 v18, v18, 0, s7
	s_delay_alu instid0(VALU_DEP_1)
	v_or_b32_e32 v23, v18, v24
.LBB4_3621:                             ;   in Loop: Header=BB4_2911 Depth=2
	s_or_b32 exec_lo, exec_lo, s26
                                        ; implicit-def: $vgpr24
.LBB4_3622:                             ;   in Loop: Header=BB4_2911 Depth=2
	s_and_not1_saveexec_b32 s7, s25
; %bb.3623:                             ;   in Loop: Header=BB4_2911 Depth=2
	v_or_b32_e32 v23, 0x7b, v24
; %bb.3624:                             ;   in Loop: Header=BB4_2911 Depth=2
	s_or_b32 exec_lo, exec_lo, s7
                                        ; implicit-def: $vgpr18
                                        ; implicit-def: $vgpr19
.LBB4_3625:                             ;   in Loop: Header=BB4_2911 Depth=2
	s_and_not1_saveexec_b32 s7, s24
	s_cbranch_execz .LBB4_3631
; %bb.3626:                             ;   in Loop: Header=BB4_2911 Depth=2
	s_mov_b32 s24, exec_lo
                                        ; implicit-def: $vgpr23
	v_cmpx_ne_u64_e32 0, v[54:55]
	s_xor_b32 s24, exec_lo, s24
; %bb.3627:                             ;   in Loop: Header=BB4_2911 Depth=2
	v_or_b32_e32 v23, 0x7f, v19
                                        ; implicit-def: $vgpr18
; %bb.3628:                             ;   in Loop: Header=BB4_2911 Depth=2
	s_and_not1_saveexec_b32 s24, s24
; %bb.3629:                             ;   in Loop: Header=BB4_2911 Depth=2
	v_cmp_lt_i32_e32 vcc_lo, -1, v18
	v_cndmask_b32_e32 v23, 0xfc, v110, vcc_lo
; %bb.3630:                             ;   in Loop: Header=BB4_2911 Depth=2
	s_or_b32 exec_lo, exec_lo, s24
.LBB4_3631:                             ;   in Loop: Header=BB4_2911 Depth=2
	s_delay_alu instid0(SALU_CYCLE_1) | instskip(SKIP_3) | instid1(VALU_DEP_2)
	s_or_b32 exec_lo, exec_lo, s7
	v_dual_mov_b32 v19, 0 :: v_dual_lshrrev_b32 v18, 16, v14
	v_mov_b32_e32 v20, 0
	s_mov_b32 s7, exec_lo
	v_and_b32_e32 v21, 0xff, v18
	s_delay_alu instid0(VALU_DEP_1)
	v_cmpx_ne_u16_e32 0, v21
	s_cbranch_execz .LBB4_3641
; %bb.3632:                             ;   in Loop: Header=BB4_2911 Depth=2
	v_bfrev_b32_e32 v20, 1
	s_mov_b32 s24, exec_lo
	v_cmpx_ne_u16_e32 0x80, v21
	s_cbranch_execz .LBB4_3640
; %bb.3633:                             ;   in Loop: Header=BB4_2911 Depth=2
	v_and_b32_e32 v20, 0x7c0000, v14
	v_bfe_u32 v21, v14, 16, 2
	s_delay_alu instid0(VALU_DEP_2) | instskip(SKIP_1) | instid1(SALU_CYCLE_1)
	v_cmp_ne_u32_e32 vcc_lo, 0x7c0000, v20
                                        ; implicit-def: $vgpr20
	s_and_saveexec_b32 s25, vcc_lo
	s_xor_b32 s25, exec_lo, s25
	s_cbranch_execz .LBB4_3637
; %bb.3634:                             ;   in Loop: Header=BB4_2911 Depth=2
	v_bfe_u32 v20, v14, 18, 5
	s_mov_b32 s26, exec_lo
	s_delay_alu instid0(VALU_DEP_1)
	v_cmpx_eq_u32_e32 0, v20
; %bb.3635:                             ;   in Loop: Header=BB4_2911 Depth=2
	v_clz_i32_u32_e32 v20, v21
	s_delay_alu instid0(VALU_DEP_1) | instskip(NEXT) | instid1(VALU_DEP_1)
	v_min_u32_e32 v20, 32, v20
	v_subrev_nc_u32_e32 v21, 29, v20
	v_sub_nc_u32_e32 v20, 30, v20
	s_delay_alu instid0(VALU_DEP_2) | instskip(NEXT) | instid1(VALU_DEP_1)
	v_lshlrev_b64_e32 v[24:25], v21, v[18:19]
	v_and_b32_e32 v21, 3, v24
; %bb.3636:                             ;   in Loop: Header=BB4_2911 Depth=2
	s_or_b32 exec_lo, exec_lo, s26
	v_lshlrev_b32_e32 v18, 24, v18
	s_delay_alu instid0(VALU_DEP_1) | instskip(NEXT) | instid1(VALU_DEP_1)
	v_and_b32_e32 v18, 0x80000000, v18
	v_lshl_add_u32 v18, v20, 23, v18
	s_delay_alu instid0(VALU_DEP_1) | instskip(NEXT) | instid1(VALU_DEP_1)
	v_lshl_or_b32 v18, v21, 21, v18
                                        ; implicit-def: $vgpr21
	v_add_nc_u32_e32 v20, 0x38000000, v18
                                        ; implicit-def: $vgpr18
.LBB4_3637:                             ;   in Loop: Header=BB4_2911 Depth=2
	s_and_not1_saveexec_b32 s25, s25
; %bb.3638:                             ;   in Loop: Header=BB4_2911 Depth=2
	v_bfe_i32 v18, v18, 0, 8
	s_delay_alu instid0(VALU_DEP_1) | instskip(SKIP_2) | instid1(VALU_DEP_2)
	v_cmp_lt_i16_e32 vcc_lo, -1, v18
	v_cndmask_b32_e32 v18, 0xff800000, v109, vcc_lo
	v_cmp_eq_u32_e32 vcc_lo, 0, v21
	v_cndmask_b32_e32 v20, 0x7f800001, v18, vcc_lo
; %bb.3639:                             ;   in Loop: Header=BB4_2911 Depth=2
	s_or_b32 exec_lo, exec_lo, s25
.LBB4_3640:                             ;   in Loop: Header=BB4_2911 Depth=2
	s_delay_alu instid0(SALU_CYCLE_1)
	s_or_b32 exec_lo, exec_lo, s24
.LBB4_3641:                             ;   in Loop: Header=BB4_2911 Depth=2
	s_delay_alu instid0(SALU_CYCLE_1) | instskip(SKIP_2) | instid1(VALU_DEP_1)
	s_or_b32 exec_lo, exec_lo, s7
	v_lshrrev_b32_e32 v18, 16, v10
	s_mov_b32 s7, exec_lo
	v_and_b32_e32 v21, 0xff, v18
	s_delay_alu instid0(VALU_DEP_1)
	v_cmpx_ne_u16_e32 0, v21
	s_cbranch_execz .LBB4_3651
; %bb.3642:                             ;   in Loop: Header=BB4_2911 Depth=2
	v_bfrev_b32_e32 v19, 1
	s_mov_b32 s24, exec_lo
	v_cmpx_ne_u16_e32 0x80, v21
	s_cbranch_execz .LBB4_3650
; %bb.3643:                             ;   in Loop: Header=BB4_2911 Depth=2
	v_and_b32_e32 v19, 0x7c0000, v10
	v_bfe_u32 v21, v10, 16, 2
	s_delay_alu instid0(VALU_DEP_2) | instskip(SKIP_1) | instid1(SALU_CYCLE_1)
	v_cmp_ne_u32_e32 vcc_lo, 0x7c0000, v19
                                        ; implicit-def: $vgpr19
	s_and_saveexec_b32 s25, vcc_lo
	s_xor_b32 s25, exec_lo, s25
	s_cbranch_execz .LBB4_3647
; %bb.3644:                             ;   in Loop: Header=BB4_2911 Depth=2
	v_bfe_u32 v19, v10, 18, 5
	s_mov_b32 s26, exec_lo
	s_delay_alu instid0(VALU_DEP_1)
	v_cmpx_eq_u32_e32 0, v19
; %bb.3645:                             ;   in Loop: Header=BB4_2911 Depth=2
	v_clz_i32_u32_e32 v19, v21
	s_delay_alu instid0(VALU_DEP_1) | instskip(NEXT) | instid1(VALU_DEP_1)
	v_min_u32_e32 v19, 32, v19
	v_subrev_nc_u32_e32 v21, 29, v19
	s_delay_alu instid0(VALU_DEP_1) | instskip(NEXT) | instid1(VALU_DEP_1)
	v_lshlrev_b64_e32 v[24:25], v21, v[18:19]
	v_dual_sub_nc_u32 v19, 30, v19 :: v_dual_bitop2_b32 v21, 3, v24 bitop3:0x40
; %bb.3646:                             ;   in Loop: Header=BB4_2911 Depth=2
	s_or_b32 exec_lo, exec_lo, s26
	v_lshlrev_b32_e32 v18, 24, v18
	s_delay_alu instid0(VALU_DEP_1) | instskip(NEXT) | instid1(VALU_DEP_1)
	v_and_b32_e32 v18, 0x80000000, v18
	v_lshl_add_u32 v18, v19, 23, v18
	s_delay_alu instid0(VALU_DEP_1) | instskip(NEXT) | instid1(VALU_DEP_1)
	v_lshl_or_b32 v18, v21, 21, v18
                                        ; implicit-def: $vgpr21
	v_add_nc_u32_e32 v19, 0x38000000, v18
                                        ; implicit-def: $vgpr18
.LBB4_3647:                             ;   in Loop: Header=BB4_2911 Depth=2
	s_and_not1_saveexec_b32 s25, s25
; %bb.3648:                             ;   in Loop: Header=BB4_2911 Depth=2
	v_bfe_i32 v18, v18, 0, 8
	s_delay_alu instid0(VALU_DEP_1) | instskip(SKIP_2) | instid1(VALU_DEP_2)
	v_cmp_lt_i16_e32 vcc_lo, -1, v18
	v_cndmask_b32_e32 v18, 0xff800000, v109, vcc_lo
	v_cmp_eq_u32_e32 vcc_lo, 0, v21
	v_cndmask_b32_e32 v19, 0x7f800001, v18, vcc_lo
; %bb.3649:                             ;   in Loop: Header=BB4_2911 Depth=2
	s_or_b32 exec_lo, exec_lo, s25
.LBB4_3650:                             ;   in Loop: Header=BB4_2911 Depth=2
	s_delay_alu instid0(SALU_CYCLE_1)
	s_or_b32 exec_lo, exec_lo, s24
.LBB4_3651:                             ;   in Loop: Header=BB4_2911 Depth=2
	s_delay_alu instid0(SALU_CYCLE_1) | instskip(NEXT) | instid1(VALU_DEP_1)
	s_or_b32 exec_lo, exec_lo, s7
	v_dual_mul_f32 v18, v20, v19 :: v_dual_mov_b32 v21, v55
                                        ; implicit-def: $vgpr24
	s_mov_b32 s7, exec_lo
	s_delay_alu instid0(VALU_DEP_1) | instskip(SKIP_2) | instid1(VALU_DEP_3)
	v_and_b32_e32 v20, 0x7f800000, v18
	v_and_b32_e32 v54, 0x7fffff, v18
	v_lshrrev_b32_e32 v19, 24, v18
	v_cmpx_ne_u64_e32 0x7f800000, v[20:21]
	s_xor_b32 s24, exec_lo, s7
	s_cbranch_execz .LBB4_3665
; %bb.3652:                             ;   in Loop: Header=BB4_2911 Depth=2
	v_and_b32_e32 v20, 0x7fffffff, v18
	v_mov_b32_e32 v21, v55
	v_and_b32_e32 v25, 0x80, v19
                                        ; implicit-def: $vgpr24
	s_mov_b32 s7, exec_lo
	s_delay_alu instid0(VALU_DEP_2)
	v_cmpx_gt_u64_e32 0x47600001, v[20:21]
	s_xor_b32 s25, exec_lo, s7
	s_cbranch_execz .LBB4_3662
; %bb.3653:                             ;   in Loop: Header=BB4_2911 Depth=2
	v_mov_b32_e32 v24, 0
	s_mov_b32 s26, exec_lo
	v_cmpx_ne_u32_e32 0, v18
	s_cbranch_execz .LBB4_3661
; %bb.3654:                             ;   in Loop: Header=BB4_2911 Depth=2
	v_bfe_u32 v24, v18, 23, 8
	v_or_b32_e32 v20, 0x800000, v54
	s_delay_alu instid0(VALU_DEP_2) | instskip(SKIP_1) | instid1(VALU_DEP_2)
	v_sub_nc_u32_e32 v18, 0x71, v24
	v_cmp_gt_u32_e32 vcc_lo, 0x72, v24
	v_cndmask_b32_e32 v18, 0, v18, vcc_lo
	v_cmp_eq_u32_e32 vcc_lo, 0, v24
	s_delay_alu instid0(VALU_DEP_2) | instskip(NEXT) | instid1(VALU_DEP_1)
	v_cndmask_b32_e64 v44, v18, 0x70, vcc_lo
	v_dual_cndmask_b32 v54, v20, v54, vcc_lo :: v_dual_add_nc_u32 v18, 21, v44
	v_add_nc_u32_e32 v21, 20, v44
	s_delay_alu instid0(VALU_DEP_2) | instskip(NEXT) | instid1(VALU_DEP_2)
	v_lshlrev_b64_e64 v[18:19], v18, -1
	v_lshlrev_b64_e64 v[20:21], v21, 1
	s_delay_alu instid0(VALU_DEP_2) | instskip(NEXT) | instid1(VALU_DEP_3)
	v_bfi_b32 v47, v19, 0, 0
	v_bfi_b32 v46, v18, 0, v54
	v_lshrrev_b64 v[18:19], v44, v[54:55]
	s_delay_alu instid0(VALU_DEP_2) | instskip(NEXT) | instid1(VALU_DEP_2)
	v_cmp_eq_u64_e64 s7, v[46:47], v[20:21]
	v_mov_b64_e32 v[20:21], v[18:19]
	s_and_saveexec_b32 s27, s7
; %bb.3655:                             ;   in Loop: Header=BB4_2911 Depth=2
	v_bfe_u32 v54, v18, 21, 1
	s_delay_alu instid0(VALU_DEP_1) | instskip(NEXT) | instid1(VALU_DEP_1)
	v_add_nc_u64_e32 v[20:21], v[18:19], v[54:55]
	v_add_nc_u64_e32 v[20:21], -1, v[20:21]
; %bb.3656:                             ;   in Loop: Header=BB4_2911 Depth=2
	s_or_b32 exec_lo, exec_lo, s27
	v_add_nc_u32_e32 v19, 0xffffff81, v24
	v_lshrrev_b32_e32 v21, 23, v18
	s_mov_b32 s7, exec_lo
	s_delay_alu instid0(VALU_DEP_2) | instskip(NEXT) | instid1(VALU_DEP_1)
	v_cndmask_b32_e64 v19, v19, 0xffffff82, vcc_lo
	v_add3_u32 v21, v44, v19, v21
	v_and_b32_e32 v19, 0x1fffff, v20
                                        ; implicit-def: $vgpr20
	s_delay_alu instid0(VALU_DEP_1) | instskip(NEXT) | instid1(VALU_DEP_1)
	v_dual_add_nc_u32 v24, 14, v21 :: v_dual_add_nc_u32 v54, v19, v18
                                        ; implicit-def: $vgpr18_vgpr19
	v_cmpx_ne_u32_e32 0, v24
	s_xor_b32 s7, exec_lo, s7
; %bb.3657:                             ;   in Loop: Header=BB4_2911 Depth=2
	s_delay_alu instid0(VALU_DEP_2) | instskip(SKIP_1) | instid1(VALU_DEP_1)
	v_cmp_lt_u64_e32 vcc_lo, 0xffffff, v[54:55]
	v_add_nc_u32_e32 v18, 15, v21
	v_cndmask_b32_e32 v20, v24, v18, vcc_lo
	v_cndmask_b32_e64 v18, 0, 1, vcc_lo
	s_delay_alu instid0(VALU_DEP_1)
	v_lshrrev_b64 v[18:19], v18, v[54:55]
; %bb.3658:                             ;   in Loop: Header=BB4_2911 Depth=2
	s_and_not1_saveexec_b32 s7, s7
; %bb.3659:                             ;   in Loop: Header=BB4_2911 Depth=2
	v_mov_b64_e32 v[18:19], v[54:55]
	v_bfe_u32 v20, v54, 23, 1
; %bb.3660:                             ;   in Loop: Header=BB4_2911 Depth=2
	s_or_b32 exec_lo, exec_lo, s7
	s_delay_alu instid0(VALU_DEP_2) | instskip(NEXT) | instid1(VALU_DEP_2)
	v_lshrrev_b64 v[18:19], 21, v[18:19]
	v_cmp_gt_i32_e32 vcc_lo, 32, v20
	v_min_i32_e32 v21, 31, v20
	v_cmp_eq_u32_e64 s7, 0, v20
	s_delay_alu instid0(VALU_DEP_2) | instskip(SKIP_1) | instid1(VALU_DEP_2)
	v_dual_cndmask_b32 v19, 0, v19, vcc_lo :: v_dual_lshlrev_b32 v21, 2, v21
	v_cndmask_b32_e32 v18, 3, v18, vcc_lo
	v_and_b32_e32 v21, 0xfc, v21
	s_delay_alu instid0(VALU_DEP_2) | instskip(NEXT) | instid1(VALU_DEP_2)
	v_cmp_eq_u64_e32 vcc_lo, 0, v[18:19]
	v_and_or_b32 v18, v18, 3, v21
	s_and_b32 s7, s7, vcc_lo
	s_delay_alu instid0(VALU_DEP_1) | instid1(SALU_CYCLE_1)
	v_cndmask_b32_e64 v18, v18, 0, s7
	s_delay_alu instid0(VALU_DEP_1)
	v_or_b32_e32 v24, v18, v25
.LBB4_3661:                             ;   in Loop: Header=BB4_2911 Depth=2
	s_or_b32 exec_lo, exec_lo, s26
                                        ; implicit-def: $vgpr25
.LBB4_3662:                             ;   in Loop: Header=BB4_2911 Depth=2
	s_and_not1_saveexec_b32 s7, s25
; %bb.3663:                             ;   in Loop: Header=BB4_2911 Depth=2
	v_or_b32_e32 v24, 0x7b, v25
; %bb.3664:                             ;   in Loop: Header=BB4_2911 Depth=2
	s_or_b32 exec_lo, exec_lo, s7
                                        ; implicit-def: $vgpr18
                                        ; implicit-def: $vgpr19
.LBB4_3665:                             ;   in Loop: Header=BB4_2911 Depth=2
	s_and_not1_saveexec_b32 s7, s24
	s_cbranch_execz .LBB4_3671
; %bb.3666:                             ;   in Loop: Header=BB4_2911 Depth=2
	s_mov_b32 s24, exec_lo
                                        ; implicit-def: $vgpr24
	v_cmpx_ne_u64_e32 0, v[54:55]
	s_xor_b32 s24, exec_lo, s24
; %bb.3667:                             ;   in Loop: Header=BB4_2911 Depth=2
	v_or_b32_e32 v24, 0x7f, v19
                                        ; implicit-def: $vgpr18
; %bb.3668:                             ;   in Loop: Header=BB4_2911 Depth=2
	s_and_not1_saveexec_b32 s24, s24
; %bb.3669:                             ;   in Loop: Header=BB4_2911 Depth=2
	v_cmp_lt_i32_e32 vcc_lo, -1, v18
	v_cndmask_b32_e32 v24, 0xfc, v110, vcc_lo
; %bb.3670:                             ;   in Loop: Header=BB4_2911 Depth=2
	s_or_b32 exec_lo, exec_lo, s24
.LBB4_3671:                             ;   in Loop: Header=BB4_2911 Depth=2
	s_delay_alu instid0(SALU_CYCLE_1)
	s_or_b32 exec_lo, exec_lo, s7
	v_dual_mov_b32 v19, 0 :: v_dual_mov_b32 v20, 0
	s_mov_b32 s7, exec_lo
	v_cmpx_lt_u32_e32 0xffffff, v14
	s_cbranch_execz .LBB4_3681
; %bb.3672:                             ;   in Loop: Header=BB4_2911 Depth=2
	v_lshrrev_b32_e32 v18, 24, v14
	v_bfrev_b32_e32 v20, 1
	s_mov_b32 s24, exec_lo
	s_delay_alu instid0(VALU_DEP_2)
	v_cmpx_ne_u32_e32 0x80, v18
	s_cbranch_execz .LBB4_3680
; %bb.3673:                             ;   in Loop: Header=BB4_2911 Depth=2
	v_and_b32_e32 v20, 0x7c000000, v14
	v_bfe_u32 v21, v14, 24, 2
	s_delay_alu instid0(VALU_DEP_2) | instskip(SKIP_1) | instid1(SALU_CYCLE_1)
	v_cmp_ne_u32_e32 vcc_lo, 0x7c000000, v20
                                        ; implicit-def: $vgpr20
	s_and_saveexec_b32 s25, vcc_lo
	s_xor_b32 s25, exec_lo, s25
	s_cbranch_execz .LBB4_3677
; %bb.3674:                             ;   in Loop: Header=BB4_2911 Depth=2
	v_bfe_u32 v20, v14, 26, 5
	s_mov_b32 s26, exec_lo
	s_delay_alu instid0(VALU_DEP_1)
	v_cmpx_eq_u32_e32 0, v20
; %bb.3675:                             ;   in Loop: Header=BB4_2911 Depth=2
	v_clz_i32_u32_e32 v20, v21
	s_delay_alu instid0(VALU_DEP_1) | instskip(NEXT) | instid1(VALU_DEP_1)
	v_min_u32_e32 v20, 32, v20
	v_subrev_nc_u32_e32 v21, 29, v20
	v_sub_nc_u32_e32 v20, 30, v20
	s_delay_alu instid0(VALU_DEP_2) | instskip(NEXT) | instid1(VALU_DEP_1)
	v_lshlrev_b64_e32 v[44:45], v21, v[18:19]
	v_and_b32_e32 v21, 3, v44
; %bb.3676:                             ;   in Loop: Header=BB4_2911 Depth=2
	s_or_b32 exec_lo, exec_lo, s26
	v_and_b32_e32 v18, 0x80000000, v14
	s_delay_alu instid0(VALU_DEP_1) | instskip(NEXT) | instid1(VALU_DEP_1)
	v_lshl_add_u32 v18, v20, 23, v18
	v_lshl_or_b32 v18, v21, 21, v18
                                        ; implicit-def: $vgpr21
	s_delay_alu instid0(VALU_DEP_1)
	v_add_nc_u32_e32 v20, 0x38000000, v18
.LBB4_3677:                             ;   in Loop: Header=BB4_2911 Depth=2
	s_and_not1_saveexec_b32 s25, s25
; %bb.3678:                             ;   in Loop: Header=BB4_2911 Depth=2
	v_cmp_lt_i32_e32 vcc_lo, -1, v14
	v_cndmask_b32_e32 v18, 0xff800000, v109, vcc_lo
	v_cmp_eq_u32_e32 vcc_lo, 0, v21
	s_delay_alu instid0(VALU_DEP_2)
	v_cndmask_b32_e32 v20, 0x7f800001, v18, vcc_lo
; %bb.3679:                             ;   in Loop: Header=BB4_2911 Depth=2
	s_or_b32 exec_lo, exec_lo, s25
.LBB4_3680:                             ;   in Loop: Header=BB4_2911 Depth=2
	s_delay_alu instid0(SALU_CYCLE_1)
	s_or_b32 exec_lo, exec_lo, s24
.LBB4_3681:                             ;   in Loop: Header=BB4_2911 Depth=2
	s_delay_alu instid0(SALU_CYCLE_1) | instskip(NEXT) | instid1(SALU_CYCLE_1)
	s_or_b32 exec_lo, exec_lo, s7
	s_mov_b32 s7, exec_lo
	v_cmpx_lt_u32_e32 0xffffff, v10
	s_cbranch_execz .LBB4_3691
; %bb.3682:                             ;   in Loop: Header=BB4_2911 Depth=2
	v_lshrrev_b32_e32 v18, 24, v10
	v_bfrev_b32_e32 v19, 1
	s_mov_b32 s24, exec_lo
	s_delay_alu instid0(VALU_DEP_2)
	v_cmpx_ne_u32_e32 0x80, v18
	s_cbranch_execz .LBB4_3690
; %bb.3683:                             ;   in Loop: Header=BB4_2911 Depth=2
	v_and_b32_e32 v19, 0x7c000000, v10
	v_bfe_u32 v21, v10, 24, 2
	s_delay_alu instid0(VALU_DEP_2) | instskip(SKIP_1) | instid1(SALU_CYCLE_1)
	v_cmp_ne_u32_e32 vcc_lo, 0x7c000000, v19
                                        ; implicit-def: $vgpr19
	s_and_saveexec_b32 s25, vcc_lo
	s_xor_b32 s25, exec_lo, s25
	s_cbranch_execz .LBB4_3687
; %bb.3684:                             ;   in Loop: Header=BB4_2911 Depth=2
	v_bfe_u32 v19, v10, 26, 5
	s_mov_b32 s26, exec_lo
	s_delay_alu instid0(VALU_DEP_1)
	v_cmpx_eq_u32_e32 0, v19
; %bb.3685:                             ;   in Loop: Header=BB4_2911 Depth=2
	v_clz_i32_u32_e32 v19, v21
	s_delay_alu instid0(VALU_DEP_1) | instskip(NEXT) | instid1(VALU_DEP_1)
	v_min_u32_e32 v21, 32, v19
	v_subrev_nc_u32_e32 v19, 29, v21
	s_delay_alu instid0(VALU_DEP_1) | instskip(NEXT) | instid1(VALU_DEP_1)
	v_lshlrev_b64_e32 v[18:19], v19, v[18:19]
	v_dual_sub_nc_u32 v19, 30, v21 :: v_dual_bitop2_b32 v21, 3, v18 bitop3:0x40
; %bb.3686:                             ;   in Loop: Header=BB4_2911 Depth=2
	s_or_b32 exec_lo, exec_lo, s26
	v_and_b32_e32 v18, 0x80000000, v10
	s_delay_alu instid0(VALU_DEP_1) | instskip(NEXT) | instid1(VALU_DEP_1)
	v_lshl_add_u32 v18, v19, 23, v18
	v_lshl_or_b32 v18, v21, 21, v18
                                        ; implicit-def: $vgpr21
	s_delay_alu instid0(VALU_DEP_1)
	v_add_nc_u32_e32 v19, 0x38000000, v18
.LBB4_3687:                             ;   in Loop: Header=BB4_2911 Depth=2
	s_and_not1_saveexec_b32 s25, s25
; %bb.3688:                             ;   in Loop: Header=BB4_2911 Depth=2
	v_cmp_lt_i32_e32 vcc_lo, -1, v10
	v_cndmask_b32_e32 v18, 0xff800000, v109, vcc_lo
	v_cmp_eq_u32_e32 vcc_lo, 0, v21
	s_delay_alu instid0(VALU_DEP_2)
	v_cndmask_b32_e32 v19, 0x7f800001, v18, vcc_lo
; %bb.3689:                             ;   in Loop: Header=BB4_2911 Depth=2
	s_or_b32 exec_lo, exec_lo, s25
.LBB4_3690:                             ;   in Loop: Header=BB4_2911 Depth=2
	s_delay_alu instid0(SALU_CYCLE_1)
	s_or_b32 exec_lo, exec_lo, s24
.LBB4_3691:                             ;   in Loop: Header=BB4_2911 Depth=2
	s_delay_alu instid0(SALU_CYCLE_1) | instskip(NEXT) | instid1(VALU_DEP_1)
	s_or_b32 exec_lo, exec_lo, s7
	v_dual_mul_f32 v18, v20, v19 :: v_dual_mov_b32 v21, v55
                                        ; implicit-def: $vgpr25
	s_mov_b32 s7, exec_lo
	s_delay_alu instid0(VALU_DEP_1) | instskip(SKIP_2) | instid1(VALU_DEP_3)
	v_and_b32_e32 v20, 0x7f800000, v18
	v_and_b32_e32 v54, 0x7fffff, v18
	v_lshrrev_b32_e32 v19, 24, v18
	v_cmpx_ne_u64_e32 0x7f800000, v[20:21]
	s_xor_b32 s24, exec_lo, s7
	s_cbranch_execz .LBB4_3705
; %bb.3692:                             ;   in Loop: Header=BB4_2911 Depth=2
	v_and_b32_e32 v20, 0x7fffffff, v18
	v_mov_b32_e32 v21, v55
	v_and_b32_e32 v44, 0x80, v19
                                        ; implicit-def: $vgpr25
	s_mov_b32 s7, exec_lo
	s_delay_alu instid0(VALU_DEP_2)
	v_cmpx_gt_u64_e32 0x47600001, v[20:21]
	s_xor_b32 s25, exec_lo, s7
	s_cbranch_execz .LBB4_3702
; %bb.3693:                             ;   in Loop: Header=BB4_2911 Depth=2
	v_mov_b32_e32 v25, 0
	s_mov_b32 s26, exec_lo
	v_cmpx_ne_u32_e32 0, v18
	s_cbranch_execz .LBB4_3701
; %bb.3694:                             ;   in Loop: Header=BB4_2911 Depth=2
	v_bfe_u32 v25, v18, 23, 8
	v_or_b32_e32 v20, 0x800000, v54
	s_delay_alu instid0(VALU_DEP_2) | instskip(SKIP_1) | instid1(VALU_DEP_2)
	v_sub_nc_u32_e32 v18, 0x71, v25
	v_cmp_gt_u32_e32 vcc_lo, 0x72, v25
	v_cndmask_b32_e32 v18, 0, v18, vcc_lo
	v_cmp_eq_u32_e32 vcc_lo, 0, v25
	s_delay_alu instid0(VALU_DEP_2) | instskip(NEXT) | instid1(VALU_DEP_1)
	v_cndmask_b32_e64 v45, v18, 0x70, vcc_lo
	v_dual_cndmask_b32 v54, v20, v54, vcc_lo :: v_dual_add_nc_u32 v18, 21, v45
	v_add_nc_u32_e32 v21, 20, v45
	s_delay_alu instid0(VALU_DEP_2) | instskip(NEXT) | instid1(VALU_DEP_2)
	v_lshlrev_b64_e64 v[18:19], v18, -1
	v_lshlrev_b64_e64 v[20:21], v21, 1
	s_delay_alu instid0(VALU_DEP_2) | instskip(NEXT) | instid1(VALU_DEP_3)
	v_bfi_b32 v47, v19, 0, 0
	v_bfi_b32 v46, v18, 0, v54
	v_lshrrev_b64 v[18:19], v45, v[54:55]
	s_delay_alu instid0(VALU_DEP_2) | instskip(NEXT) | instid1(VALU_DEP_2)
	v_cmp_eq_u64_e64 s7, v[46:47], v[20:21]
	v_mov_b64_e32 v[20:21], v[18:19]
	s_and_saveexec_b32 s27, s7
; %bb.3695:                             ;   in Loop: Header=BB4_2911 Depth=2
	v_bfe_u32 v54, v18, 21, 1
	s_delay_alu instid0(VALU_DEP_1) | instskip(NEXT) | instid1(VALU_DEP_1)
	v_add_nc_u64_e32 v[20:21], v[18:19], v[54:55]
	v_add_nc_u64_e32 v[20:21], -1, v[20:21]
; %bb.3696:                             ;   in Loop: Header=BB4_2911 Depth=2
	s_or_b32 exec_lo, exec_lo, s27
	v_add_nc_u32_e32 v19, 0xffffff81, v25
	v_lshrrev_b32_e32 v21, 23, v18
	s_mov_b32 s7, exec_lo
	s_delay_alu instid0(VALU_DEP_2) | instskip(NEXT) | instid1(VALU_DEP_1)
	v_cndmask_b32_e64 v19, v19, 0xffffff82, vcc_lo
	v_add3_u32 v21, v45, v19, v21
	v_and_b32_e32 v19, 0x1fffff, v20
                                        ; implicit-def: $vgpr20
	s_delay_alu instid0(VALU_DEP_1) | instskip(NEXT) | instid1(VALU_DEP_1)
	v_dual_add_nc_u32 v25, 14, v21 :: v_dual_add_nc_u32 v54, v19, v18
                                        ; implicit-def: $vgpr18_vgpr19
	v_cmpx_ne_u32_e32 0, v25
	s_xor_b32 s7, exec_lo, s7
; %bb.3697:                             ;   in Loop: Header=BB4_2911 Depth=2
	s_delay_alu instid0(VALU_DEP_2) | instskip(SKIP_1) | instid1(VALU_DEP_1)
	v_cmp_lt_u64_e32 vcc_lo, 0xffffff, v[54:55]
	v_add_nc_u32_e32 v18, 15, v21
	v_cndmask_b32_e32 v20, v25, v18, vcc_lo
	v_cndmask_b32_e64 v18, 0, 1, vcc_lo
	s_delay_alu instid0(VALU_DEP_1)
	v_lshrrev_b64 v[18:19], v18, v[54:55]
; %bb.3698:                             ;   in Loop: Header=BB4_2911 Depth=2
	s_and_not1_saveexec_b32 s7, s7
; %bb.3699:                             ;   in Loop: Header=BB4_2911 Depth=2
	v_mov_b64_e32 v[18:19], v[54:55]
	v_bfe_u32 v20, v54, 23, 1
; %bb.3700:                             ;   in Loop: Header=BB4_2911 Depth=2
	s_or_b32 exec_lo, exec_lo, s7
	s_delay_alu instid0(VALU_DEP_2) | instskip(NEXT) | instid1(VALU_DEP_2)
	v_lshrrev_b64 v[18:19], 21, v[18:19]
	v_cmp_gt_i32_e32 vcc_lo, 32, v20
	v_min_i32_e32 v21, 31, v20
	v_cmp_eq_u32_e64 s7, 0, v20
	s_delay_alu instid0(VALU_DEP_2) | instskip(SKIP_1) | instid1(VALU_DEP_2)
	v_dual_cndmask_b32 v19, 0, v19, vcc_lo :: v_dual_lshlrev_b32 v21, 2, v21
	v_cndmask_b32_e32 v18, 3, v18, vcc_lo
	v_and_b32_e32 v21, 0xfc, v21
	s_delay_alu instid0(VALU_DEP_2) | instskip(NEXT) | instid1(VALU_DEP_2)
	v_cmp_eq_u64_e32 vcc_lo, 0, v[18:19]
	v_and_or_b32 v18, v18, 3, v21
	s_and_b32 s7, s7, vcc_lo
	s_delay_alu instid0(VALU_DEP_1) | instid1(SALU_CYCLE_1)
	v_cndmask_b32_e64 v18, v18, 0, s7
	s_delay_alu instid0(VALU_DEP_1)
	v_or_b32_e32 v25, v18, v44
.LBB4_3701:                             ;   in Loop: Header=BB4_2911 Depth=2
	s_or_b32 exec_lo, exec_lo, s26
                                        ; implicit-def: $vgpr44
.LBB4_3702:                             ;   in Loop: Header=BB4_2911 Depth=2
	s_and_not1_saveexec_b32 s7, s25
; %bb.3703:                             ;   in Loop: Header=BB4_2911 Depth=2
	v_or_b32_e32 v25, 0x7b, v44
; %bb.3704:                             ;   in Loop: Header=BB4_2911 Depth=2
	s_or_b32 exec_lo, exec_lo, s7
                                        ; implicit-def: $vgpr18
                                        ; implicit-def: $vgpr19
.LBB4_3705:                             ;   in Loop: Header=BB4_2911 Depth=2
	s_and_not1_saveexec_b32 s7, s24
	s_cbranch_execz .LBB4_3711
; %bb.3706:                             ;   in Loop: Header=BB4_2911 Depth=2
	s_mov_b32 s24, exec_lo
                                        ; implicit-def: $vgpr25
	v_cmpx_ne_u64_e32 0, v[54:55]
	s_xor_b32 s24, exec_lo, s24
; %bb.3707:                             ;   in Loop: Header=BB4_2911 Depth=2
	v_or_b32_e32 v25, 0x7f, v19
                                        ; implicit-def: $vgpr18
; %bb.3708:                             ;   in Loop: Header=BB4_2911 Depth=2
	s_and_not1_saveexec_b32 s24, s24
; %bb.3709:                             ;   in Loop: Header=BB4_2911 Depth=2
	v_cmp_lt_i32_e32 vcc_lo, -1, v18
	v_cndmask_b32_e32 v25, 0xfc, v110, vcc_lo
; %bb.3710:                             ;   in Loop: Header=BB4_2911 Depth=2
	s_or_b32 exec_lo, exec_lo, s24
.LBB4_3711:                             ;   in Loop: Header=BB4_2911 Depth=2
	s_delay_alu instid0(SALU_CYCLE_1) | instskip(SKIP_4) | instid1(VALU_DEP_3)
	s_or_b32 exec_lo, exec_lo, s7
	v_and_b32_e32 v20, 0xff, v15
	v_dual_mov_b32 v54, v15 :: v_dual_mov_b32 v19, 0
	v_mov_b32_e32 v18, 0
	s_mov_b32 s7, exec_lo
	v_cmpx_ne_u16_e32 0, v20
	s_cbranch_execz .LBB4_3721
; %bb.3712:                             ;   in Loop: Header=BB4_2911 Depth=2
	v_bfrev_b32_e32 v18, 1
	s_mov_b32 s24, exec_lo
	v_cmpx_ne_u16_e32 0x80, v20
	s_cbranch_execz .LBB4_3720
; %bb.3713:                             ;   in Loop: Header=BB4_2911 Depth=2
	v_and_b32_e32 v18, 0x7c, v15
	v_and_b32_e32 v20, 3, v15
	s_delay_alu instid0(VALU_DEP_2) | instskip(SKIP_1) | instid1(SALU_CYCLE_1)
	v_cmp_ne_u32_e32 vcc_lo, 0x7c, v18
                                        ; implicit-def: $vgpr18
	s_and_saveexec_b32 s25, vcc_lo
	s_xor_b32 s25, exec_lo, s25
	s_cbranch_execz .LBB4_3717
; %bb.3714:                             ;   in Loop: Header=BB4_2911 Depth=2
	v_bfe_u32 v18, v15, 2, 5
	s_mov_b32 s26, exec_lo
	s_delay_alu instid0(VALU_DEP_1)
	v_cmpx_eq_u32_e32 0, v18
; %bb.3715:                             ;   in Loop: Header=BB4_2911 Depth=2
	v_clz_i32_u32_e32 v18, v20
	s_delay_alu instid0(VALU_DEP_1) | instskip(NEXT) | instid1(VALU_DEP_1)
	v_min_u32_e32 v18, 32, v18
	v_subrev_nc_u32_e32 v20, 29, v18
	s_delay_alu instid0(VALU_DEP_1) | instskip(NEXT) | instid1(VALU_DEP_1)
	v_lshlrev_b64_e32 v[20:21], v20, v[54:55]
	v_dual_sub_nc_u32 v18, 30, v18 :: v_dual_bitop2_b32 v20, 3, v20 bitop3:0x40
; %bb.3716:                             ;   in Loop: Header=BB4_2911 Depth=2
	s_or_b32 exec_lo, exec_lo, s26
	v_lshlrev_b32_e32 v21, 24, v15
	s_delay_alu instid0(VALU_DEP_1) | instskip(NEXT) | instid1(VALU_DEP_1)
	v_and_b32_e32 v21, 0x80000000, v21
	v_lshl_add_u32 v18, v18, 23, v21
	s_delay_alu instid0(VALU_DEP_1) | instskip(NEXT) | instid1(VALU_DEP_1)
	v_lshl_or_b32 v18, v20, 21, v18
                                        ; implicit-def: $vgpr20
	v_add_nc_u32_e32 v18, 0x38000000, v18
.LBB4_3717:                             ;   in Loop: Header=BB4_2911 Depth=2
	s_and_not1_saveexec_b32 s25, s25
; %bb.3718:                             ;   in Loop: Header=BB4_2911 Depth=2
	v_bfe_i32 v18, v15, 0, 8
	s_delay_alu instid0(VALU_DEP_1) | instskip(SKIP_2) | instid1(VALU_DEP_2)
	v_cmp_lt_i16_e32 vcc_lo, -1, v18
	v_cndmask_b32_e32 v18, 0xff800000, v109, vcc_lo
	v_cmp_eq_u32_e32 vcc_lo, 0, v20
	v_cndmask_b32_e32 v18, 0x7f800001, v18, vcc_lo
; %bb.3719:                             ;   in Loop: Header=BB4_2911 Depth=2
	s_or_b32 exec_lo, exec_lo, s25
.LBB4_3720:                             ;   in Loop: Header=BB4_2911 Depth=2
	s_delay_alu instid0(SALU_CYCLE_1)
	s_or_b32 exec_lo, exec_lo, s24
.LBB4_3721:                             ;   in Loop: Header=BB4_2911 Depth=2
	s_delay_alu instid0(SALU_CYCLE_1) | instskip(SKIP_2) | instid1(VALU_DEP_1)
	s_or_b32 exec_lo, exec_lo, s7
	v_and_b32_e32 v20, 0xff, v11
	s_mov_b32 s7, exec_lo
	v_cmpx_ne_u16_e32 0, v20
	s_cbranch_execz .LBB4_3731
; %bb.3722:                             ;   in Loop: Header=BB4_2911 Depth=2
	v_bfrev_b32_e32 v19, 1
	s_mov_b32 s24, exec_lo
	v_cmpx_ne_u16_e32 0x80, v20
	s_cbranch_execz .LBB4_3730
; %bb.3723:                             ;   in Loop: Header=BB4_2911 Depth=2
	v_and_b32_e32 v19, 0x7c, v11
	v_and_b32_e32 v20, 3, v11
	s_delay_alu instid0(VALU_DEP_2) | instskip(SKIP_1) | instid1(SALU_CYCLE_1)
	v_cmp_ne_u32_e32 vcc_lo, 0x7c, v19
                                        ; implicit-def: $vgpr19
	s_and_saveexec_b32 s25, vcc_lo
	s_xor_b32 s25, exec_lo, s25
	s_cbranch_execz .LBB4_3727
; %bb.3724:                             ;   in Loop: Header=BB4_2911 Depth=2
	v_bfe_u32 v19, v11, 2, 5
	s_mov_b32 s26, exec_lo
	s_delay_alu instid0(VALU_DEP_1)
	v_cmpx_eq_u32_e32 0, v19
; %bb.3725:                             ;   in Loop: Header=BB4_2911 Depth=2
	v_clz_i32_u32_e32 v19, v20
	v_dual_mov_b32 v20, v11 :: v_dual_mov_b32 v21, v55
	s_delay_alu instid0(VALU_DEP_2) | instskip(NEXT) | instid1(VALU_DEP_1)
	v_min_u32_e32 v19, 32, v19
	v_subrev_nc_u32_e32 v44, 29, v19
	s_delay_alu instid0(VALU_DEP_1) | instskip(NEXT) | instid1(VALU_DEP_1)
	v_lshlrev_b64_e32 v[20:21], v44, v[20:21]
	v_dual_sub_nc_u32 v19, 30, v19 :: v_dual_bitop2_b32 v20, 3, v20 bitop3:0x40
; %bb.3726:                             ;   in Loop: Header=BB4_2911 Depth=2
	s_or_b32 exec_lo, exec_lo, s26
	v_lshlrev_b32_e32 v21, 24, v11
	s_delay_alu instid0(VALU_DEP_1) | instskip(NEXT) | instid1(VALU_DEP_1)
	v_and_b32_e32 v21, 0x80000000, v21
	v_lshl_add_u32 v19, v19, 23, v21
	s_delay_alu instid0(VALU_DEP_1) | instskip(NEXT) | instid1(VALU_DEP_1)
	v_lshl_or_b32 v19, v20, 21, v19
                                        ; implicit-def: $vgpr20
	v_add_nc_u32_e32 v19, 0x38000000, v19
.LBB4_3727:                             ;   in Loop: Header=BB4_2911 Depth=2
	s_and_not1_saveexec_b32 s25, s25
; %bb.3728:                             ;   in Loop: Header=BB4_2911 Depth=2
	v_bfe_i32 v19, v11, 0, 8
	s_delay_alu instid0(VALU_DEP_1) | instskip(SKIP_2) | instid1(VALU_DEP_2)
	v_cmp_lt_i16_e32 vcc_lo, -1, v19
	v_cndmask_b32_e32 v19, 0xff800000, v109, vcc_lo
	v_cmp_eq_u32_e32 vcc_lo, 0, v20
	v_cndmask_b32_e32 v19, 0x7f800001, v19, vcc_lo
; %bb.3729:                             ;   in Loop: Header=BB4_2911 Depth=2
	s_or_b32 exec_lo, exec_lo, s25
.LBB4_3730:                             ;   in Loop: Header=BB4_2911 Depth=2
	s_delay_alu instid0(SALU_CYCLE_1)
	s_or_b32 exec_lo, exec_lo, s24
.LBB4_3731:                             ;   in Loop: Header=BB4_2911 Depth=2
	s_delay_alu instid0(SALU_CYCLE_1) | instskip(NEXT) | instid1(VALU_DEP_1)
	s_or_b32 exec_lo, exec_lo, s7
	v_dual_mul_f32 v20, v18, v19 :: v_dual_mov_b32 v45, v55
	s_delay_alu instid0(VALU_DEP_1) | instskip(SKIP_2) | instid1(VALU_DEP_2)
	v_dual_mov_b32 v19, v55 :: v_dual_lshrrev_b32 v21, 24, v20
	v_and_b32_e32 v44, 0x7f800000, v20
	v_and_b32_e32 v18, 0x7fffff, v20
	v_cmp_ne_u64_e32 vcc_lo, 0x7f800000, v[44:45]
                                        ; implicit-def: $vgpr44
	s_and_saveexec_b32 s7, vcc_lo
	s_delay_alu instid0(SALU_CYCLE_1)
	s_xor_b32 s24, exec_lo, s7
	s_cbranch_execz .LBB4_3745
; %bb.3732:                             ;   in Loop: Header=BB4_2911 Depth=2
	v_and_b32_e32 v44, 0x7fffffff, v20
	v_mov_b32_e32 v45, v55
	s_delay_alu instid0(VALU_DEP_1) | instskip(SKIP_2) | instid1(SALU_CYCLE_1)
	v_cmp_gt_u64_e32 vcc_lo, 0x47600001, v[44:45]
	v_and_b32_e32 v45, 0x80, v21
                                        ; implicit-def: $vgpr44
	s_and_saveexec_b32 s7, vcc_lo
	s_xor_b32 s25, exec_lo, s7
	s_cbranch_execz .LBB4_3742
; %bb.3733:                             ;   in Loop: Header=BB4_2911 Depth=2
	v_mov_b32_e32 v44, 0
	s_mov_b32 s26, exec_lo
	v_cmpx_ne_u32_e32 0, v20
	s_cbranch_execz .LBB4_3741
; %bb.3734:                             ;   in Loop: Header=BB4_2911 Depth=2
	v_bfe_u32 v44, v20, 23, 8
	v_or_b32_e32 v47, 0x800000, v18
	s_delay_alu instid0(VALU_DEP_2) | instskip(SKIP_1) | instid1(VALU_DEP_2)
	v_sub_nc_u32_e32 v20, 0x71, v44
	v_cmp_gt_u32_e32 vcc_lo, 0x72, v44
	v_cndmask_b32_e32 v20, 0, v20, vcc_lo
	v_cmp_eq_u32_e32 vcc_lo, 0, v44
	s_delay_alu instid0(VALU_DEP_2) | instskip(SKIP_1) | instid1(VALU_DEP_2)
	v_cndmask_b32_e64 v46, v20, 0x70, vcc_lo
	v_cndmask_b32_e32 v18, v47, v18, vcc_lo
	v_dual_add_nc_u32 v20, 21, v46 :: v_dual_add_nc_u32 v56, 20, v46
	s_delay_alu instid0(VALU_DEP_1) | instskip(NEXT) | instid1(VALU_DEP_2)
	v_lshlrev_b64_e64 v[20:21], v20, -1
	v_lshlrev_b64_e64 v[56:57], v56, 1
	s_delay_alu instid0(VALU_DEP_2) | instskip(SKIP_1) | instid1(VALU_DEP_4)
	v_bfi_b32 v20, v20, 0, v18
	v_lshrrev_b64 v[18:19], v46, v[18:19]
	v_bfi_b32 v21, v21, 0, 0
	s_delay_alu instid0(VALU_DEP_1) | instskip(NEXT) | instid1(VALU_DEP_3)
	v_cmp_eq_u64_e64 s7, v[20:21], v[56:57]
	v_mov_b64_e32 v[20:21], v[18:19]
	s_and_saveexec_b32 s27, s7
; %bb.3735:                             ;   in Loop: Header=BB4_2911 Depth=2
	v_bfe_u32 v20, v18, 21, 1
	v_mov_b32_e32 v21, v55
	s_delay_alu instid0(VALU_DEP_1) | instskip(NEXT) | instid1(VALU_DEP_1)
	v_add_nc_u64_e32 v[20:21], v[18:19], v[20:21]
	v_add_nc_u64_e32 v[20:21], -1, v[20:21]
; %bb.3736:                             ;   in Loop: Header=BB4_2911 Depth=2
	s_or_b32 exec_lo, exec_lo, s27
	v_add_nc_u32_e32 v19, 0xffffff81, v44
	v_lshrrev_b32_e32 v21, 23, v18
	s_mov_b32 s7, exec_lo
	s_delay_alu instid0(VALU_DEP_2) | instskip(NEXT) | instid1(VALU_DEP_1)
	v_cndmask_b32_e64 v19, v19, 0xffffff82, vcc_lo
	v_add3_u32 v21, v46, v19, v21
	v_and_b32_e32 v19, 0x1fffff, v20
                                        ; implicit-def: $vgpr20
	s_delay_alu instid0(VALU_DEP_1) | instskip(SKIP_1) | instid1(VALU_DEP_2)
	v_dual_add_nc_u32 v44, 14, v21 :: v_dual_add_nc_u32 v18, v19, v18
	v_mov_b32_e32 v19, v55
	v_cmpx_ne_u32_e32 0, v44
	s_xor_b32 s7, exec_lo, s7
; %bb.3737:                             ;   in Loop: Header=BB4_2911 Depth=2
	s_delay_alu instid0(VALU_DEP_2) | instskip(SKIP_2) | instid1(VALU_DEP_2)
	v_cmp_lt_u64_e32 vcc_lo, 0xffffff, v[18:19]
	v_add_nc_u32_e32 v20, 15, v21
	v_cndmask_b32_e64 v21, 0, 1, vcc_lo
	v_cndmask_b32_e32 v20, v44, v20, vcc_lo
	s_delay_alu instid0(VALU_DEP_2)
	v_lshrrev_b64 v[18:19], v21, v[18:19]
; %bb.3738:                             ;   in Loop: Header=BB4_2911 Depth=2
	s_and_not1_saveexec_b32 s7, s7
; %bb.3739:                             ;   in Loop: Header=BB4_2911 Depth=2
	s_delay_alu instid0(VALU_DEP_1)
	v_bfe_u32 v20, v18, 23, 1
; %bb.3740:                             ;   in Loop: Header=BB4_2911 Depth=2
	s_or_b32 exec_lo, exec_lo, s7
	s_delay_alu instid0(VALU_DEP_2) | instskip(NEXT) | instid1(VALU_DEP_2)
	v_lshrrev_b64 v[18:19], 21, v[18:19]
	v_cmp_gt_i32_e32 vcc_lo, 32, v20
	v_min_i32_e32 v21, 31, v20
	v_cmp_eq_u32_e64 s7, 0, v20
	s_delay_alu instid0(VALU_DEP_2) | instskip(SKIP_1) | instid1(VALU_DEP_2)
	v_dual_cndmask_b32 v19, 0, v19, vcc_lo :: v_dual_lshlrev_b32 v21, 2, v21
	v_cndmask_b32_e32 v18, 3, v18, vcc_lo
	v_and_b32_e32 v21, 0xfc, v21
	s_delay_alu instid0(VALU_DEP_2) | instskip(NEXT) | instid1(VALU_DEP_2)
	v_cmp_eq_u64_e32 vcc_lo, 0, v[18:19]
	v_and_or_b32 v18, v18, 3, v21
	s_and_b32 s7, s7, vcc_lo
	s_delay_alu instid0(VALU_DEP_1) | instid1(SALU_CYCLE_1)
	v_cndmask_b32_e64 v18, v18, 0, s7
	s_delay_alu instid0(VALU_DEP_1)
	v_or_b32_e32 v44, v18, v45
.LBB4_3741:                             ;   in Loop: Header=BB4_2911 Depth=2
	s_or_b32 exec_lo, exec_lo, s26
                                        ; implicit-def: $vgpr45
.LBB4_3742:                             ;   in Loop: Header=BB4_2911 Depth=2
	s_and_not1_saveexec_b32 s7, s25
; %bb.3743:                             ;   in Loop: Header=BB4_2911 Depth=2
	v_or_b32_e32 v44, 0x7b, v45
; %bb.3744:                             ;   in Loop: Header=BB4_2911 Depth=2
	s_or_b32 exec_lo, exec_lo, s7
                                        ; implicit-def: $vgpr20
                                        ; implicit-def: $vgpr18_vgpr19
                                        ; implicit-def: $vgpr21
.LBB4_3745:                             ;   in Loop: Header=BB4_2911 Depth=2
	s_and_not1_saveexec_b32 s7, s24
	s_cbranch_execz .LBB4_3751
; %bb.3746:                             ;   in Loop: Header=BB4_2911 Depth=2
	s_mov_b32 s24, exec_lo
                                        ; implicit-def: $vgpr44
	v_cmpx_ne_u64_e32 0, v[18:19]
	s_xor_b32 s24, exec_lo, s24
; %bb.3747:                             ;   in Loop: Header=BB4_2911 Depth=2
	v_or_b32_e32 v44, 0x7f, v21
                                        ; implicit-def: $vgpr20
; %bb.3748:                             ;   in Loop: Header=BB4_2911 Depth=2
	s_and_not1_saveexec_b32 s24, s24
; %bb.3749:                             ;   in Loop: Header=BB4_2911 Depth=2
	v_cmp_lt_i32_e32 vcc_lo, -1, v20
	v_cndmask_b32_e32 v44, 0xfc, v110, vcc_lo
; %bb.3750:                             ;   in Loop: Header=BB4_2911 Depth=2
	s_or_b32 exec_lo, exec_lo, s24
.LBB4_3751:                             ;   in Loop: Header=BB4_2911 Depth=2
	s_delay_alu instid0(SALU_CYCLE_1) | instskip(SKIP_3) | instid1(VALU_DEP_2)
	s_or_b32 exec_lo, exec_lo, s7
	v_lshrrev_b16 v18, 8, v54
	v_dual_mov_b32 v20, 0 :: v_dual_mov_b32 v19, 0
	s_mov_b32 s7, exec_lo
	v_cmpx_ne_u16_e32 0, v18
	s_cbranch_execz .LBB4_3761
; %bb.3752:                             ;   in Loop: Header=BB4_2911 Depth=2
	v_bfrev_b32_e32 v19, 1
	s_mov_b32 s24, exec_lo
	v_cmpx_ne_u16_e32 0x80, v18
	s_cbranch_execz .LBB4_3760
; %bb.3753:                             ;   in Loop: Header=BB4_2911 Depth=2
	v_and_b32_e32 v45, 0xffff, v18
	s_delay_alu instid0(VALU_DEP_1) | instskip(SKIP_1) | instid1(VALU_DEP_2)
	v_and_b32_e32 v19, 0x7c, v45
	v_and_b32_e32 v21, 3, v45
	v_cmp_ne_u32_e32 vcc_lo, 0x7c, v19
                                        ; implicit-def: $vgpr19
	s_and_saveexec_b32 s25, vcc_lo
	s_delay_alu instid0(SALU_CYCLE_1)
	s_xor_b32 s25, exec_lo, s25
	s_cbranch_execz .LBB4_3757
; %bb.3754:                             ;   in Loop: Header=BB4_2911 Depth=2
	v_bfe_u32 v19, v45, 2, 5
	s_mov_b32 s26, exec_lo
	s_delay_alu instid0(VALU_DEP_1)
	v_cmpx_eq_u32_e32 0, v19
; %bb.3755:                             ;   in Loop: Header=BB4_2911 Depth=2
	v_clz_i32_u32_e32 v19, v21
	s_delay_alu instid0(VALU_DEP_1) | instskip(SKIP_1) | instid1(VALU_DEP_2)
	v_min_u32_e32 v21, 32, v19
	v_mov_b32_e32 v19, v55
	v_subrev_nc_u32_e32 v45, 29, v21
	s_delay_alu instid0(VALU_DEP_1) | instskip(NEXT) | instid1(VALU_DEP_1)
	v_lshlrev_b64_e32 v[18:19], v45, v[18:19]
	v_dual_sub_nc_u32 v19, 30, v21 :: v_dual_bitop2_b32 v21, 3, v18 bitop3:0x40
; %bb.3756:                             ;   in Loop: Header=BB4_2911 Depth=2
	s_or_b32 exec_lo, exec_lo, s26
	v_lshlrev_b32_e32 v18, 16, v54
	s_delay_alu instid0(VALU_DEP_1) | instskip(NEXT) | instid1(VALU_DEP_1)
	v_and_b32_e32 v18, 0x80000000, v18
	v_lshl_add_u32 v18, v19, 23, v18
	s_delay_alu instid0(VALU_DEP_1) | instskip(NEXT) | instid1(VALU_DEP_1)
	v_lshl_or_b32 v18, v21, 21, v18
                                        ; implicit-def: $vgpr21
	v_add_nc_u32_e32 v19, 0x38000000, v18
.LBB4_3757:                             ;   in Loop: Header=BB4_2911 Depth=2
	s_and_not1_saveexec_b32 s25, s25
; %bb.3758:                             ;   in Loop: Header=BB4_2911 Depth=2
	v_cmp_lt_i16_e32 vcc_lo, -1, v54
	v_cndmask_b32_e32 v18, 0xff800000, v109, vcc_lo
	v_cmp_eq_u32_e32 vcc_lo, 0, v21
	s_delay_alu instid0(VALU_DEP_2)
	v_cndmask_b32_e32 v19, 0x7f800001, v18, vcc_lo
; %bb.3759:                             ;   in Loop: Header=BB4_2911 Depth=2
	s_or_b32 exec_lo, exec_lo, s25
.LBB4_3760:                             ;   in Loop: Header=BB4_2911 Depth=2
	s_delay_alu instid0(SALU_CYCLE_1)
	s_or_b32 exec_lo, exec_lo, s24
.LBB4_3761:                             ;   in Loop: Header=BB4_2911 Depth=2
	s_delay_alu instid0(SALU_CYCLE_1) | instskip(SKIP_2) | instid1(VALU_DEP_1)
	s_or_b32 exec_lo, exec_lo, s7
	v_lshrrev_b16 v54, 8, v11
	s_mov_b32 s7, exec_lo
	v_cmpx_ne_u16_e32 0, v54
	s_cbranch_execz .LBB4_3771
; %bb.3762:                             ;   in Loop: Header=BB4_2911 Depth=2
	v_bfrev_b32_e32 v20, 1
	s_mov_b32 s24, exec_lo
	v_cmpx_ne_u16_e32 0x80, v54
	s_cbranch_execz .LBB4_3770
; %bb.3763:                             ;   in Loop: Header=BB4_2911 Depth=2
	v_and_b32_e32 v21, 0xffff, v54
	s_delay_alu instid0(VALU_DEP_1) | instskip(SKIP_1) | instid1(VALU_DEP_2)
	v_and_b32_e32 v20, 0x7c, v21
	v_and_b32_e32 v18, 3, v21
	v_cmp_ne_u32_e32 vcc_lo, 0x7c, v20
                                        ; implicit-def: $vgpr20
	s_and_saveexec_b32 s25, vcc_lo
	s_delay_alu instid0(SALU_CYCLE_1)
	s_xor_b32 s25, exec_lo, s25
	s_cbranch_execz .LBB4_3767
; %bb.3764:                             ;   in Loop: Header=BB4_2911 Depth=2
	v_bfe_u32 v20, v21, 2, 5
	s_mov_b32 s26, exec_lo
	s_delay_alu instid0(VALU_DEP_1)
	v_cmpx_eq_u32_e32 0, v20
; %bb.3765:                             ;   in Loop: Header=BB4_2911 Depth=2
	v_clz_i32_u32_e32 v18, v18
	s_delay_alu instid0(VALU_DEP_1) | instskip(NEXT) | instid1(VALU_DEP_1)
	v_min_u32_e32 v18, 32, v18
	v_subrev_nc_u32_e32 v20, 29, v18
	s_delay_alu instid0(VALU_DEP_1) | instskip(SKIP_1) | instid1(VALU_DEP_2)
	v_lshlrev_b64_e32 v[46:47], v20, v[54:55]
	v_sub_nc_u32_e32 v20, 30, v18
	v_and_b32_e32 v18, 3, v46
; %bb.3766:                             ;   in Loop: Header=BB4_2911 Depth=2
	s_or_b32 exec_lo, exec_lo, s26
	v_lshlrev_b32_e32 v21, 16, v11
	s_delay_alu instid0(VALU_DEP_1) | instskip(NEXT) | instid1(VALU_DEP_1)
	v_and_b32_e32 v21, 0x80000000, v21
	v_lshl_add_u32 v20, v20, 23, v21
	s_delay_alu instid0(VALU_DEP_1) | instskip(NEXT) | instid1(VALU_DEP_1)
	v_lshl_or_b32 v18, v18, 21, v20
	v_add_nc_u32_e32 v20, 0x38000000, v18
                                        ; implicit-def: $vgpr18
.LBB4_3767:                             ;   in Loop: Header=BB4_2911 Depth=2
	s_and_not1_saveexec_b32 s25, s25
; %bb.3768:                             ;   in Loop: Header=BB4_2911 Depth=2
	v_cmp_lt_i16_e32 vcc_lo, -1, v11
	v_cndmask_b32_e32 v20, 0xff800000, v109, vcc_lo
	v_cmp_eq_u32_e32 vcc_lo, 0, v18
	s_delay_alu instid0(VALU_DEP_2)
	v_cndmask_b32_e32 v20, 0x7f800001, v20, vcc_lo
; %bb.3769:                             ;   in Loop: Header=BB4_2911 Depth=2
	s_or_b32 exec_lo, exec_lo, s25
.LBB4_3770:                             ;   in Loop: Header=BB4_2911 Depth=2
	s_delay_alu instid0(SALU_CYCLE_1)
	s_or_b32 exec_lo, exec_lo, s24
.LBB4_3771:                             ;   in Loop: Header=BB4_2911 Depth=2
	s_delay_alu instid0(SALU_CYCLE_1) | instskip(NEXT) | instid1(VALU_DEP_1)
	s_or_b32 exec_lo, exec_lo, s7
	v_mul_f32_e32 v18, v19, v20
	v_mov_b32_e32 v21, v55
                                        ; implicit-def: $vgpr45
	s_mov_b32 s7, exec_lo
	s_delay_alu instid0(VALU_DEP_2) | instskip(SKIP_2) | instid1(VALU_DEP_3)
	v_and_b32_e32 v20, 0x7f800000, v18
	v_and_b32_e32 v54, 0x7fffff, v18
	v_lshrrev_b32_e32 v19, 24, v18
	v_cmpx_ne_u64_e32 0x7f800000, v[20:21]
	s_xor_b32 s24, exec_lo, s7
	s_cbranch_execz .LBB4_3785
; %bb.3772:                             ;   in Loop: Header=BB4_2911 Depth=2
	v_and_b32_e32 v20, 0x7fffffff, v18
	v_mov_b32_e32 v21, v55
	v_and_b32_e32 v46, 0x80, v19
                                        ; implicit-def: $vgpr45
	s_mov_b32 s7, exec_lo
	s_delay_alu instid0(VALU_DEP_2)
	v_cmpx_gt_u64_e32 0x47600001, v[20:21]
	s_xor_b32 s25, exec_lo, s7
	s_cbranch_execz .LBB4_3782
; %bb.3773:                             ;   in Loop: Header=BB4_2911 Depth=2
	v_mov_b32_e32 v45, 0
	s_mov_b32 s26, exec_lo
	v_cmpx_ne_u32_e32 0, v18
	s_cbranch_execz .LBB4_3781
; %bb.3774:                             ;   in Loop: Header=BB4_2911 Depth=2
	v_bfe_u32 v45, v18, 23, 8
	v_or_b32_e32 v20, 0x800000, v54
	s_delay_alu instid0(VALU_DEP_2) | instskip(SKIP_1) | instid1(VALU_DEP_2)
	v_sub_nc_u32_e32 v18, 0x71, v45
	v_cmp_gt_u32_e32 vcc_lo, 0x72, v45
	v_cndmask_b32_e32 v18, 0, v18, vcc_lo
	v_cmp_eq_u32_e32 vcc_lo, 0, v45
	s_delay_alu instid0(VALU_DEP_2) | instskip(NEXT) | instid1(VALU_DEP_1)
	v_cndmask_b32_e64 v47, v18, 0x70, vcc_lo
	v_dual_cndmask_b32 v54, v20, v54, vcc_lo :: v_dual_add_nc_u32 v18, 21, v47
	v_add_nc_u32_e32 v21, 20, v47
	s_delay_alu instid0(VALU_DEP_2) | instskip(NEXT) | instid1(VALU_DEP_2)
	v_lshlrev_b64_e64 v[18:19], v18, -1
	v_lshlrev_b64_e64 v[20:21], v21, 1
	s_delay_alu instid0(VALU_DEP_2) | instskip(NEXT) | instid1(VALU_DEP_3)
	v_bfi_b32 v57, v19, 0, 0
	v_bfi_b32 v56, v18, 0, v54
	v_lshrrev_b64 v[18:19], v47, v[54:55]
	s_delay_alu instid0(VALU_DEP_2) | instskip(NEXT) | instid1(VALU_DEP_2)
	v_cmp_eq_u64_e64 s7, v[56:57], v[20:21]
	v_mov_b64_e32 v[20:21], v[18:19]
	s_and_saveexec_b32 s27, s7
; %bb.3775:                             ;   in Loop: Header=BB4_2911 Depth=2
	v_bfe_u32 v54, v18, 21, 1
	s_delay_alu instid0(VALU_DEP_1) | instskip(NEXT) | instid1(VALU_DEP_1)
	v_add_nc_u64_e32 v[20:21], v[18:19], v[54:55]
	v_add_nc_u64_e32 v[20:21], -1, v[20:21]
; %bb.3776:                             ;   in Loop: Header=BB4_2911 Depth=2
	s_or_b32 exec_lo, exec_lo, s27
	v_add_nc_u32_e32 v19, 0xffffff81, v45
	v_lshrrev_b32_e32 v21, 23, v18
	s_mov_b32 s7, exec_lo
	s_delay_alu instid0(VALU_DEP_2) | instskip(NEXT) | instid1(VALU_DEP_1)
	v_cndmask_b32_e64 v19, v19, 0xffffff82, vcc_lo
	v_add3_u32 v21, v47, v19, v21
	v_and_b32_e32 v19, 0x1fffff, v20
                                        ; implicit-def: $vgpr20
	s_delay_alu instid0(VALU_DEP_1) | instskip(NEXT) | instid1(VALU_DEP_1)
	v_dual_add_nc_u32 v45, 14, v21 :: v_dual_add_nc_u32 v54, v19, v18
                                        ; implicit-def: $vgpr18_vgpr19
	v_cmpx_ne_u32_e32 0, v45
	s_xor_b32 s7, exec_lo, s7
; %bb.3777:                             ;   in Loop: Header=BB4_2911 Depth=2
	s_delay_alu instid0(VALU_DEP_2) | instskip(SKIP_1) | instid1(VALU_DEP_1)
	v_cmp_lt_u64_e32 vcc_lo, 0xffffff, v[54:55]
	v_add_nc_u32_e32 v18, 15, v21
	v_cndmask_b32_e32 v20, v45, v18, vcc_lo
	v_cndmask_b32_e64 v18, 0, 1, vcc_lo
	s_delay_alu instid0(VALU_DEP_1)
	v_lshrrev_b64 v[18:19], v18, v[54:55]
; %bb.3778:                             ;   in Loop: Header=BB4_2911 Depth=2
	s_and_not1_saveexec_b32 s7, s7
; %bb.3779:                             ;   in Loop: Header=BB4_2911 Depth=2
	v_mov_b64_e32 v[18:19], v[54:55]
	v_bfe_u32 v20, v54, 23, 1
; %bb.3780:                             ;   in Loop: Header=BB4_2911 Depth=2
	s_or_b32 exec_lo, exec_lo, s7
	s_delay_alu instid0(VALU_DEP_2) | instskip(NEXT) | instid1(VALU_DEP_2)
	v_lshrrev_b64 v[18:19], 21, v[18:19]
	v_cmp_gt_i32_e32 vcc_lo, 32, v20
	v_min_i32_e32 v21, 31, v20
	v_cmp_eq_u32_e64 s7, 0, v20
	s_delay_alu instid0(VALU_DEP_2) | instskip(SKIP_1) | instid1(VALU_DEP_2)
	v_dual_cndmask_b32 v19, 0, v19, vcc_lo :: v_dual_lshlrev_b32 v21, 2, v21
	v_cndmask_b32_e32 v18, 3, v18, vcc_lo
	v_and_b32_e32 v21, 0xfc, v21
	s_delay_alu instid0(VALU_DEP_2) | instskip(NEXT) | instid1(VALU_DEP_2)
	v_cmp_eq_u64_e32 vcc_lo, 0, v[18:19]
	v_and_or_b32 v18, v18, 3, v21
	s_and_b32 s7, s7, vcc_lo
	s_delay_alu instid0(VALU_DEP_1) | instid1(SALU_CYCLE_1)
	v_cndmask_b32_e64 v18, v18, 0, s7
	s_delay_alu instid0(VALU_DEP_1)
	v_or_b32_e32 v45, v18, v46
.LBB4_3781:                             ;   in Loop: Header=BB4_2911 Depth=2
	s_or_b32 exec_lo, exec_lo, s26
                                        ; implicit-def: $vgpr46
.LBB4_3782:                             ;   in Loop: Header=BB4_2911 Depth=2
	s_and_not1_saveexec_b32 s7, s25
; %bb.3783:                             ;   in Loop: Header=BB4_2911 Depth=2
	v_or_b32_e32 v45, 0x7b, v46
; %bb.3784:                             ;   in Loop: Header=BB4_2911 Depth=2
	s_or_b32 exec_lo, exec_lo, s7
                                        ; implicit-def: $vgpr18
                                        ; implicit-def: $vgpr19
.LBB4_3785:                             ;   in Loop: Header=BB4_2911 Depth=2
	s_and_not1_saveexec_b32 s7, s24
	s_cbranch_execz .LBB4_3791
; %bb.3786:                             ;   in Loop: Header=BB4_2911 Depth=2
	s_mov_b32 s24, exec_lo
                                        ; implicit-def: $vgpr45
	v_cmpx_ne_u64_e32 0, v[54:55]
	s_xor_b32 s24, exec_lo, s24
; %bb.3787:                             ;   in Loop: Header=BB4_2911 Depth=2
	v_or_b32_e32 v45, 0x7f, v19
                                        ; implicit-def: $vgpr18
; %bb.3788:                             ;   in Loop: Header=BB4_2911 Depth=2
	s_and_not1_saveexec_b32 s24, s24
; %bb.3789:                             ;   in Loop: Header=BB4_2911 Depth=2
	v_cmp_lt_i32_e32 vcc_lo, -1, v18
	v_cndmask_b32_e32 v45, 0xfc, v110, vcc_lo
; %bb.3790:                             ;   in Loop: Header=BB4_2911 Depth=2
	s_or_b32 exec_lo, exec_lo, s24
.LBB4_3791:                             ;   in Loop: Header=BB4_2911 Depth=2
	s_delay_alu instid0(SALU_CYCLE_1) | instskip(SKIP_3) | instid1(VALU_DEP_2)
	s_or_b32 exec_lo, exec_lo, s7
	v_dual_mov_b32 v19, 0 :: v_dual_lshrrev_b32 v18, 16, v15
	v_mov_b32_e32 v20, 0
	s_mov_b32 s7, exec_lo
	v_and_b32_e32 v21, 0xff, v18
	s_delay_alu instid0(VALU_DEP_1)
	v_cmpx_ne_u16_e32 0, v21
	s_cbranch_execz .LBB4_3801
; %bb.3792:                             ;   in Loop: Header=BB4_2911 Depth=2
	v_bfrev_b32_e32 v20, 1
	s_mov_b32 s24, exec_lo
	v_cmpx_ne_u16_e32 0x80, v21
	s_cbranch_execz .LBB4_3800
; %bb.3793:                             ;   in Loop: Header=BB4_2911 Depth=2
	v_and_b32_e32 v20, 0x7c0000, v15
	v_bfe_u32 v21, v15, 16, 2
	s_delay_alu instid0(VALU_DEP_2) | instskip(SKIP_1) | instid1(SALU_CYCLE_1)
	v_cmp_ne_u32_e32 vcc_lo, 0x7c0000, v20
                                        ; implicit-def: $vgpr20
	s_and_saveexec_b32 s25, vcc_lo
	s_xor_b32 s25, exec_lo, s25
	s_cbranch_execz .LBB4_3797
; %bb.3794:                             ;   in Loop: Header=BB4_2911 Depth=2
	v_bfe_u32 v20, v15, 18, 5
	s_mov_b32 s26, exec_lo
	s_delay_alu instid0(VALU_DEP_1)
	v_cmpx_eq_u32_e32 0, v20
; %bb.3795:                             ;   in Loop: Header=BB4_2911 Depth=2
	v_clz_i32_u32_e32 v20, v21
	s_delay_alu instid0(VALU_DEP_1) | instskip(NEXT) | instid1(VALU_DEP_1)
	v_min_u32_e32 v20, 32, v20
	v_subrev_nc_u32_e32 v21, 29, v20
	s_delay_alu instid0(VALU_DEP_1) | instskip(NEXT) | instid1(VALU_DEP_1)
	v_lshlrev_b64_e32 v[46:47], v21, v[18:19]
	v_dual_sub_nc_u32 v20, 30, v20 :: v_dual_bitop2_b32 v21, 3, v46 bitop3:0x40
; %bb.3796:                             ;   in Loop: Header=BB4_2911 Depth=2
	s_or_b32 exec_lo, exec_lo, s26
	v_lshlrev_b32_e32 v18, 24, v18
	s_delay_alu instid0(VALU_DEP_1) | instskip(NEXT) | instid1(VALU_DEP_1)
	v_and_b32_e32 v18, 0x80000000, v18
	v_lshl_add_u32 v18, v20, 23, v18
	s_delay_alu instid0(VALU_DEP_1) | instskip(NEXT) | instid1(VALU_DEP_1)
	v_lshl_or_b32 v18, v21, 21, v18
                                        ; implicit-def: $vgpr21
	v_add_nc_u32_e32 v20, 0x38000000, v18
                                        ; implicit-def: $vgpr18
.LBB4_3797:                             ;   in Loop: Header=BB4_2911 Depth=2
	s_and_not1_saveexec_b32 s25, s25
; %bb.3798:                             ;   in Loop: Header=BB4_2911 Depth=2
	v_bfe_i32 v18, v18, 0, 8
	s_delay_alu instid0(VALU_DEP_1) | instskip(SKIP_2) | instid1(VALU_DEP_2)
	v_cmp_lt_i16_e32 vcc_lo, -1, v18
	v_cndmask_b32_e32 v18, 0xff800000, v109, vcc_lo
	v_cmp_eq_u32_e32 vcc_lo, 0, v21
	v_cndmask_b32_e32 v20, 0x7f800001, v18, vcc_lo
; %bb.3799:                             ;   in Loop: Header=BB4_2911 Depth=2
	s_or_b32 exec_lo, exec_lo, s25
.LBB4_3800:                             ;   in Loop: Header=BB4_2911 Depth=2
	s_delay_alu instid0(SALU_CYCLE_1)
	s_or_b32 exec_lo, exec_lo, s24
.LBB4_3801:                             ;   in Loop: Header=BB4_2911 Depth=2
	s_delay_alu instid0(SALU_CYCLE_1) | instskip(SKIP_2) | instid1(VALU_DEP_1)
	s_or_b32 exec_lo, exec_lo, s7
	v_lshrrev_b32_e32 v18, 16, v11
	s_mov_b32 s7, exec_lo
	v_and_b32_e32 v21, 0xff, v18
	s_delay_alu instid0(VALU_DEP_1)
	v_cmpx_ne_u16_e32 0, v21
	s_cbranch_execz .LBB4_3811
; %bb.3802:                             ;   in Loop: Header=BB4_2911 Depth=2
	v_bfrev_b32_e32 v19, 1
	s_mov_b32 s24, exec_lo
	v_cmpx_ne_u16_e32 0x80, v21
	s_cbranch_execz .LBB4_3810
; %bb.3803:                             ;   in Loop: Header=BB4_2911 Depth=2
	v_and_b32_e32 v19, 0x7c0000, v11
	v_bfe_u32 v21, v11, 16, 2
	s_delay_alu instid0(VALU_DEP_2) | instskip(SKIP_1) | instid1(SALU_CYCLE_1)
	v_cmp_ne_u32_e32 vcc_lo, 0x7c0000, v19
                                        ; implicit-def: $vgpr19
	s_and_saveexec_b32 s25, vcc_lo
	s_xor_b32 s25, exec_lo, s25
	s_cbranch_execz .LBB4_3807
; %bb.3804:                             ;   in Loop: Header=BB4_2911 Depth=2
	v_bfe_u32 v19, v11, 18, 5
	s_mov_b32 s26, exec_lo
	s_delay_alu instid0(VALU_DEP_1)
	v_cmpx_eq_u32_e32 0, v19
; %bb.3805:                             ;   in Loop: Header=BB4_2911 Depth=2
	v_clz_i32_u32_e32 v19, v21
	s_delay_alu instid0(VALU_DEP_1) | instskip(NEXT) | instid1(VALU_DEP_1)
	v_min_u32_e32 v19, 32, v19
	v_subrev_nc_u32_e32 v21, 29, v19
	s_delay_alu instid0(VALU_DEP_1) | instskip(NEXT) | instid1(VALU_DEP_1)
	v_lshlrev_b64_e32 v[46:47], v21, v[18:19]
	v_dual_sub_nc_u32 v19, 30, v19 :: v_dual_bitop2_b32 v21, 3, v46 bitop3:0x40
; %bb.3806:                             ;   in Loop: Header=BB4_2911 Depth=2
	s_or_b32 exec_lo, exec_lo, s26
	v_lshlrev_b32_e32 v18, 24, v18
	s_delay_alu instid0(VALU_DEP_1) | instskip(NEXT) | instid1(VALU_DEP_1)
	v_and_b32_e32 v18, 0x80000000, v18
	v_lshl_add_u32 v18, v19, 23, v18
	s_delay_alu instid0(VALU_DEP_1) | instskip(NEXT) | instid1(VALU_DEP_1)
	v_lshl_or_b32 v18, v21, 21, v18
                                        ; implicit-def: $vgpr21
	v_add_nc_u32_e32 v19, 0x38000000, v18
                                        ; implicit-def: $vgpr18
.LBB4_3807:                             ;   in Loop: Header=BB4_2911 Depth=2
	s_and_not1_saveexec_b32 s25, s25
; %bb.3808:                             ;   in Loop: Header=BB4_2911 Depth=2
	v_bfe_i32 v18, v18, 0, 8
	s_delay_alu instid0(VALU_DEP_1) | instskip(SKIP_2) | instid1(VALU_DEP_2)
	v_cmp_lt_i16_e32 vcc_lo, -1, v18
	v_cndmask_b32_e32 v18, 0xff800000, v109, vcc_lo
	v_cmp_eq_u32_e32 vcc_lo, 0, v21
	v_cndmask_b32_e32 v19, 0x7f800001, v18, vcc_lo
; %bb.3809:                             ;   in Loop: Header=BB4_2911 Depth=2
	s_or_b32 exec_lo, exec_lo, s25
.LBB4_3810:                             ;   in Loop: Header=BB4_2911 Depth=2
	s_delay_alu instid0(SALU_CYCLE_1)
	s_or_b32 exec_lo, exec_lo, s24
.LBB4_3811:                             ;   in Loop: Header=BB4_2911 Depth=2
	s_delay_alu instid0(SALU_CYCLE_1) | instskip(NEXT) | instid1(VALU_DEP_1)
	s_or_b32 exec_lo, exec_lo, s7
	v_dual_mul_f32 v18, v20, v19 :: v_dual_mov_b32 v21, v55
                                        ; implicit-def: $vgpr19
	s_delay_alu instid0(VALU_DEP_1) | instskip(SKIP_1) | instid1(VALU_DEP_2)
	v_and_b32_e32 v20, 0x7f800000, v18
	v_and_b32_e32 v54, 0x7fffff, v18
	v_cmp_ne_u64_e32 vcc_lo, 0x7f800000, v[20:21]
	v_lshrrev_b32_e32 v20, 24, v18
	s_and_saveexec_b32 s7, vcc_lo
	s_delay_alu instid0(SALU_CYCLE_1)
	s_xor_b32 s24, exec_lo, s7
	s_cbranch_execz .LBB4_3825
; %bb.3812:                             ;   in Loop: Header=BB4_2911 Depth=2
	v_and_b32_e32 v46, 0x7fffffff, v18
	v_mov_b32_e32 v47, v55
                                        ; implicit-def: $vgpr19
	s_delay_alu instid0(VALU_DEP_1) | instskip(SKIP_2) | instid1(SALU_CYCLE_1)
	v_cmp_gt_u64_e32 vcc_lo, 0x47600001, v[46:47]
	v_and_b32_e32 v46, 0x80, v20
	s_and_saveexec_b32 s7, vcc_lo
	s_xor_b32 s25, exec_lo, s7
	s_cbranch_execz .LBB4_3822
; %bb.3813:                             ;   in Loop: Header=BB4_2911 Depth=2
	v_mov_b32_e32 v19, 0
	s_mov_b32 s26, exec_lo
	v_cmpx_ne_u32_e32 0, v18
	s_cbranch_execz .LBB4_3821
; %bb.3814:                             ;   in Loop: Header=BB4_2911 Depth=2
	v_bfe_u32 v47, v18, 23, 8
	v_or_b32_e32 v20, 0x800000, v54
	s_delay_alu instid0(VALU_DEP_2) | instskip(SKIP_1) | instid1(VALU_DEP_2)
	v_sub_nc_u32_e32 v18, 0x71, v47
	v_cmp_gt_u32_e32 vcc_lo, 0x72, v47
	v_cndmask_b32_e32 v18, 0, v18, vcc_lo
	v_cmp_eq_u32_e32 vcc_lo, 0, v47
	s_delay_alu instid0(VALU_DEP_2) | instskip(NEXT) | instid1(VALU_DEP_1)
	v_cndmask_b32_e64 v56, v18, 0x70, vcc_lo
	v_dual_cndmask_b32 v54, v20, v54, vcc_lo :: v_dual_add_nc_u32 v18, 21, v56
	v_add_nc_u32_e32 v21, 20, v56
	s_delay_alu instid0(VALU_DEP_2) | instskip(NEXT) | instid1(VALU_DEP_2)
	v_lshlrev_b64_e64 v[18:19], v18, -1
	v_lshlrev_b64_e64 v[20:21], v21, 1
	s_delay_alu instid0(VALU_DEP_2) | instskip(NEXT) | instid1(VALU_DEP_3)
	v_bfi_b32 v59, v19, 0, 0
	v_bfi_b32 v58, v18, 0, v54
	v_lshrrev_b64 v[18:19], v56, v[54:55]
	s_delay_alu instid0(VALU_DEP_2) | instskip(NEXT) | instid1(VALU_DEP_2)
	v_cmp_eq_u64_e64 s7, v[58:59], v[20:21]
	v_mov_b64_e32 v[20:21], v[18:19]
	s_and_saveexec_b32 s27, s7
; %bb.3815:                             ;   in Loop: Header=BB4_2911 Depth=2
	v_bfe_u32 v54, v18, 21, 1
	s_delay_alu instid0(VALU_DEP_1) | instskip(NEXT) | instid1(VALU_DEP_1)
	v_add_nc_u64_e32 v[20:21], v[18:19], v[54:55]
	v_add_nc_u64_e32 v[20:21], -1, v[20:21]
; %bb.3816:                             ;   in Loop: Header=BB4_2911 Depth=2
	s_or_b32 exec_lo, exec_lo, s27
	v_add_nc_u32_e32 v19, 0xffffff81, v47
	v_lshrrev_b32_e32 v21, 23, v18
	s_mov_b32 s7, exec_lo
	s_delay_alu instid0(VALU_DEP_2) | instskip(NEXT) | instid1(VALU_DEP_1)
	v_cndmask_b32_e64 v19, v19, 0xffffff82, vcc_lo
	v_add3_u32 v21, v56, v19, v21
	v_and_b32_e32 v19, 0x1fffff, v20
                                        ; implicit-def: $vgpr20
	s_delay_alu instid0(VALU_DEP_1) | instskip(NEXT) | instid1(VALU_DEP_1)
	v_dual_add_nc_u32 v47, 14, v21 :: v_dual_add_nc_u32 v54, v19, v18
                                        ; implicit-def: $vgpr18_vgpr19
	v_cmpx_ne_u32_e32 0, v47
	s_xor_b32 s7, exec_lo, s7
; %bb.3817:                             ;   in Loop: Header=BB4_2911 Depth=2
	s_delay_alu instid0(VALU_DEP_2) | instskip(SKIP_1) | instid1(VALU_DEP_1)
	v_cmp_lt_u64_e32 vcc_lo, 0xffffff, v[54:55]
	v_add_nc_u32_e32 v18, 15, v21
	v_cndmask_b32_e32 v20, v47, v18, vcc_lo
	v_cndmask_b32_e64 v18, 0, 1, vcc_lo
	s_delay_alu instid0(VALU_DEP_1)
	v_lshrrev_b64 v[18:19], v18, v[54:55]
; %bb.3818:                             ;   in Loop: Header=BB4_2911 Depth=2
	s_and_not1_saveexec_b32 s7, s7
; %bb.3819:                             ;   in Loop: Header=BB4_2911 Depth=2
	v_mov_b64_e32 v[18:19], v[54:55]
	v_bfe_u32 v20, v54, 23, 1
; %bb.3820:                             ;   in Loop: Header=BB4_2911 Depth=2
	s_or_b32 exec_lo, exec_lo, s7
	s_delay_alu instid0(VALU_DEP_2) | instskip(NEXT) | instid1(VALU_DEP_2)
	v_lshrrev_b64 v[18:19], 21, v[18:19]
	v_cmp_gt_i32_e32 vcc_lo, 32, v20
	v_min_i32_e32 v21, 31, v20
	v_cmp_eq_u32_e64 s7, 0, v20
	s_delay_alu instid0(VALU_DEP_2) | instskip(SKIP_1) | instid1(VALU_DEP_2)
	v_dual_cndmask_b32 v19, 0, v19, vcc_lo :: v_dual_lshlrev_b32 v21, 2, v21
	v_cndmask_b32_e32 v18, 3, v18, vcc_lo
	v_and_b32_e32 v21, 0xfc, v21
	s_delay_alu instid0(VALU_DEP_2) | instskip(NEXT) | instid1(VALU_DEP_2)
	v_cmp_eq_u64_e32 vcc_lo, 0, v[18:19]
	v_and_or_b32 v18, v18, 3, v21
	s_and_b32 s7, s7, vcc_lo
	s_delay_alu instid0(VALU_DEP_1) | instid1(SALU_CYCLE_1)
	v_cndmask_b32_e64 v18, v18, 0, s7
	s_delay_alu instid0(VALU_DEP_1)
	v_or_b32_e32 v19, v18, v46
.LBB4_3821:                             ;   in Loop: Header=BB4_2911 Depth=2
	s_or_b32 exec_lo, exec_lo, s26
                                        ; implicit-def: $vgpr46
.LBB4_3822:                             ;   in Loop: Header=BB4_2911 Depth=2
	s_and_not1_saveexec_b32 s7, s25
; %bb.3823:                             ;   in Loop: Header=BB4_2911 Depth=2
	v_or_b32_e32 v19, 0x7b, v46
; %bb.3824:                             ;   in Loop: Header=BB4_2911 Depth=2
	s_or_b32 exec_lo, exec_lo, s7
                                        ; implicit-def: $vgpr18
                                        ; implicit-def: $vgpr20
.LBB4_3825:                             ;   in Loop: Header=BB4_2911 Depth=2
	s_and_not1_saveexec_b32 s7, s24
	s_cbranch_execz .LBB4_3831
; %bb.3826:                             ;   in Loop: Header=BB4_2911 Depth=2
	s_mov_b32 s24, exec_lo
                                        ; implicit-def: $vgpr19
	v_cmpx_ne_u64_e32 0, v[54:55]
	s_xor_b32 s24, exec_lo, s24
; %bb.3827:                             ;   in Loop: Header=BB4_2911 Depth=2
	v_or_b32_e32 v19, 0x7f, v20
                                        ; implicit-def: $vgpr18
; %bb.3828:                             ;   in Loop: Header=BB4_2911 Depth=2
	s_and_not1_saveexec_b32 s24, s24
; %bb.3829:                             ;   in Loop: Header=BB4_2911 Depth=2
	v_cmp_lt_i32_e32 vcc_lo, -1, v18
	v_cndmask_b32_e32 v19, 0xfc, v110, vcc_lo
; %bb.3830:                             ;   in Loop: Header=BB4_2911 Depth=2
	s_or_b32 exec_lo, exec_lo, s24
.LBB4_3831:                             ;   in Loop: Header=BB4_2911 Depth=2
	s_delay_alu instid0(SALU_CYCLE_1)
	s_or_b32 exec_lo, exec_lo, s7
	v_dual_mov_b32 v20, 0 :: v_dual_mov_b32 v21, 0
	s_mov_b32 s7, exec_lo
	v_cmpx_lt_u64_e64 s[12:13], v[14:15]
	s_cbranch_execz .LBB4_3841
; %bb.3832:                             ;   in Loop: Header=BB4_2911 Depth=2
	v_lshrrev_b32_e32 v18, 24, v15
	v_bfrev_b32_e32 v21, 1
	s_mov_b32 s24, exec_lo
	s_delay_alu instid0(VALU_DEP_2)
	v_cmpx_ne_u32_e32 0x80, v18
	s_cbranch_execz .LBB4_3840
; %bb.3833:                             ;   in Loop: Header=BB4_2911 Depth=2
	v_and_b32_e32 v21, 0x7c000000, v15
	v_bfe_u32 v54, v15, 24, 2
	s_delay_alu instid0(VALU_DEP_2) | instskip(SKIP_1) | instid1(SALU_CYCLE_1)
	v_cmp_ne_u32_e32 vcc_lo, 0x7c000000, v21
                                        ; implicit-def: $vgpr21
	s_and_saveexec_b32 s25, vcc_lo
	s_xor_b32 s25, exec_lo, s25
	s_cbranch_execz .LBB4_3837
; %bb.3834:                             ;   in Loop: Header=BB4_2911 Depth=2
	v_bfe_u32 v21, v15, 26, 5
	s_mov_b32 s26, exec_lo
	s_delay_alu instid0(VALU_DEP_1)
	v_cmpx_eq_u32_e32 0, v21
; %bb.3835:                             ;   in Loop: Header=BB4_2911 Depth=2
	v_clz_i32_u32_e32 v21, v54
	s_delay_alu instid0(VALU_DEP_1) | instskip(NEXT) | instid1(VALU_DEP_1)
	v_min_u32_e32 v21, 32, v21
	v_subrev_nc_u32_e32 v54, 29, v21
	s_delay_alu instid0(VALU_DEP_1) | instskip(NEXT) | instid1(VALU_DEP_1)
	v_lshlrev_b64_e32 v[46:47], v54, v[18:19]
	v_dual_sub_nc_u32 v21, 30, v21 :: v_dual_bitop2_b32 v54, 3, v46 bitop3:0x40
; %bb.3836:                             ;   in Loop: Header=BB4_2911 Depth=2
	s_or_b32 exec_lo, exec_lo, s26
	v_and_b32_e32 v18, 0x80000000, v15
	s_delay_alu instid0(VALU_DEP_1) | instskip(NEXT) | instid1(VALU_DEP_1)
	v_lshl_add_u32 v18, v21, 23, v18
	v_lshl_or_b32 v18, v54, 21, v18
                                        ; implicit-def: $vgpr54
	s_delay_alu instid0(VALU_DEP_1)
	v_add_nc_u32_e32 v21, 0x38000000, v18
.LBB4_3837:                             ;   in Loop: Header=BB4_2911 Depth=2
	s_and_not1_saveexec_b32 s25, s25
; %bb.3838:                             ;   in Loop: Header=BB4_2911 Depth=2
	v_cmp_lt_i64_e32 vcc_lo, -1, v[14:15]
	v_cndmask_b32_e32 v14, 0xff800000, v109, vcc_lo
	v_cmp_eq_u32_e32 vcc_lo, 0, v54
	s_delay_alu instid0(VALU_DEP_2)
	v_cndmask_b32_e32 v21, 0x7f800001, v14, vcc_lo
; %bb.3839:                             ;   in Loop: Header=BB4_2911 Depth=2
	s_or_b32 exec_lo, exec_lo, s25
.LBB4_3840:                             ;   in Loop: Header=BB4_2911 Depth=2
	s_delay_alu instid0(SALU_CYCLE_1)
	s_or_b32 exec_lo, exec_lo, s24
.LBB4_3841:                             ;   in Loop: Header=BB4_2911 Depth=2
	s_delay_alu instid0(SALU_CYCLE_1) | instskip(NEXT) | instid1(SALU_CYCLE_1)
	s_or_b32 exec_lo, exec_lo, s7
	s_mov_b32 s7, exec_lo
	v_cmpx_lt_u64_e64 s[12:13], v[10:11]
	s_cbranch_execz .LBB4_3851
; %bb.3842:                             ;   in Loop: Header=BB4_2911 Depth=2
	v_lshrrev_b32_e32 v14, 24, v11
	v_bfrev_b32_e32 v20, 1
	s_mov_b32 s24, exec_lo
	s_delay_alu instid0(VALU_DEP_2)
	v_cmpx_ne_u32_e32 0x80, v14
	s_cbranch_execz .LBB4_3850
; %bb.3843:                             ;   in Loop: Header=BB4_2911 Depth=2
	v_and_b32_e32 v18, 0x7c000000, v11
	v_bfe_u32 v15, v11, 24, 2
	s_mov_b32 s25, exec_lo
                                        ; implicit-def: $vgpr20
	s_delay_alu instid0(VALU_DEP_2)
	v_cmpx_ne_u32_e32 0x7c000000, v18
	s_xor_b32 s25, exec_lo, s25
	s_cbranch_execz .LBB4_3847
; %bb.3844:                             ;   in Loop: Header=BB4_2911 Depth=2
	v_bfe_u32 v18, v11, 26, 5
	s_mov_b32 s26, exec_lo
	s_delay_alu instid0(VALU_DEP_1)
	v_cmpx_eq_u32_e32 0, v18
; %bb.3845:                             ;   in Loop: Header=BB4_2911 Depth=2
	v_clz_i32_u32_e32 v15, v15
	s_delay_alu instid0(VALU_DEP_1) | instskip(NEXT) | instid1(VALU_DEP_1)
	v_min_u32_e32 v18, 32, v15
	v_subrev_nc_u32_e32 v15, 29, v18
	v_sub_nc_u32_e32 v18, 30, v18
	s_delay_alu instid0(VALU_DEP_2) | instskip(NEXT) | instid1(VALU_DEP_1)
	v_lshlrev_b64_e32 v[14:15], v15, v[14:15]
	v_and_b32_e32 v15, 3, v14
; %bb.3846:                             ;   in Loop: Header=BB4_2911 Depth=2
	s_or_b32 exec_lo, exec_lo, s26
	v_and_b32_e32 v14, 0x80000000, v11
	s_delay_alu instid0(VALU_DEP_1) | instskip(NEXT) | instid1(VALU_DEP_1)
	v_lshl_add_u32 v14, v18, 23, v14
	v_lshl_or_b32 v14, v15, 21, v14
                                        ; implicit-def: $vgpr15
	s_delay_alu instid0(VALU_DEP_1)
	v_add_nc_u32_e32 v20, 0x38000000, v14
.LBB4_3847:                             ;   in Loop: Header=BB4_2911 Depth=2
	s_and_not1_saveexec_b32 s25, s25
; %bb.3848:                             ;   in Loop: Header=BB4_2911 Depth=2
	v_cmp_lt_i64_e32 vcc_lo, -1, v[10:11]
	v_cndmask_b32_e32 v10, 0xff800000, v109, vcc_lo
	v_cmp_eq_u32_e32 vcc_lo, 0, v15
	s_delay_alu instid0(VALU_DEP_2)
	v_cndmask_b32_e32 v20, 0x7f800001, v10, vcc_lo
; %bb.3849:                             ;   in Loop: Header=BB4_2911 Depth=2
	s_or_b32 exec_lo, exec_lo, s25
.LBB4_3850:                             ;   in Loop: Header=BB4_2911 Depth=2
	s_delay_alu instid0(SALU_CYCLE_1)
	s_or_b32 exec_lo, exec_lo, s24
.LBB4_3851:                             ;   in Loop: Header=BB4_2911 Depth=2
	s_delay_alu instid0(SALU_CYCLE_1) | instskip(NEXT) | instid1(VALU_DEP_1)
	s_or_b32 exec_lo, exec_lo, s7
	v_dual_mul_f32 v10, v21, v20 :: v_dual_mov_b32 v15, v55
                                        ; implicit-def: $vgpr18
	s_mov_b32 s7, exec_lo
	s_delay_alu instid0(VALU_DEP_1) | instskip(SKIP_2) | instid1(VALU_DEP_3)
	v_and_b32_e32 v14, 0x7f800000, v10
	v_and_b32_e32 v54, 0x7fffff, v10
	v_lshrrev_b32_e32 v11, 24, v10
	v_cmpx_ne_u64_e32 0x7f800000, v[14:15]
	s_xor_b32 s24, exec_lo, s7
	s_cbranch_execz .LBB4_3865
; %bb.3852:                             ;   in Loop: Header=BB4_2911 Depth=2
	v_and_b32_e32 v14, 0x7fffffff, v10
	v_mov_b32_e32 v15, v55
	v_and_b32_e32 v20, 0x80, v11
                                        ; implicit-def: $vgpr18
	s_mov_b32 s7, exec_lo
	s_delay_alu instid0(VALU_DEP_2)
	v_cmpx_gt_u64_e32 0x47600001, v[14:15]
	s_xor_b32 s25, exec_lo, s7
	s_cbranch_execz .LBB4_3862
; %bb.3853:                             ;   in Loop: Header=BB4_2911 Depth=2
	v_mov_b32_e32 v18, 0
	s_mov_b32 s26, exec_lo
	v_cmpx_ne_u32_e32 0, v10
	s_cbranch_execz .LBB4_3861
; %bb.3854:                             ;   in Loop: Header=BB4_2911 Depth=2
	v_bfe_u32 v18, v10, 23, 8
	v_or_b32_e32 v14, 0x800000, v54
	s_delay_alu instid0(VALU_DEP_2) | instskip(SKIP_1) | instid1(VALU_DEP_2)
	v_sub_nc_u32_e32 v10, 0x71, v18
	v_cmp_gt_u32_e32 vcc_lo, 0x72, v18
	v_cndmask_b32_e32 v10, 0, v10, vcc_lo
	v_cmp_eq_u32_e32 vcc_lo, 0, v18
	s_delay_alu instid0(VALU_DEP_2) | instskip(NEXT) | instid1(VALU_DEP_1)
	v_cndmask_b32_e64 v21, v10, 0x70, vcc_lo
	v_dual_cndmask_b32 v54, v14, v54, vcc_lo :: v_dual_add_nc_u32 v10, 21, v21
	v_add_nc_u32_e32 v15, 20, v21
	s_delay_alu instid0(VALU_DEP_2) | instskip(NEXT) | instid1(VALU_DEP_2)
	v_lshlrev_b64_e64 v[10:11], v10, -1
	v_lshlrev_b64_e64 v[14:15], v15, 1
	s_delay_alu instid0(VALU_DEP_2) | instskip(NEXT) | instid1(VALU_DEP_3)
	v_bfi_b32 v47, v11, 0, 0
	v_bfi_b32 v46, v10, 0, v54
	v_lshrrev_b64 v[10:11], v21, v[54:55]
	s_delay_alu instid0(VALU_DEP_2) | instskip(NEXT) | instid1(VALU_DEP_2)
	v_cmp_eq_u64_e64 s7, v[46:47], v[14:15]
	v_mov_b64_e32 v[14:15], v[10:11]
	s_and_saveexec_b32 s27, s7
; %bb.3855:                             ;   in Loop: Header=BB4_2911 Depth=2
	v_bfe_u32 v54, v10, 21, 1
	s_delay_alu instid0(VALU_DEP_1) | instskip(NEXT) | instid1(VALU_DEP_1)
	v_add_nc_u64_e32 v[14:15], v[10:11], v[54:55]
	v_add_nc_u64_e32 v[14:15], -1, v[14:15]
; %bb.3856:                             ;   in Loop: Header=BB4_2911 Depth=2
	s_or_b32 exec_lo, exec_lo, s27
	v_add_nc_u32_e32 v11, 0xffffff81, v18
	v_lshrrev_b32_e32 v15, 23, v10
	s_mov_b32 s7, exec_lo
	s_delay_alu instid0(VALU_DEP_2) | instskip(NEXT) | instid1(VALU_DEP_1)
	v_cndmask_b32_e64 v11, v11, 0xffffff82, vcc_lo
	v_add3_u32 v15, v21, v11, v15
	v_and_b32_e32 v11, 0x1fffff, v14
                                        ; implicit-def: $vgpr14
	s_delay_alu instid0(VALU_DEP_1) | instskip(NEXT) | instid1(VALU_DEP_1)
	v_dual_add_nc_u32 v18, 14, v15 :: v_dual_add_nc_u32 v54, v11, v10
                                        ; implicit-def: $vgpr10_vgpr11
	v_cmpx_ne_u32_e32 0, v18
	s_xor_b32 s7, exec_lo, s7
; %bb.3857:                             ;   in Loop: Header=BB4_2911 Depth=2
	s_delay_alu instid0(VALU_DEP_2) | instskip(SKIP_1) | instid1(VALU_DEP_1)
	v_cmp_lt_u64_e32 vcc_lo, 0xffffff, v[54:55]
	v_add_nc_u32_e32 v10, 15, v15
	v_cndmask_b32_e32 v14, v18, v10, vcc_lo
	v_cndmask_b32_e64 v10, 0, 1, vcc_lo
	s_delay_alu instid0(VALU_DEP_1)
	v_lshrrev_b64 v[10:11], v10, v[54:55]
; %bb.3858:                             ;   in Loop: Header=BB4_2911 Depth=2
	s_and_not1_saveexec_b32 s7, s7
; %bb.3859:                             ;   in Loop: Header=BB4_2911 Depth=2
	v_mov_b64_e32 v[10:11], v[54:55]
	v_bfe_u32 v14, v54, 23, 1
; %bb.3860:                             ;   in Loop: Header=BB4_2911 Depth=2
	s_or_b32 exec_lo, exec_lo, s7
	s_delay_alu instid0(VALU_DEP_2) | instskip(NEXT) | instid1(VALU_DEP_2)
	v_lshrrev_b64 v[10:11], 21, v[10:11]
	v_cmp_gt_i32_e32 vcc_lo, 32, v14
	v_min_i32_e32 v15, 31, v14
	v_cmp_eq_u32_e64 s7, 0, v14
	s_delay_alu instid0(VALU_DEP_4) | instskip(NEXT) | instid1(VALU_DEP_3)
	v_cndmask_b32_e32 v11, 0, v11, vcc_lo
	v_dual_cndmask_b32 v10, 3, v10 :: v_dual_lshlrev_b32 v15, 2, v15
	s_delay_alu instid0(VALU_DEP_1) | instskip(NEXT) | instid1(VALU_DEP_2)
	v_and_b32_e32 v15, 0xfc, v15
	v_cmp_eq_u64_e32 vcc_lo, 0, v[10:11]
	s_delay_alu instid0(VALU_DEP_2)
	v_and_or_b32 v10, v10, 3, v15
	s_and_b32 s7, s7, vcc_lo
	s_delay_alu instid0(VALU_DEP_1) | instid1(SALU_CYCLE_1)
	v_cndmask_b32_e64 v10, v10, 0, s7
	s_delay_alu instid0(VALU_DEP_1)
	v_or_b32_e32 v18, v10, v20
.LBB4_3861:                             ;   in Loop: Header=BB4_2911 Depth=2
	s_or_b32 exec_lo, exec_lo, s26
                                        ; implicit-def: $vgpr20
.LBB4_3862:                             ;   in Loop: Header=BB4_2911 Depth=2
	s_and_not1_saveexec_b32 s7, s25
; %bb.3863:                             ;   in Loop: Header=BB4_2911 Depth=2
	v_or_b32_e32 v18, 0x7b, v20
; %bb.3864:                             ;   in Loop: Header=BB4_2911 Depth=2
	s_or_b32 exec_lo, exec_lo, s7
                                        ; implicit-def: $vgpr10
                                        ; implicit-def: $vgpr11
.LBB4_3865:                             ;   in Loop: Header=BB4_2911 Depth=2
	s_and_not1_saveexec_b32 s7, s24
	s_cbranch_execz .LBB4_3871
; %bb.3866:                             ;   in Loop: Header=BB4_2911 Depth=2
	s_mov_b32 s24, exec_lo
                                        ; implicit-def: $vgpr18
	v_cmpx_ne_u64_e32 0, v[54:55]
	s_xor_b32 s24, exec_lo, s24
; %bb.3867:                             ;   in Loop: Header=BB4_2911 Depth=2
	v_or_b32_e32 v18, 0x7f, v11
                                        ; implicit-def: $vgpr10
; %bb.3868:                             ;   in Loop: Header=BB4_2911 Depth=2
	s_and_not1_saveexec_b32 s24, s24
; %bb.3869:                             ;   in Loop: Header=BB4_2911 Depth=2
	v_cmp_lt_i32_e32 vcc_lo, -1, v10
	v_cndmask_b32_e32 v18, 0xfc, v110, vcc_lo
; %bb.3870:                             ;   in Loop: Header=BB4_2911 Depth=2
	s_or_b32 exec_lo, exec_lo, s24
.LBB4_3871:                             ;   in Loop: Header=BB4_2911 Depth=2
	s_delay_alu instid0(SALU_CYCLE_1) | instskip(SKIP_2) | instid1(VALU_DEP_2)
	s_or_b32 exec_lo, exec_lo, s7
	v_and_b32_e32 v11, 0xff, v16
	v_mov_b32_e32 v10, 0
	v_cmp_ne_u16_e32 vcc_lo, 0, v11
	v_mov_b32_e32 v11, 0
	s_and_saveexec_b32 s7, vcc_lo
	s_cbranch_execz .LBB4_3881
; %bb.3872:                             ;   in Loop: Header=BB4_2911 Depth=2
	v_bfe_i32 v15, v16, 0, 8
	v_bfrev_b32_e32 v11, 1
	s_mov_b32 s24, exec_lo
	s_delay_alu instid0(VALU_DEP_2)
	v_cmpx_ne_u16_e32 0xff80, v15
	s_cbranch_execz .LBB4_3880
; %bb.3873:                             ;   in Loop: Header=BB4_2911 Depth=2
	v_and_b32_e32 v11, 0x7c, v16
	v_and_b32_e32 v14, 3, v16
	s_delay_alu instid0(VALU_DEP_2) | instskip(SKIP_1) | instid1(SALU_CYCLE_1)
	v_cmp_ne_u32_e32 vcc_lo, 0x7c, v11
                                        ; implicit-def: $vgpr11
	s_and_saveexec_b32 s25, vcc_lo
	s_xor_b32 s25, exec_lo, s25
	s_cbranch_execz .LBB4_3877
; %bb.3874:                             ;   in Loop: Header=BB4_2911 Depth=2
	v_bfe_u32 v11, v16, 2, 5
	s_mov_b32 s26, exec_lo
	s_delay_alu instid0(VALU_DEP_1)
	v_cmpx_eq_u32_e32 0, v11
; %bb.3875:                             ;   in Loop: Header=BB4_2911 Depth=2
	v_clz_i32_u32_e32 v11, v14
	s_delay_alu instid0(VALU_DEP_1) | instskip(NEXT) | instid1(VALU_DEP_1)
	v_min_u32_e32 v11, 32, v11
	v_subrev_nc_u32_e32 v14, 29, v11
	s_delay_alu instid0(VALU_DEP_1) | instskip(NEXT) | instid1(VALU_DEP_1)
	v_lshlrev_b64_e32 v[14:15], v14, v[16:17]
	v_dual_sub_nc_u32 v11, 30, v11 :: v_dual_bitop2_b32 v14, 3, v14 bitop3:0x40
; %bb.3876:                             ;   in Loop: Header=BB4_2911 Depth=2
	s_or_b32 exec_lo, exec_lo, s26
	v_lshlrev_b32_e32 v15, 24, v16
	s_delay_alu instid0(VALU_DEP_1) | instskip(NEXT) | instid1(VALU_DEP_1)
	v_and_b32_e32 v15, 0x80000000, v15
	v_lshl_add_u32 v11, v11, 23, v15
                                        ; implicit-def: $vgpr15
	s_delay_alu instid0(VALU_DEP_1) | instskip(NEXT) | instid1(VALU_DEP_1)
	v_lshl_or_b32 v11, v14, 21, v11
                                        ; implicit-def: $vgpr14
	v_add_nc_u32_e32 v11, 0x38000000, v11
.LBB4_3877:                             ;   in Loop: Header=BB4_2911 Depth=2
	s_and_not1_saveexec_b32 s25, s25
; %bb.3878:                             ;   in Loop: Header=BB4_2911 Depth=2
	v_cmp_lt_i16_e32 vcc_lo, -1, v15
	v_cndmask_b32_e32 v11, 0xff800000, v109, vcc_lo
	v_cmp_eq_u32_e32 vcc_lo, 0, v14
	s_delay_alu instid0(VALU_DEP_2)
	v_cndmask_b32_e32 v11, 0x7f800001, v11, vcc_lo
; %bb.3879:                             ;   in Loop: Header=BB4_2911 Depth=2
	s_or_b32 exec_lo, exec_lo, s25
.LBB4_3880:                             ;   in Loop: Header=BB4_2911 Depth=2
	s_delay_alu instid0(SALU_CYCLE_1)
	s_or_b32 exec_lo, exec_lo, s24
.LBB4_3881:                             ;   in Loop: Header=BB4_2911 Depth=2
	s_delay_alu instid0(SALU_CYCLE_1) | instskip(SKIP_2) | instid1(VALU_DEP_1)
	s_or_b32 exec_lo, exec_lo, s7
	v_and_b32_e32 v14, 0xff, v12
	s_mov_b32 s7, exec_lo
	v_cmpx_ne_u16_e32 0, v14
	s_cbranch_execz .LBB4_3891
; %bb.3882:                             ;   in Loop: Header=BB4_2911 Depth=2
	v_bfe_i32 v15, v12, 0, 8
	v_bfrev_b32_e32 v10, 1
	s_mov_b32 s24, exec_lo
	s_delay_alu instid0(VALU_DEP_2)
	v_cmpx_ne_u16_e32 0xff80, v15
	s_cbranch_execz .LBB4_3890
; %bb.3883:                             ;   in Loop: Header=BB4_2911 Depth=2
	v_and_b32_e32 v10, 0x7c, v12
	v_and_b32_e32 v14, 3, v12
	s_delay_alu instid0(VALU_DEP_2) | instskip(SKIP_1) | instid1(SALU_CYCLE_1)
	v_cmp_ne_u32_e32 vcc_lo, 0x7c, v10
                                        ; implicit-def: $vgpr10
	s_and_saveexec_b32 s25, vcc_lo
	s_xor_b32 s25, exec_lo, s25
	s_cbranch_execz .LBB4_3887
; %bb.3884:                             ;   in Loop: Header=BB4_2911 Depth=2
	v_bfe_u32 v10, v12, 2, 5
	s_mov_b32 s26, exec_lo
	s_delay_alu instid0(VALU_DEP_1)
	v_cmpx_eq_u32_e32 0, v10
; %bb.3885:                             ;   in Loop: Header=BB4_2911 Depth=2
	v_clz_i32_u32_e32 v10, v14
	s_delay_alu instid0(VALU_DEP_1) | instskip(NEXT) | instid1(VALU_DEP_1)
	v_min_u32_e32 v10, 32, v10
	v_subrev_nc_u32_e32 v14, 29, v10
	v_sub_nc_u32_e32 v10, 30, v10
	s_delay_alu instid0(VALU_DEP_2) | instskip(NEXT) | instid1(VALU_DEP_1)
	v_lshlrev_b64_e32 v[14:15], v14, v[12:13]
	v_and_b32_e32 v14, 3, v14
; %bb.3886:                             ;   in Loop: Header=BB4_2911 Depth=2
	s_or_b32 exec_lo, exec_lo, s26
	v_lshlrev_b32_e32 v15, 24, v12
	s_delay_alu instid0(VALU_DEP_1) | instskip(NEXT) | instid1(VALU_DEP_1)
	v_and_b32_e32 v15, 0x80000000, v15
	v_lshl_add_u32 v10, v10, 23, v15
                                        ; implicit-def: $vgpr15
	s_delay_alu instid0(VALU_DEP_1) | instskip(NEXT) | instid1(VALU_DEP_1)
	v_lshl_or_b32 v10, v14, 21, v10
                                        ; implicit-def: $vgpr14
	v_add_nc_u32_e32 v10, 0x38000000, v10
.LBB4_3887:                             ;   in Loop: Header=BB4_2911 Depth=2
	s_and_not1_saveexec_b32 s25, s25
; %bb.3888:                             ;   in Loop: Header=BB4_2911 Depth=2
	v_cmp_lt_i16_e32 vcc_lo, -1, v15
	v_cndmask_b32_e32 v10, 0xff800000, v109, vcc_lo
	v_cmp_eq_u32_e32 vcc_lo, 0, v14
	s_delay_alu instid0(VALU_DEP_2)
	v_cndmask_b32_e32 v10, 0x7f800001, v10, vcc_lo
; %bb.3889:                             ;   in Loop: Header=BB4_2911 Depth=2
	s_or_b32 exec_lo, exec_lo, s25
.LBB4_3890:                             ;   in Loop: Header=BB4_2911 Depth=2
	s_delay_alu instid0(SALU_CYCLE_1)
	s_or_b32 exec_lo, exec_lo, s24
.LBB4_3891:                             ;   in Loop: Header=BB4_2911 Depth=2
	s_delay_alu instid0(SALU_CYCLE_1) | instskip(NEXT) | instid1(VALU_DEP_1)
	s_or_b32 exec_lo, exec_lo, s7
	v_mul_f32_e32 v10, v11, v10
	v_mov_b32_e32 v15, v55
                                        ; implicit-def: $vgpr20
	s_mov_b32 s7, exec_lo
	s_delay_alu instid0(VALU_DEP_2) | instskip(SKIP_2) | instid1(VALU_DEP_3)
	v_and_b32_e32 v14, 0x7f800000, v10
	v_and_b32_e32 v54, 0x7fffff, v10
	v_lshrrev_b32_e32 v11, 24, v10
	v_cmpx_ne_u64_e32 0x7f800000, v[14:15]
	s_xor_b32 s24, exec_lo, s7
	s_cbranch_execz .LBB4_3905
; %bb.3892:                             ;   in Loop: Header=BB4_2911 Depth=2
	v_and_b32_e32 v14, 0x7fffffff, v10
	v_mov_b32_e32 v15, v55
	v_and_b32_e32 v21, 0x80, v11
                                        ; implicit-def: $vgpr20
	s_mov_b32 s7, exec_lo
	s_delay_alu instid0(VALU_DEP_2)
	v_cmpx_gt_u64_e32 0x47600001, v[14:15]
	s_xor_b32 s25, exec_lo, s7
	s_cbranch_execz .LBB4_3902
; %bb.3893:                             ;   in Loop: Header=BB4_2911 Depth=2
	v_mov_b32_e32 v20, 0
	s_mov_b32 s26, exec_lo
	v_cmpx_ne_u32_e32 0, v10
	s_cbranch_execz .LBB4_3901
; %bb.3894:                             ;   in Loop: Header=BB4_2911 Depth=2
	v_bfe_u32 v20, v10, 23, 8
	v_or_b32_e32 v14, 0x800000, v54
	s_delay_alu instid0(VALU_DEP_2) | instskip(SKIP_1) | instid1(VALU_DEP_2)
	v_sub_nc_u32_e32 v10, 0x71, v20
	v_cmp_gt_u32_e32 vcc_lo, 0x72, v20
	v_cndmask_b32_e32 v10, 0, v10, vcc_lo
	v_cmp_eq_u32_e32 vcc_lo, 0, v20
	s_delay_alu instid0(VALU_DEP_2) | instskip(SKIP_1) | instid1(VALU_DEP_2)
	v_cndmask_b32_e64 v46, v10, 0x70, vcc_lo
	v_cndmask_b32_e32 v54, v14, v54, vcc_lo
	v_dual_add_nc_u32 v10, 21, v46 :: v_dual_add_nc_u32 v15, 20, v46
	s_delay_alu instid0(VALU_DEP_1) | instskip(NEXT) | instid1(VALU_DEP_2)
	v_lshlrev_b64_e64 v[10:11], v10, -1
	v_lshlrev_b64_e64 v[14:15], v15, 1
	s_delay_alu instid0(VALU_DEP_2) | instskip(NEXT) | instid1(VALU_DEP_3)
	v_bfi_b32 v57, v11, 0, 0
	v_bfi_b32 v56, v10, 0, v54
	v_lshrrev_b64 v[10:11], v46, v[54:55]
	s_delay_alu instid0(VALU_DEP_2) | instskip(NEXT) | instid1(VALU_DEP_2)
	v_cmp_eq_u64_e64 s7, v[56:57], v[14:15]
	v_mov_b64_e32 v[14:15], v[10:11]
	s_and_saveexec_b32 s27, s7
; %bb.3895:                             ;   in Loop: Header=BB4_2911 Depth=2
	v_bfe_u32 v54, v10, 21, 1
	s_delay_alu instid0(VALU_DEP_1) | instskip(NEXT) | instid1(VALU_DEP_1)
	v_add_nc_u64_e32 v[14:15], v[10:11], v[54:55]
	v_add_nc_u64_e32 v[14:15], -1, v[14:15]
; %bb.3896:                             ;   in Loop: Header=BB4_2911 Depth=2
	s_or_b32 exec_lo, exec_lo, s27
	v_add_nc_u32_e32 v11, 0xffffff81, v20
	v_lshrrev_b32_e32 v15, 23, v10
	s_mov_b32 s7, exec_lo
	s_delay_alu instid0(VALU_DEP_2) | instskip(NEXT) | instid1(VALU_DEP_1)
	v_cndmask_b32_e64 v11, v11, 0xffffff82, vcc_lo
	v_add3_u32 v15, v46, v11, v15
	v_and_b32_e32 v11, 0x1fffff, v14
                                        ; implicit-def: $vgpr14
	s_delay_alu instid0(VALU_DEP_1) | instskip(NEXT) | instid1(VALU_DEP_1)
	v_dual_add_nc_u32 v20, 14, v15 :: v_dual_add_nc_u32 v54, v11, v10
                                        ; implicit-def: $vgpr10_vgpr11
	v_cmpx_ne_u32_e32 0, v20
	s_xor_b32 s7, exec_lo, s7
; %bb.3897:                             ;   in Loop: Header=BB4_2911 Depth=2
	s_delay_alu instid0(VALU_DEP_2) | instskip(SKIP_1) | instid1(VALU_DEP_1)
	v_cmp_lt_u64_e32 vcc_lo, 0xffffff, v[54:55]
	v_add_nc_u32_e32 v10, 15, v15
	v_cndmask_b32_e32 v14, v20, v10, vcc_lo
	v_cndmask_b32_e64 v10, 0, 1, vcc_lo
	s_delay_alu instid0(VALU_DEP_1)
	v_lshrrev_b64 v[10:11], v10, v[54:55]
; %bb.3898:                             ;   in Loop: Header=BB4_2911 Depth=2
	s_and_not1_saveexec_b32 s7, s7
; %bb.3899:                             ;   in Loop: Header=BB4_2911 Depth=2
	v_mov_b64_e32 v[10:11], v[54:55]
	v_bfe_u32 v14, v54, 23, 1
; %bb.3900:                             ;   in Loop: Header=BB4_2911 Depth=2
	s_or_b32 exec_lo, exec_lo, s7
	s_delay_alu instid0(VALU_DEP_2) | instskip(NEXT) | instid1(VALU_DEP_2)
	v_lshrrev_b64 v[10:11], 21, v[10:11]
	v_cmp_gt_i32_e32 vcc_lo, 32, v14
	v_min_i32_e32 v15, 31, v14
	v_cmp_eq_u32_e64 s7, 0, v14
	s_delay_alu instid0(VALU_DEP_4) | instskip(NEXT) | instid1(VALU_DEP_3)
	v_cndmask_b32_e32 v11, 0, v11, vcc_lo
	v_dual_cndmask_b32 v10, 3, v10 :: v_dual_lshlrev_b32 v15, 2, v15
	s_delay_alu instid0(VALU_DEP_1) | instskip(NEXT) | instid1(VALU_DEP_2)
	v_and_b32_e32 v15, 0xfc, v15
	v_cmp_eq_u64_e32 vcc_lo, 0, v[10:11]
	s_delay_alu instid0(VALU_DEP_2)
	v_and_or_b32 v10, v10, 3, v15
	s_and_b32 s7, s7, vcc_lo
	s_delay_alu instid0(VALU_DEP_1) | instid1(SALU_CYCLE_1)
	v_cndmask_b32_e64 v10, v10, 0, s7
	s_delay_alu instid0(VALU_DEP_1)
	v_or_b32_e32 v20, v10, v21
.LBB4_3901:                             ;   in Loop: Header=BB4_2911 Depth=2
	s_or_b32 exec_lo, exec_lo, s26
                                        ; implicit-def: $vgpr21
.LBB4_3902:                             ;   in Loop: Header=BB4_2911 Depth=2
	s_and_not1_saveexec_b32 s7, s25
; %bb.3903:                             ;   in Loop: Header=BB4_2911 Depth=2
	v_or_b32_e32 v20, 0x7b, v21
; %bb.3904:                             ;   in Loop: Header=BB4_2911 Depth=2
	s_or_b32 exec_lo, exec_lo, s7
                                        ; implicit-def: $vgpr10
                                        ; implicit-def: $vgpr11
.LBB4_3905:                             ;   in Loop: Header=BB4_2911 Depth=2
	s_and_not1_saveexec_b32 s7, s24
	s_cbranch_execz .LBB4_3911
; %bb.3906:                             ;   in Loop: Header=BB4_2911 Depth=2
	s_mov_b32 s24, exec_lo
                                        ; implicit-def: $vgpr20
	v_cmpx_ne_u64_e32 0, v[54:55]
	s_xor_b32 s24, exec_lo, s24
; %bb.3907:                             ;   in Loop: Header=BB4_2911 Depth=2
	v_or_b32_e32 v20, 0x7f, v11
                                        ; implicit-def: $vgpr10
; %bb.3908:                             ;   in Loop: Header=BB4_2911 Depth=2
	s_and_not1_saveexec_b32 s24, s24
; %bb.3909:                             ;   in Loop: Header=BB4_2911 Depth=2
	v_cmp_lt_i32_e32 vcc_lo, -1, v10
	v_cndmask_b32_e32 v20, 0xfc, v110, vcc_lo
; %bb.3910:                             ;   in Loop: Header=BB4_2911 Depth=2
	s_or_b32 exec_lo, exec_lo, s24
.LBB4_3911:                             ;   in Loop: Header=BB4_2911 Depth=2
	s_delay_alu instid0(SALU_CYCLE_1) | instskip(SKIP_3) | instid1(VALU_DEP_2)
	s_or_b32 exec_lo, exec_lo, s7
	v_lshrrev_b16 v54, 8, v16
	v_dual_mov_b32 v10, 0 :: v_dual_mov_b32 v11, 0
	s_mov_b32 s7, exec_lo
	v_cmpx_ne_u16_e32 0, v54
	s_cbranch_execz .LBB4_3921
; %bb.3912:                             ;   in Loop: Header=BB4_2911 Depth=2
	v_bfrev_b32_e32 v11, 1
	s_mov_b32 s24, exec_lo
	v_cmpx_ne_u16_e32 0x80, v54
	s_cbranch_execz .LBB4_3920
; %bb.3913:                             ;   in Loop: Header=BB4_2911 Depth=2
	v_and_b32_e32 v15, 0xffff, v54
	s_delay_alu instid0(VALU_DEP_1) | instskip(SKIP_1) | instid1(VALU_DEP_2)
	v_and_b32_e32 v11, 0x7c, v15
	v_and_b32_e32 v14, 3, v15
	v_cmp_ne_u32_e32 vcc_lo, 0x7c, v11
                                        ; implicit-def: $vgpr11
	s_and_saveexec_b32 s25, vcc_lo
	s_delay_alu instid0(SALU_CYCLE_1)
	s_xor_b32 s25, exec_lo, s25
	s_cbranch_execz .LBB4_3917
; %bb.3914:                             ;   in Loop: Header=BB4_2911 Depth=2
	v_bfe_u32 v11, v15, 2, 5
	s_mov_b32 s26, exec_lo
	s_delay_alu instid0(VALU_DEP_1)
	v_cmpx_eq_u32_e32 0, v11
; %bb.3915:                             ;   in Loop: Header=BB4_2911 Depth=2
	v_clz_i32_u32_e32 v11, v14
	s_delay_alu instid0(VALU_DEP_1) | instskip(NEXT) | instid1(VALU_DEP_1)
	v_min_u32_e32 v11, 32, v11
	v_subrev_nc_u32_e32 v14, 29, v11
	s_delay_alu instid0(VALU_DEP_1) | instskip(NEXT) | instid1(VALU_DEP_1)
	v_lshlrev_b64_e32 v[14:15], v14, v[54:55]
	v_dual_sub_nc_u32 v11, 30, v11 :: v_dual_bitop2_b32 v14, 3, v14 bitop3:0x40
; %bb.3916:                             ;   in Loop: Header=BB4_2911 Depth=2
	s_or_b32 exec_lo, exec_lo, s26
	v_lshlrev_b32_e32 v15, 16, v16
	s_delay_alu instid0(VALU_DEP_1) | instskip(NEXT) | instid1(VALU_DEP_1)
	v_and_b32_e32 v15, 0x80000000, v15
	v_lshl_add_u32 v11, v11, 23, v15
	s_delay_alu instid0(VALU_DEP_1) | instskip(NEXT) | instid1(VALU_DEP_1)
	v_lshl_or_b32 v11, v14, 21, v11
                                        ; implicit-def: $vgpr14
	v_add_nc_u32_e32 v11, 0x38000000, v11
.LBB4_3917:                             ;   in Loop: Header=BB4_2911 Depth=2
	s_and_not1_saveexec_b32 s25, s25
; %bb.3918:                             ;   in Loop: Header=BB4_2911 Depth=2
	v_cmp_lt_i16_e32 vcc_lo, -1, v16
	v_cndmask_b32_e32 v11, 0xff800000, v109, vcc_lo
	v_cmp_eq_u32_e32 vcc_lo, 0, v14
	s_delay_alu instid0(VALU_DEP_2)
	v_cndmask_b32_e32 v11, 0x7f800001, v11, vcc_lo
; %bb.3919:                             ;   in Loop: Header=BB4_2911 Depth=2
	s_or_b32 exec_lo, exec_lo, s25
.LBB4_3920:                             ;   in Loop: Header=BB4_2911 Depth=2
	s_delay_alu instid0(SALU_CYCLE_1)
	s_or_b32 exec_lo, exec_lo, s24
.LBB4_3921:                             ;   in Loop: Header=BB4_2911 Depth=2
	s_delay_alu instid0(SALU_CYCLE_1) | instskip(SKIP_2) | instid1(VALU_DEP_1)
	s_or_b32 exec_lo, exec_lo, s7
	v_lshrrev_b16 v54, 8, v12
	s_mov_b32 s7, exec_lo
	v_cmpx_ne_u16_e32 0, v54
	s_cbranch_execz .LBB4_3931
; %bb.3922:                             ;   in Loop: Header=BB4_2911 Depth=2
	v_bfrev_b32_e32 v10, 1
	s_mov_b32 s24, exec_lo
	v_cmpx_ne_u16_e32 0x80, v54
	s_cbranch_execz .LBB4_3930
; %bb.3923:                             ;   in Loop: Header=BB4_2911 Depth=2
	v_and_b32_e32 v15, 0xffff, v54
	s_delay_alu instid0(VALU_DEP_1) | instskip(SKIP_1) | instid1(VALU_DEP_2)
	v_and_b32_e32 v10, 0x7c, v15
	v_and_b32_e32 v14, 3, v15
	v_cmp_ne_u32_e32 vcc_lo, 0x7c, v10
                                        ; implicit-def: $vgpr10
	s_and_saveexec_b32 s25, vcc_lo
	s_delay_alu instid0(SALU_CYCLE_1)
	s_xor_b32 s25, exec_lo, s25
	s_cbranch_execz .LBB4_3927
; %bb.3924:                             ;   in Loop: Header=BB4_2911 Depth=2
	v_bfe_u32 v10, v15, 2, 5
	s_mov_b32 s26, exec_lo
	s_delay_alu instid0(VALU_DEP_1)
	v_cmpx_eq_u32_e32 0, v10
; %bb.3925:                             ;   in Loop: Header=BB4_2911 Depth=2
	v_clz_i32_u32_e32 v10, v14
	s_delay_alu instid0(VALU_DEP_1) | instskip(NEXT) | instid1(VALU_DEP_1)
	v_min_u32_e32 v10, 32, v10
	v_subrev_nc_u32_e32 v14, 29, v10
	v_sub_nc_u32_e32 v10, 30, v10
	s_delay_alu instid0(VALU_DEP_2) | instskip(NEXT) | instid1(VALU_DEP_1)
	v_lshlrev_b64_e32 v[14:15], v14, v[54:55]
	v_and_b32_e32 v14, 3, v14
; %bb.3926:                             ;   in Loop: Header=BB4_2911 Depth=2
	s_or_b32 exec_lo, exec_lo, s26
	v_lshlrev_b32_e32 v15, 16, v12
	s_delay_alu instid0(VALU_DEP_1) | instskip(NEXT) | instid1(VALU_DEP_1)
	v_and_b32_e32 v15, 0x80000000, v15
	v_lshl_add_u32 v10, v10, 23, v15
	s_delay_alu instid0(VALU_DEP_1) | instskip(NEXT) | instid1(VALU_DEP_1)
	v_lshl_or_b32 v10, v14, 21, v10
                                        ; implicit-def: $vgpr14
	v_add_nc_u32_e32 v10, 0x38000000, v10
.LBB4_3927:                             ;   in Loop: Header=BB4_2911 Depth=2
	s_and_not1_saveexec_b32 s25, s25
; %bb.3928:                             ;   in Loop: Header=BB4_2911 Depth=2
	v_cmp_lt_i16_e32 vcc_lo, -1, v12
	v_cndmask_b32_e32 v10, 0xff800000, v109, vcc_lo
	v_cmp_eq_u32_e32 vcc_lo, 0, v14
	s_delay_alu instid0(VALU_DEP_2)
	v_cndmask_b32_e32 v10, 0x7f800001, v10, vcc_lo
; %bb.3929:                             ;   in Loop: Header=BB4_2911 Depth=2
	s_or_b32 exec_lo, exec_lo, s25
.LBB4_3930:                             ;   in Loop: Header=BB4_2911 Depth=2
	s_delay_alu instid0(SALU_CYCLE_1)
	s_or_b32 exec_lo, exec_lo, s24
.LBB4_3931:                             ;   in Loop: Header=BB4_2911 Depth=2
	s_delay_alu instid0(SALU_CYCLE_1) | instskip(NEXT) | instid1(VALU_DEP_1)
	s_or_b32 exec_lo, exec_lo, s7
	v_mul_f32_e32 v10, v11, v10
	v_mov_b32_e32 v15, v55
                                        ; implicit-def: $vgpr21
	s_mov_b32 s7, exec_lo
	s_delay_alu instid0(VALU_DEP_2) | instskip(SKIP_2) | instid1(VALU_DEP_3)
	v_and_b32_e32 v14, 0x7f800000, v10
	v_and_b32_e32 v54, 0x7fffff, v10
	v_lshrrev_b32_e32 v11, 24, v10
	v_cmpx_ne_u64_e32 0x7f800000, v[14:15]
	s_xor_b32 s24, exec_lo, s7
	s_cbranch_execz .LBB4_3945
; %bb.3932:                             ;   in Loop: Header=BB4_2911 Depth=2
	v_and_b32_e32 v14, 0x7fffffff, v10
	v_mov_b32_e32 v15, v55
	v_and_b32_e32 v46, 0x80, v11
                                        ; implicit-def: $vgpr21
	s_mov_b32 s7, exec_lo
	s_delay_alu instid0(VALU_DEP_2)
	v_cmpx_gt_u64_e32 0x47600001, v[14:15]
	s_xor_b32 s25, exec_lo, s7
	s_cbranch_execz .LBB4_3942
; %bb.3933:                             ;   in Loop: Header=BB4_2911 Depth=2
	v_mov_b32_e32 v21, 0
	s_mov_b32 s26, exec_lo
	v_cmpx_ne_u32_e32 0, v10
	s_cbranch_execz .LBB4_3941
; %bb.3934:                             ;   in Loop: Header=BB4_2911 Depth=2
	v_bfe_u32 v21, v10, 23, 8
	v_or_b32_e32 v14, 0x800000, v54
	s_delay_alu instid0(VALU_DEP_2) | instskip(SKIP_1) | instid1(VALU_DEP_2)
	v_sub_nc_u32_e32 v10, 0x71, v21
	v_cmp_gt_u32_e32 vcc_lo, 0x72, v21
	v_cndmask_b32_e32 v10, 0, v10, vcc_lo
	v_cmp_eq_u32_e32 vcc_lo, 0, v21
	s_delay_alu instid0(VALU_DEP_2) | instskip(NEXT) | instid1(VALU_DEP_1)
	v_cndmask_b32_e64 v47, v10, 0x70, vcc_lo
	v_dual_cndmask_b32 v54, v14, v54, vcc_lo :: v_dual_add_nc_u32 v10, 21, v47
	v_add_nc_u32_e32 v15, 20, v47
	s_delay_alu instid0(VALU_DEP_2) | instskip(NEXT) | instid1(VALU_DEP_2)
	v_lshlrev_b64_e64 v[10:11], v10, -1
	v_lshlrev_b64_e64 v[14:15], v15, 1
	s_delay_alu instid0(VALU_DEP_2) | instskip(NEXT) | instid1(VALU_DEP_3)
	v_bfi_b32 v57, v11, 0, 0
	v_bfi_b32 v56, v10, 0, v54
	v_lshrrev_b64 v[10:11], v47, v[54:55]
	s_delay_alu instid0(VALU_DEP_2) | instskip(NEXT) | instid1(VALU_DEP_2)
	v_cmp_eq_u64_e64 s7, v[56:57], v[14:15]
	v_mov_b64_e32 v[14:15], v[10:11]
	s_and_saveexec_b32 s27, s7
; %bb.3935:                             ;   in Loop: Header=BB4_2911 Depth=2
	v_bfe_u32 v54, v10, 21, 1
	s_delay_alu instid0(VALU_DEP_1) | instskip(NEXT) | instid1(VALU_DEP_1)
	v_add_nc_u64_e32 v[14:15], v[10:11], v[54:55]
	v_add_nc_u64_e32 v[14:15], -1, v[14:15]
; %bb.3936:                             ;   in Loop: Header=BB4_2911 Depth=2
	s_or_b32 exec_lo, exec_lo, s27
	v_add_nc_u32_e32 v11, 0xffffff81, v21
	v_lshrrev_b32_e32 v15, 23, v10
	s_mov_b32 s7, exec_lo
	s_delay_alu instid0(VALU_DEP_2) | instskip(NEXT) | instid1(VALU_DEP_1)
	v_cndmask_b32_e64 v11, v11, 0xffffff82, vcc_lo
	v_add3_u32 v15, v47, v11, v15
	v_and_b32_e32 v11, 0x1fffff, v14
                                        ; implicit-def: $vgpr14
	s_delay_alu instid0(VALU_DEP_1) | instskip(NEXT) | instid1(VALU_DEP_1)
	v_dual_add_nc_u32 v21, 14, v15 :: v_dual_add_nc_u32 v54, v11, v10
                                        ; implicit-def: $vgpr10_vgpr11
	v_cmpx_ne_u32_e32 0, v21
	s_xor_b32 s7, exec_lo, s7
; %bb.3937:                             ;   in Loop: Header=BB4_2911 Depth=2
	s_delay_alu instid0(VALU_DEP_2) | instskip(SKIP_1) | instid1(VALU_DEP_1)
	v_cmp_lt_u64_e32 vcc_lo, 0xffffff, v[54:55]
	v_add_nc_u32_e32 v10, 15, v15
	v_cndmask_b32_e32 v14, v21, v10, vcc_lo
	v_cndmask_b32_e64 v10, 0, 1, vcc_lo
	s_delay_alu instid0(VALU_DEP_1)
	v_lshrrev_b64 v[10:11], v10, v[54:55]
; %bb.3938:                             ;   in Loop: Header=BB4_2911 Depth=2
	s_and_not1_saveexec_b32 s7, s7
; %bb.3939:                             ;   in Loop: Header=BB4_2911 Depth=2
	v_mov_b64_e32 v[10:11], v[54:55]
	v_bfe_u32 v14, v54, 23, 1
; %bb.3940:                             ;   in Loop: Header=BB4_2911 Depth=2
	s_or_b32 exec_lo, exec_lo, s7
	s_delay_alu instid0(VALU_DEP_2) | instskip(NEXT) | instid1(VALU_DEP_2)
	v_lshrrev_b64 v[10:11], 21, v[10:11]
	v_cmp_gt_i32_e32 vcc_lo, 32, v14
	v_min_i32_e32 v15, 31, v14
	v_cmp_eq_u32_e64 s7, 0, v14
	s_delay_alu instid0(VALU_DEP_4) | instskip(NEXT) | instid1(VALU_DEP_3)
	v_cndmask_b32_e32 v11, 0, v11, vcc_lo
	v_dual_cndmask_b32 v10, 3, v10 :: v_dual_lshlrev_b32 v15, 2, v15
	s_delay_alu instid0(VALU_DEP_1) | instskip(NEXT) | instid1(VALU_DEP_2)
	v_and_b32_e32 v15, 0xfc, v15
	v_cmp_eq_u64_e32 vcc_lo, 0, v[10:11]
	s_delay_alu instid0(VALU_DEP_2)
	v_and_or_b32 v10, v10, 3, v15
	s_and_b32 s7, s7, vcc_lo
	s_delay_alu instid0(VALU_DEP_1) | instid1(SALU_CYCLE_1)
	v_cndmask_b32_e64 v10, v10, 0, s7
	s_delay_alu instid0(VALU_DEP_1)
	v_or_b32_e32 v21, v10, v46
.LBB4_3941:                             ;   in Loop: Header=BB4_2911 Depth=2
	s_or_b32 exec_lo, exec_lo, s26
                                        ; implicit-def: $vgpr46
.LBB4_3942:                             ;   in Loop: Header=BB4_2911 Depth=2
	s_and_not1_saveexec_b32 s7, s25
; %bb.3943:                             ;   in Loop: Header=BB4_2911 Depth=2
	v_or_b32_e32 v21, 0x7b, v46
; %bb.3944:                             ;   in Loop: Header=BB4_2911 Depth=2
	s_or_b32 exec_lo, exec_lo, s7
                                        ; implicit-def: $vgpr10
                                        ; implicit-def: $vgpr11
.LBB4_3945:                             ;   in Loop: Header=BB4_2911 Depth=2
	s_and_not1_saveexec_b32 s7, s24
	s_cbranch_execz .LBB4_3951
; %bb.3946:                             ;   in Loop: Header=BB4_2911 Depth=2
	s_mov_b32 s24, exec_lo
                                        ; implicit-def: $vgpr21
	v_cmpx_ne_u64_e32 0, v[54:55]
	s_xor_b32 s24, exec_lo, s24
; %bb.3947:                             ;   in Loop: Header=BB4_2911 Depth=2
	v_or_b32_e32 v21, 0x7f, v11
                                        ; implicit-def: $vgpr10
; %bb.3948:                             ;   in Loop: Header=BB4_2911 Depth=2
	s_and_not1_saveexec_b32 s24, s24
; %bb.3949:                             ;   in Loop: Header=BB4_2911 Depth=2
	v_cmp_lt_i32_e32 vcc_lo, -1, v10
	v_cndmask_b32_e32 v21, 0xfc, v110, vcc_lo
; %bb.3950:                             ;   in Loop: Header=BB4_2911 Depth=2
	s_or_b32 exec_lo, exec_lo, s24
.LBB4_3951:                             ;   in Loop: Header=BB4_2911 Depth=2
	s_delay_alu instid0(SALU_CYCLE_1) | instskip(SKIP_3) | instid1(VALU_DEP_2)
	s_or_b32 exec_lo, exec_lo, s7
	v_dual_mov_b32 v11, 0 :: v_dual_lshrrev_b32 v10, 16, v16
	v_mov_b32_e32 v14, 0
	s_mov_b32 s7, exec_lo
	v_and_b32_e32 v15, 0xff, v10
	s_delay_alu instid0(VALU_DEP_1)
	v_cmpx_ne_u16_e32 0, v15
	s_cbranch_execz .LBB4_3961
; %bb.3952:                             ;   in Loop: Header=BB4_2911 Depth=2
	v_bfrev_b32_e32 v14, 1
	s_mov_b32 s24, exec_lo
	v_cmpx_ne_u16_e32 0x80, v15
	s_cbranch_execz .LBB4_3960
; %bb.3953:                             ;   in Loop: Header=BB4_2911 Depth=2
	v_and_b32_e32 v14, 0x7c0000, v16
	v_bfe_u32 v15, v16, 16, 2
	s_delay_alu instid0(VALU_DEP_2) | instskip(SKIP_1) | instid1(SALU_CYCLE_1)
	v_cmp_ne_u32_e32 vcc_lo, 0x7c0000, v14
                                        ; implicit-def: $vgpr14
	s_and_saveexec_b32 s25, vcc_lo
	s_xor_b32 s25, exec_lo, s25
	s_cbranch_execz .LBB4_3957
; %bb.3954:                             ;   in Loop: Header=BB4_2911 Depth=2
	v_bfe_u32 v14, v16, 18, 5
	s_mov_b32 s26, exec_lo
	s_delay_alu instid0(VALU_DEP_1)
	v_cmpx_eq_u32_e32 0, v14
; %bb.3955:                             ;   in Loop: Header=BB4_2911 Depth=2
	v_clz_i32_u32_e32 v14, v15
	s_delay_alu instid0(VALU_DEP_1) | instskip(NEXT) | instid1(VALU_DEP_1)
	v_min_u32_e32 v14, 32, v14
	v_subrev_nc_u32_e32 v15, 29, v14
	v_sub_nc_u32_e32 v14, 30, v14
	s_delay_alu instid0(VALU_DEP_2) | instskip(NEXT) | instid1(VALU_DEP_1)
	v_lshlrev_b64_e32 v[46:47], v15, v[10:11]
	v_and_b32_e32 v15, 3, v46
; %bb.3956:                             ;   in Loop: Header=BB4_2911 Depth=2
	s_or_b32 exec_lo, exec_lo, s26
	v_lshlrev_b32_e32 v10, 24, v10
	s_delay_alu instid0(VALU_DEP_1) | instskip(NEXT) | instid1(VALU_DEP_1)
	v_and_b32_e32 v10, 0x80000000, v10
	v_lshl_add_u32 v10, v14, 23, v10
	s_delay_alu instid0(VALU_DEP_1) | instskip(NEXT) | instid1(VALU_DEP_1)
	v_lshl_or_b32 v10, v15, 21, v10
                                        ; implicit-def: $vgpr15
	v_add_nc_u32_e32 v14, 0x38000000, v10
                                        ; implicit-def: $vgpr10
.LBB4_3957:                             ;   in Loop: Header=BB4_2911 Depth=2
	s_and_not1_saveexec_b32 s25, s25
; %bb.3958:                             ;   in Loop: Header=BB4_2911 Depth=2
	v_bfe_i32 v10, v10, 0, 8
	s_delay_alu instid0(VALU_DEP_1) | instskip(SKIP_2) | instid1(VALU_DEP_2)
	v_cmp_lt_i16_e32 vcc_lo, -1, v10
	v_cndmask_b32_e32 v10, 0xff800000, v109, vcc_lo
	v_cmp_eq_u32_e32 vcc_lo, 0, v15
	v_cndmask_b32_e32 v14, 0x7f800001, v10, vcc_lo
; %bb.3959:                             ;   in Loop: Header=BB4_2911 Depth=2
	s_or_b32 exec_lo, exec_lo, s25
.LBB4_3960:                             ;   in Loop: Header=BB4_2911 Depth=2
	s_delay_alu instid0(SALU_CYCLE_1)
	s_or_b32 exec_lo, exec_lo, s24
.LBB4_3961:                             ;   in Loop: Header=BB4_2911 Depth=2
	s_delay_alu instid0(SALU_CYCLE_1) | instskip(SKIP_2) | instid1(VALU_DEP_1)
	s_or_b32 exec_lo, exec_lo, s7
	v_lshrrev_b32_e32 v10, 16, v12
	s_mov_b32 s7, exec_lo
	v_and_b32_e32 v15, 0xff, v10
	s_delay_alu instid0(VALU_DEP_1)
	v_cmpx_ne_u16_e32 0, v15
	s_cbranch_execz .LBB4_3971
; %bb.3962:                             ;   in Loop: Header=BB4_2911 Depth=2
	v_bfrev_b32_e32 v11, 1
	s_mov_b32 s24, exec_lo
	v_cmpx_ne_u16_e32 0x80, v15
	s_cbranch_execz .LBB4_3970
; %bb.3963:                             ;   in Loop: Header=BB4_2911 Depth=2
	v_and_b32_e32 v11, 0x7c0000, v12
	v_bfe_u32 v15, v12, 16, 2
	s_delay_alu instid0(VALU_DEP_2) | instskip(SKIP_1) | instid1(SALU_CYCLE_1)
	v_cmp_ne_u32_e32 vcc_lo, 0x7c0000, v11
                                        ; implicit-def: $vgpr11
	s_and_saveexec_b32 s25, vcc_lo
	s_xor_b32 s25, exec_lo, s25
	s_cbranch_execz .LBB4_3967
; %bb.3964:                             ;   in Loop: Header=BB4_2911 Depth=2
	v_bfe_u32 v11, v12, 18, 5
	s_mov_b32 s26, exec_lo
	s_delay_alu instid0(VALU_DEP_1)
	v_cmpx_eq_u32_e32 0, v11
; %bb.3965:                             ;   in Loop: Header=BB4_2911 Depth=2
	v_clz_i32_u32_e32 v11, v15
	s_delay_alu instid0(VALU_DEP_1) | instskip(NEXT) | instid1(VALU_DEP_1)
	v_min_u32_e32 v11, 32, v11
	v_subrev_nc_u32_e32 v15, 29, v11
	s_delay_alu instid0(VALU_DEP_1) | instskip(NEXT) | instid1(VALU_DEP_1)
	v_lshlrev_b64_e32 v[46:47], v15, v[10:11]
	v_dual_sub_nc_u32 v11, 30, v11 :: v_dual_bitop2_b32 v15, 3, v46 bitop3:0x40
; %bb.3966:                             ;   in Loop: Header=BB4_2911 Depth=2
	s_or_b32 exec_lo, exec_lo, s26
	v_lshlrev_b32_e32 v10, 24, v10
	s_delay_alu instid0(VALU_DEP_1) | instskip(NEXT) | instid1(VALU_DEP_1)
	v_and_b32_e32 v10, 0x80000000, v10
	v_lshl_add_u32 v10, v11, 23, v10
	s_delay_alu instid0(VALU_DEP_1) | instskip(NEXT) | instid1(VALU_DEP_1)
	v_lshl_or_b32 v10, v15, 21, v10
                                        ; implicit-def: $vgpr15
	v_add_nc_u32_e32 v11, 0x38000000, v10
                                        ; implicit-def: $vgpr10
.LBB4_3967:                             ;   in Loop: Header=BB4_2911 Depth=2
	s_and_not1_saveexec_b32 s25, s25
; %bb.3968:                             ;   in Loop: Header=BB4_2911 Depth=2
	v_bfe_i32 v10, v10, 0, 8
	s_delay_alu instid0(VALU_DEP_1) | instskip(SKIP_2) | instid1(VALU_DEP_2)
	v_cmp_lt_i16_e32 vcc_lo, -1, v10
	v_cndmask_b32_e32 v10, 0xff800000, v109, vcc_lo
	v_cmp_eq_u32_e32 vcc_lo, 0, v15
	v_cndmask_b32_e32 v11, 0x7f800001, v10, vcc_lo
; %bb.3969:                             ;   in Loop: Header=BB4_2911 Depth=2
	s_or_b32 exec_lo, exec_lo, s25
.LBB4_3970:                             ;   in Loop: Header=BB4_2911 Depth=2
	s_delay_alu instid0(SALU_CYCLE_1)
	s_or_b32 exec_lo, exec_lo, s24
.LBB4_3971:                             ;   in Loop: Header=BB4_2911 Depth=2
	s_delay_alu instid0(SALU_CYCLE_1) | instskip(NEXT) | instid1(VALU_DEP_1)
	s_or_b32 exec_lo, exec_lo, s7
	v_dual_mul_f32 v10, v14, v11 :: v_dual_mov_b32 v15, v55
                                        ; implicit-def: $vgpr46
	s_mov_b32 s7, exec_lo
	s_delay_alu instid0(VALU_DEP_1) | instskip(SKIP_2) | instid1(VALU_DEP_3)
	v_and_b32_e32 v14, 0x7f800000, v10
	v_and_b32_e32 v54, 0x7fffff, v10
	v_lshrrev_b32_e32 v11, 24, v10
	v_cmpx_ne_u64_e32 0x7f800000, v[14:15]
	s_xor_b32 s24, exec_lo, s7
	s_cbranch_execz .LBB4_3985
; %bb.3972:                             ;   in Loop: Header=BB4_2911 Depth=2
	v_and_b32_e32 v14, 0x7fffffff, v10
	v_mov_b32_e32 v15, v55
	v_and_b32_e32 v47, 0x80, v11
                                        ; implicit-def: $vgpr46
	s_mov_b32 s7, exec_lo
	s_delay_alu instid0(VALU_DEP_2)
	v_cmpx_gt_u64_e32 0x47600001, v[14:15]
	s_xor_b32 s25, exec_lo, s7
	s_cbranch_execz .LBB4_3982
; %bb.3973:                             ;   in Loop: Header=BB4_2911 Depth=2
	v_mov_b32_e32 v46, 0
	s_mov_b32 s26, exec_lo
	v_cmpx_ne_u32_e32 0, v10
	s_cbranch_execz .LBB4_3981
; %bb.3974:                             ;   in Loop: Header=BB4_2911 Depth=2
	v_bfe_u32 v46, v10, 23, 8
	v_or_b32_e32 v14, 0x800000, v54
	s_delay_alu instid0(VALU_DEP_2) | instskip(SKIP_1) | instid1(VALU_DEP_2)
	v_sub_nc_u32_e32 v10, 0x71, v46
	v_cmp_gt_u32_e32 vcc_lo, 0x72, v46
	v_cndmask_b32_e32 v10, 0, v10, vcc_lo
	v_cmp_eq_u32_e32 vcc_lo, 0, v46
	s_delay_alu instid0(VALU_DEP_2) | instskip(NEXT) | instid1(VALU_DEP_1)
	v_cndmask_b32_e64 v56, v10, 0x70, vcc_lo
	v_dual_cndmask_b32 v54, v14, v54, vcc_lo :: v_dual_add_nc_u32 v10, 21, v56
	v_add_nc_u32_e32 v15, 20, v56
	s_delay_alu instid0(VALU_DEP_2) | instskip(NEXT) | instid1(VALU_DEP_2)
	v_lshlrev_b64_e64 v[10:11], v10, -1
	v_lshlrev_b64_e64 v[14:15], v15, 1
	s_delay_alu instid0(VALU_DEP_2) | instskip(NEXT) | instid1(VALU_DEP_3)
	v_bfi_b32 v59, v11, 0, 0
	v_bfi_b32 v58, v10, 0, v54
	v_lshrrev_b64 v[10:11], v56, v[54:55]
	s_delay_alu instid0(VALU_DEP_2) | instskip(NEXT) | instid1(VALU_DEP_2)
	v_cmp_eq_u64_e64 s7, v[58:59], v[14:15]
	v_mov_b64_e32 v[14:15], v[10:11]
	s_and_saveexec_b32 s27, s7
; %bb.3975:                             ;   in Loop: Header=BB4_2911 Depth=2
	v_bfe_u32 v54, v10, 21, 1
	s_delay_alu instid0(VALU_DEP_1) | instskip(NEXT) | instid1(VALU_DEP_1)
	v_add_nc_u64_e32 v[14:15], v[10:11], v[54:55]
	v_add_nc_u64_e32 v[14:15], -1, v[14:15]
; %bb.3976:                             ;   in Loop: Header=BB4_2911 Depth=2
	s_or_b32 exec_lo, exec_lo, s27
	v_add_nc_u32_e32 v11, 0xffffff81, v46
	v_lshrrev_b32_e32 v15, 23, v10
	s_mov_b32 s7, exec_lo
	s_delay_alu instid0(VALU_DEP_2) | instskip(NEXT) | instid1(VALU_DEP_1)
	v_cndmask_b32_e64 v11, v11, 0xffffff82, vcc_lo
	v_add3_u32 v15, v56, v11, v15
	v_and_b32_e32 v11, 0x1fffff, v14
                                        ; implicit-def: $vgpr14
	s_delay_alu instid0(VALU_DEP_1) | instskip(NEXT) | instid1(VALU_DEP_1)
	v_dual_add_nc_u32 v46, 14, v15 :: v_dual_add_nc_u32 v54, v11, v10
                                        ; implicit-def: $vgpr10_vgpr11
	v_cmpx_ne_u32_e32 0, v46
	s_xor_b32 s7, exec_lo, s7
; %bb.3977:                             ;   in Loop: Header=BB4_2911 Depth=2
	s_delay_alu instid0(VALU_DEP_2) | instskip(SKIP_1) | instid1(VALU_DEP_1)
	v_cmp_lt_u64_e32 vcc_lo, 0xffffff, v[54:55]
	v_add_nc_u32_e32 v10, 15, v15
	v_cndmask_b32_e32 v14, v46, v10, vcc_lo
	v_cndmask_b32_e64 v10, 0, 1, vcc_lo
	s_delay_alu instid0(VALU_DEP_1)
	v_lshrrev_b64 v[10:11], v10, v[54:55]
; %bb.3978:                             ;   in Loop: Header=BB4_2911 Depth=2
	s_and_not1_saveexec_b32 s7, s7
; %bb.3979:                             ;   in Loop: Header=BB4_2911 Depth=2
	v_mov_b64_e32 v[10:11], v[54:55]
	v_bfe_u32 v14, v54, 23, 1
; %bb.3980:                             ;   in Loop: Header=BB4_2911 Depth=2
	s_or_b32 exec_lo, exec_lo, s7
	s_delay_alu instid0(VALU_DEP_2) | instskip(NEXT) | instid1(VALU_DEP_2)
	v_lshrrev_b64 v[10:11], 21, v[10:11]
	v_cmp_gt_i32_e32 vcc_lo, 32, v14
	v_min_i32_e32 v15, 31, v14
	v_cmp_eq_u32_e64 s7, 0, v14
	s_delay_alu instid0(VALU_DEP_4) | instskip(NEXT) | instid1(VALU_DEP_3)
	v_cndmask_b32_e32 v11, 0, v11, vcc_lo
	v_dual_cndmask_b32 v10, 3, v10 :: v_dual_lshlrev_b32 v15, 2, v15
	s_delay_alu instid0(VALU_DEP_1) | instskip(NEXT) | instid1(VALU_DEP_2)
	v_and_b32_e32 v15, 0xfc, v15
	v_cmp_eq_u64_e32 vcc_lo, 0, v[10:11]
	s_delay_alu instid0(VALU_DEP_2)
	v_and_or_b32 v10, v10, 3, v15
	s_and_b32 s7, s7, vcc_lo
	s_delay_alu instid0(VALU_DEP_1) | instid1(SALU_CYCLE_1)
	v_cndmask_b32_e64 v10, v10, 0, s7
	s_delay_alu instid0(VALU_DEP_1)
	v_or_b32_e32 v46, v10, v47
.LBB4_3981:                             ;   in Loop: Header=BB4_2911 Depth=2
	s_or_b32 exec_lo, exec_lo, s26
                                        ; implicit-def: $vgpr47
.LBB4_3982:                             ;   in Loop: Header=BB4_2911 Depth=2
	s_and_not1_saveexec_b32 s7, s25
; %bb.3983:                             ;   in Loop: Header=BB4_2911 Depth=2
	v_or_b32_e32 v46, 0x7b, v47
; %bb.3984:                             ;   in Loop: Header=BB4_2911 Depth=2
	s_or_b32 exec_lo, exec_lo, s7
                                        ; implicit-def: $vgpr10
                                        ; implicit-def: $vgpr11
.LBB4_3985:                             ;   in Loop: Header=BB4_2911 Depth=2
	s_and_not1_saveexec_b32 s7, s24
	s_cbranch_execz .LBB4_3991
; %bb.3986:                             ;   in Loop: Header=BB4_2911 Depth=2
	s_mov_b32 s24, exec_lo
                                        ; implicit-def: $vgpr46
	v_cmpx_ne_u64_e32 0, v[54:55]
	s_xor_b32 s24, exec_lo, s24
; %bb.3987:                             ;   in Loop: Header=BB4_2911 Depth=2
	v_or_b32_e32 v46, 0x7f, v11
                                        ; implicit-def: $vgpr10
; %bb.3988:                             ;   in Loop: Header=BB4_2911 Depth=2
	s_and_not1_saveexec_b32 s24, s24
; %bb.3989:                             ;   in Loop: Header=BB4_2911 Depth=2
	v_cmp_lt_i32_e32 vcc_lo, -1, v10
	v_cndmask_b32_e32 v46, 0xfc, v110, vcc_lo
; %bb.3990:                             ;   in Loop: Header=BB4_2911 Depth=2
	s_or_b32 exec_lo, exec_lo, s24
.LBB4_3991:                             ;   in Loop: Header=BB4_2911 Depth=2
	s_delay_alu instid0(SALU_CYCLE_1)
	s_or_b32 exec_lo, exec_lo, s7
	v_dual_mov_b32 v11, 0 :: v_dual_mov_b32 v14, 0
	s_mov_b32 s7, exec_lo
	v_cmpx_lt_u32_e32 0xffffff, v16
	s_cbranch_execz .LBB4_4001
; %bb.3992:                             ;   in Loop: Header=BB4_2911 Depth=2
	v_lshrrev_b32_e32 v10, 24, v16
	v_bfrev_b32_e32 v14, 1
	s_mov_b32 s24, exec_lo
	s_delay_alu instid0(VALU_DEP_2)
	v_cmpx_ne_u32_e32 0x80, v10
	s_cbranch_execz .LBB4_4000
; %bb.3993:                             ;   in Loop: Header=BB4_2911 Depth=2
	v_and_b32_e32 v14, 0x7c000000, v16
	v_bfe_u32 v15, v16, 24, 2
	s_delay_alu instid0(VALU_DEP_2) | instskip(SKIP_1) | instid1(SALU_CYCLE_1)
	v_cmp_ne_u32_e32 vcc_lo, 0x7c000000, v14
                                        ; implicit-def: $vgpr14
	s_and_saveexec_b32 s25, vcc_lo
	s_xor_b32 s25, exec_lo, s25
	s_cbranch_execz .LBB4_3997
; %bb.3994:                             ;   in Loop: Header=BB4_2911 Depth=2
	v_bfe_u32 v14, v16, 26, 5
	s_mov_b32 s26, exec_lo
	s_delay_alu instid0(VALU_DEP_1)
	v_cmpx_eq_u32_e32 0, v14
; %bb.3995:                             ;   in Loop: Header=BB4_2911 Depth=2
	v_clz_i32_u32_e32 v14, v15
	s_delay_alu instid0(VALU_DEP_1) | instskip(NEXT) | instid1(VALU_DEP_1)
	v_min_u32_e32 v14, 32, v14
	v_subrev_nc_u32_e32 v15, 29, v14
	s_delay_alu instid0(VALU_DEP_1) | instskip(NEXT) | instid1(VALU_DEP_1)
	v_lshlrev_b64_e32 v[56:57], v15, v[10:11]
	v_dual_sub_nc_u32 v14, 30, v14 :: v_dual_bitop2_b32 v15, 3, v56 bitop3:0x40
; %bb.3996:                             ;   in Loop: Header=BB4_2911 Depth=2
	s_or_b32 exec_lo, exec_lo, s26
	v_and_b32_e32 v10, 0x80000000, v16
	s_delay_alu instid0(VALU_DEP_1) | instskip(NEXT) | instid1(VALU_DEP_1)
	v_lshl_add_u32 v10, v14, 23, v10
	v_lshl_or_b32 v10, v15, 21, v10
                                        ; implicit-def: $vgpr15
	s_delay_alu instid0(VALU_DEP_1)
	v_add_nc_u32_e32 v14, 0x38000000, v10
.LBB4_3997:                             ;   in Loop: Header=BB4_2911 Depth=2
	s_and_not1_saveexec_b32 s25, s25
; %bb.3998:                             ;   in Loop: Header=BB4_2911 Depth=2
	v_cmp_lt_i32_e32 vcc_lo, -1, v16
	v_cndmask_b32_e32 v10, 0xff800000, v109, vcc_lo
	v_cmp_eq_u32_e32 vcc_lo, 0, v15
	s_delay_alu instid0(VALU_DEP_2)
	v_cndmask_b32_e32 v14, 0x7f800001, v10, vcc_lo
; %bb.3999:                             ;   in Loop: Header=BB4_2911 Depth=2
	s_or_b32 exec_lo, exec_lo, s25
.LBB4_4000:                             ;   in Loop: Header=BB4_2911 Depth=2
	s_delay_alu instid0(SALU_CYCLE_1)
	s_or_b32 exec_lo, exec_lo, s24
.LBB4_4001:                             ;   in Loop: Header=BB4_2911 Depth=2
	s_delay_alu instid0(SALU_CYCLE_1) | instskip(NEXT) | instid1(SALU_CYCLE_1)
	s_or_b32 exec_lo, exec_lo, s7
	s_mov_b32 s7, exec_lo
	v_cmpx_lt_u32_e32 0xffffff, v12
	s_cbranch_execz .LBB4_4011
; %bb.4002:                             ;   in Loop: Header=BB4_2911 Depth=2
	v_lshrrev_b32_e32 v10, 24, v12
	v_bfrev_b32_e32 v11, 1
	s_mov_b32 s24, exec_lo
	s_delay_alu instid0(VALU_DEP_2)
	v_cmpx_ne_u32_e32 0x80, v10
	s_cbranch_execz .LBB4_4010
; %bb.4003:                             ;   in Loop: Header=BB4_2911 Depth=2
	v_and_b32_e32 v11, 0x7c000000, v12
	v_bfe_u32 v15, v12, 24, 2
	s_delay_alu instid0(VALU_DEP_2) | instskip(SKIP_1) | instid1(SALU_CYCLE_1)
	v_cmp_ne_u32_e32 vcc_lo, 0x7c000000, v11
                                        ; implicit-def: $vgpr11
	s_and_saveexec_b32 s25, vcc_lo
	s_xor_b32 s25, exec_lo, s25
	s_cbranch_execz .LBB4_4007
; %bb.4004:                             ;   in Loop: Header=BB4_2911 Depth=2
	v_bfe_u32 v11, v12, 26, 5
	s_mov_b32 s26, exec_lo
	s_delay_alu instid0(VALU_DEP_1)
	v_cmpx_eq_u32_e32 0, v11
; %bb.4005:                             ;   in Loop: Header=BB4_2911 Depth=2
	v_clz_i32_u32_e32 v11, v15
	s_delay_alu instid0(VALU_DEP_1) | instskip(NEXT) | instid1(VALU_DEP_1)
	v_min_u32_e32 v15, 32, v11
	v_subrev_nc_u32_e32 v11, 29, v15
	s_delay_alu instid0(VALU_DEP_1) | instskip(NEXT) | instid1(VALU_DEP_1)
	v_lshlrev_b64_e32 v[10:11], v11, v[10:11]
	v_dual_sub_nc_u32 v11, 30, v15 :: v_dual_bitop2_b32 v15, 3, v10 bitop3:0x40
; %bb.4006:                             ;   in Loop: Header=BB4_2911 Depth=2
	s_or_b32 exec_lo, exec_lo, s26
	v_and_b32_e32 v10, 0x80000000, v12
	s_delay_alu instid0(VALU_DEP_1) | instskip(NEXT) | instid1(VALU_DEP_1)
	v_lshl_add_u32 v10, v11, 23, v10
	v_lshl_or_b32 v10, v15, 21, v10
                                        ; implicit-def: $vgpr15
	s_delay_alu instid0(VALU_DEP_1)
	v_add_nc_u32_e32 v11, 0x38000000, v10
.LBB4_4007:                             ;   in Loop: Header=BB4_2911 Depth=2
	s_and_not1_saveexec_b32 s25, s25
; %bb.4008:                             ;   in Loop: Header=BB4_2911 Depth=2
	v_cmp_lt_i32_e32 vcc_lo, -1, v12
	v_cndmask_b32_e32 v10, 0xff800000, v109, vcc_lo
	v_cmp_eq_u32_e32 vcc_lo, 0, v15
	s_delay_alu instid0(VALU_DEP_2)
	v_cndmask_b32_e32 v11, 0x7f800001, v10, vcc_lo
; %bb.4009:                             ;   in Loop: Header=BB4_2911 Depth=2
	s_or_b32 exec_lo, exec_lo, s25
.LBB4_4010:                             ;   in Loop: Header=BB4_2911 Depth=2
	s_delay_alu instid0(SALU_CYCLE_1)
	s_or_b32 exec_lo, exec_lo, s24
.LBB4_4011:                             ;   in Loop: Header=BB4_2911 Depth=2
	s_delay_alu instid0(SALU_CYCLE_1) | instskip(NEXT) | instid1(VALU_DEP_1)
	s_or_b32 exec_lo, exec_lo, s7
	v_dual_mul_f32 v10, v14, v11 :: v_dual_mov_b32 v15, v55
                                        ; implicit-def: $vgpr47
	s_mov_b32 s7, exec_lo
	s_delay_alu instid0(VALU_DEP_1) | instskip(SKIP_2) | instid1(VALU_DEP_3)
	v_and_b32_e32 v14, 0x7f800000, v10
	v_and_b32_e32 v54, 0x7fffff, v10
	v_lshrrev_b32_e32 v11, 24, v10
	v_cmpx_ne_u64_e32 0x7f800000, v[14:15]
	s_xor_b32 s24, exec_lo, s7
	s_cbranch_execz .LBB4_4025
; %bb.4012:                             ;   in Loop: Header=BB4_2911 Depth=2
	v_and_b32_e32 v14, 0x7fffffff, v10
	v_mov_b32_e32 v15, v55
	v_and_b32_e32 v56, 0x80, v11
                                        ; implicit-def: $vgpr47
	s_mov_b32 s7, exec_lo
	s_delay_alu instid0(VALU_DEP_2)
	v_cmpx_gt_u64_e32 0x47600001, v[14:15]
	s_xor_b32 s25, exec_lo, s7
	s_cbranch_execz .LBB4_4022
; %bb.4013:                             ;   in Loop: Header=BB4_2911 Depth=2
	v_mov_b32_e32 v47, 0
	s_mov_b32 s26, exec_lo
	v_cmpx_ne_u32_e32 0, v10
	s_cbranch_execz .LBB4_4021
; %bb.4014:                             ;   in Loop: Header=BB4_2911 Depth=2
	v_bfe_u32 v47, v10, 23, 8
	v_or_b32_e32 v14, 0x800000, v54
	s_delay_alu instid0(VALU_DEP_2) | instskip(SKIP_1) | instid1(VALU_DEP_2)
	v_sub_nc_u32_e32 v10, 0x71, v47
	v_cmp_gt_u32_e32 vcc_lo, 0x72, v47
	v_cndmask_b32_e32 v10, 0, v10, vcc_lo
	v_cmp_eq_u32_e32 vcc_lo, 0, v47
	s_delay_alu instid0(VALU_DEP_2) | instskip(NEXT) | instid1(VALU_DEP_1)
	v_cndmask_b32_e64 v57, v10, 0x70, vcc_lo
	v_dual_cndmask_b32 v54, v14, v54, vcc_lo :: v_dual_add_nc_u32 v10, 21, v57
	v_add_nc_u32_e32 v15, 20, v57
	s_delay_alu instid0(VALU_DEP_2) | instskip(NEXT) | instid1(VALU_DEP_2)
	v_lshlrev_b64_e64 v[10:11], v10, -1
	v_lshlrev_b64_e64 v[14:15], v15, 1
	s_delay_alu instid0(VALU_DEP_2) | instskip(NEXT) | instid1(VALU_DEP_3)
	v_bfi_b32 v59, v11, 0, 0
	v_bfi_b32 v58, v10, 0, v54
	v_lshrrev_b64 v[10:11], v57, v[54:55]
	s_delay_alu instid0(VALU_DEP_2) | instskip(NEXT) | instid1(VALU_DEP_2)
	v_cmp_eq_u64_e64 s7, v[58:59], v[14:15]
	v_mov_b64_e32 v[14:15], v[10:11]
	s_and_saveexec_b32 s27, s7
; %bb.4015:                             ;   in Loop: Header=BB4_2911 Depth=2
	v_bfe_u32 v54, v10, 21, 1
	s_delay_alu instid0(VALU_DEP_1) | instskip(NEXT) | instid1(VALU_DEP_1)
	v_add_nc_u64_e32 v[14:15], v[10:11], v[54:55]
	v_add_nc_u64_e32 v[14:15], -1, v[14:15]
; %bb.4016:                             ;   in Loop: Header=BB4_2911 Depth=2
	s_or_b32 exec_lo, exec_lo, s27
	v_add_nc_u32_e32 v11, 0xffffff81, v47
	v_lshrrev_b32_e32 v15, 23, v10
	s_mov_b32 s7, exec_lo
	s_delay_alu instid0(VALU_DEP_2) | instskip(NEXT) | instid1(VALU_DEP_1)
	v_cndmask_b32_e64 v11, v11, 0xffffff82, vcc_lo
	v_add3_u32 v15, v57, v11, v15
	v_and_b32_e32 v11, 0x1fffff, v14
                                        ; implicit-def: $vgpr14
	s_delay_alu instid0(VALU_DEP_1) | instskip(NEXT) | instid1(VALU_DEP_1)
	v_dual_add_nc_u32 v47, 14, v15 :: v_dual_add_nc_u32 v54, v11, v10
                                        ; implicit-def: $vgpr10_vgpr11
	v_cmpx_ne_u32_e32 0, v47
	s_xor_b32 s7, exec_lo, s7
; %bb.4017:                             ;   in Loop: Header=BB4_2911 Depth=2
	s_delay_alu instid0(VALU_DEP_2) | instskip(SKIP_1) | instid1(VALU_DEP_1)
	v_cmp_lt_u64_e32 vcc_lo, 0xffffff, v[54:55]
	v_add_nc_u32_e32 v10, 15, v15
	v_cndmask_b32_e32 v14, v47, v10, vcc_lo
	v_cndmask_b32_e64 v10, 0, 1, vcc_lo
	s_delay_alu instid0(VALU_DEP_1)
	v_lshrrev_b64 v[10:11], v10, v[54:55]
; %bb.4018:                             ;   in Loop: Header=BB4_2911 Depth=2
	s_and_not1_saveexec_b32 s7, s7
; %bb.4019:                             ;   in Loop: Header=BB4_2911 Depth=2
	v_mov_b64_e32 v[10:11], v[54:55]
	v_bfe_u32 v14, v54, 23, 1
; %bb.4020:                             ;   in Loop: Header=BB4_2911 Depth=2
	s_or_b32 exec_lo, exec_lo, s7
	s_delay_alu instid0(VALU_DEP_2) | instskip(NEXT) | instid1(VALU_DEP_2)
	v_lshrrev_b64 v[10:11], 21, v[10:11]
	v_cmp_gt_i32_e32 vcc_lo, 32, v14
	v_min_i32_e32 v15, 31, v14
	v_cmp_eq_u32_e64 s7, 0, v14
	s_delay_alu instid0(VALU_DEP_4) | instskip(NEXT) | instid1(VALU_DEP_3)
	v_cndmask_b32_e32 v11, 0, v11, vcc_lo
	v_dual_cndmask_b32 v10, 3, v10 :: v_dual_lshlrev_b32 v15, 2, v15
	s_delay_alu instid0(VALU_DEP_1) | instskip(NEXT) | instid1(VALU_DEP_2)
	v_and_b32_e32 v15, 0xfc, v15
	v_cmp_eq_u64_e32 vcc_lo, 0, v[10:11]
	s_delay_alu instid0(VALU_DEP_2)
	v_and_or_b32 v10, v10, 3, v15
	s_and_b32 s7, s7, vcc_lo
	s_delay_alu instid0(VALU_DEP_1) | instid1(SALU_CYCLE_1)
	v_cndmask_b32_e64 v10, v10, 0, s7
	s_delay_alu instid0(VALU_DEP_1)
	v_or_b32_e32 v47, v10, v56
.LBB4_4021:                             ;   in Loop: Header=BB4_2911 Depth=2
	s_or_b32 exec_lo, exec_lo, s26
                                        ; implicit-def: $vgpr56
.LBB4_4022:                             ;   in Loop: Header=BB4_2911 Depth=2
	s_and_not1_saveexec_b32 s7, s25
; %bb.4023:                             ;   in Loop: Header=BB4_2911 Depth=2
	v_or_b32_e32 v47, 0x7b, v56
; %bb.4024:                             ;   in Loop: Header=BB4_2911 Depth=2
	s_or_b32 exec_lo, exec_lo, s7
                                        ; implicit-def: $vgpr10
                                        ; implicit-def: $vgpr11
.LBB4_4025:                             ;   in Loop: Header=BB4_2911 Depth=2
	s_and_not1_saveexec_b32 s7, s24
	s_cbranch_execz .LBB4_4031
; %bb.4026:                             ;   in Loop: Header=BB4_2911 Depth=2
	s_mov_b32 s24, exec_lo
                                        ; implicit-def: $vgpr47
	v_cmpx_ne_u64_e32 0, v[54:55]
	s_xor_b32 s24, exec_lo, s24
; %bb.4027:                             ;   in Loop: Header=BB4_2911 Depth=2
	v_or_b32_e32 v47, 0x7f, v11
                                        ; implicit-def: $vgpr10
; %bb.4028:                             ;   in Loop: Header=BB4_2911 Depth=2
	s_and_not1_saveexec_b32 s24, s24
; %bb.4029:                             ;   in Loop: Header=BB4_2911 Depth=2
	v_cmp_lt_i32_e32 vcc_lo, -1, v10
	v_cndmask_b32_e32 v47, 0xfc, v110, vcc_lo
; %bb.4030:                             ;   in Loop: Header=BB4_2911 Depth=2
	s_or_b32 exec_lo, exec_lo, s24
.LBB4_4031:                             ;   in Loop: Header=BB4_2911 Depth=2
	s_delay_alu instid0(SALU_CYCLE_1) | instskip(SKIP_4) | instid1(VALU_DEP_3)
	s_or_b32 exec_lo, exec_lo, s7
	v_and_b32_e32 v14, 0xff, v17
	v_dual_mov_b32 v54, v17 :: v_dual_mov_b32 v11, 0
	v_mov_b32_e32 v10, 0
	s_mov_b32 s7, exec_lo
	v_cmpx_ne_u16_e32 0, v14
	s_cbranch_execz .LBB4_4041
; %bb.4032:                             ;   in Loop: Header=BB4_2911 Depth=2
	v_bfrev_b32_e32 v10, 1
	s_mov_b32 s24, exec_lo
	v_cmpx_ne_u16_e32 0x80, v14
	s_cbranch_execz .LBB4_4040
; %bb.4033:                             ;   in Loop: Header=BB4_2911 Depth=2
	v_and_b32_e32 v10, 0x7c, v17
	v_and_b32_e32 v14, 3, v17
	s_delay_alu instid0(VALU_DEP_2) | instskip(SKIP_1) | instid1(SALU_CYCLE_1)
	v_cmp_ne_u32_e32 vcc_lo, 0x7c, v10
                                        ; implicit-def: $vgpr10
	s_and_saveexec_b32 s25, vcc_lo
	s_xor_b32 s25, exec_lo, s25
	s_cbranch_execz .LBB4_4037
; %bb.4034:                             ;   in Loop: Header=BB4_2911 Depth=2
	v_bfe_u32 v10, v17, 2, 5
	s_mov_b32 s26, exec_lo
	s_delay_alu instid0(VALU_DEP_1)
	v_cmpx_eq_u32_e32 0, v10
; %bb.4035:                             ;   in Loop: Header=BB4_2911 Depth=2
	v_clz_i32_u32_e32 v10, v14
	s_delay_alu instid0(VALU_DEP_1) | instskip(NEXT) | instid1(VALU_DEP_1)
	v_min_u32_e32 v10, 32, v10
	v_subrev_nc_u32_e32 v14, 29, v10
	v_sub_nc_u32_e32 v10, 30, v10
	s_delay_alu instid0(VALU_DEP_2) | instskip(NEXT) | instid1(VALU_DEP_1)
	v_lshlrev_b64_e32 v[14:15], v14, v[54:55]
	v_and_b32_e32 v14, 3, v14
; %bb.4036:                             ;   in Loop: Header=BB4_2911 Depth=2
	s_or_b32 exec_lo, exec_lo, s26
	v_lshlrev_b32_e32 v15, 24, v17
	s_delay_alu instid0(VALU_DEP_1) | instskip(NEXT) | instid1(VALU_DEP_1)
	v_and_b32_e32 v15, 0x80000000, v15
	v_lshl_add_u32 v10, v10, 23, v15
	s_delay_alu instid0(VALU_DEP_1) | instskip(NEXT) | instid1(VALU_DEP_1)
	v_lshl_or_b32 v10, v14, 21, v10
                                        ; implicit-def: $vgpr14
	v_add_nc_u32_e32 v10, 0x38000000, v10
.LBB4_4037:                             ;   in Loop: Header=BB4_2911 Depth=2
	s_and_not1_saveexec_b32 s25, s25
; %bb.4038:                             ;   in Loop: Header=BB4_2911 Depth=2
	v_bfe_i32 v10, v17, 0, 8
	s_delay_alu instid0(VALU_DEP_1) | instskip(SKIP_2) | instid1(VALU_DEP_2)
	v_cmp_lt_i16_e32 vcc_lo, -1, v10
	v_cndmask_b32_e32 v10, 0xff800000, v109, vcc_lo
	v_cmp_eq_u32_e32 vcc_lo, 0, v14
	v_cndmask_b32_e32 v10, 0x7f800001, v10, vcc_lo
; %bb.4039:                             ;   in Loop: Header=BB4_2911 Depth=2
	s_or_b32 exec_lo, exec_lo, s25
.LBB4_4040:                             ;   in Loop: Header=BB4_2911 Depth=2
	s_delay_alu instid0(SALU_CYCLE_1)
	s_or_b32 exec_lo, exec_lo, s24
.LBB4_4041:                             ;   in Loop: Header=BB4_2911 Depth=2
	s_delay_alu instid0(SALU_CYCLE_1) | instskip(SKIP_2) | instid1(VALU_DEP_1)
	s_or_b32 exec_lo, exec_lo, s7
	v_and_b32_e32 v14, 0xff, v13
	s_mov_b32 s7, exec_lo
	v_cmpx_ne_u16_e32 0, v14
	s_cbranch_execz .LBB4_4051
; %bb.4042:                             ;   in Loop: Header=BB4_2911 Depth=2
	v_bfrev_b32_e32 v11, 1
	s_mov_b32 s24, exec_lo
	v_cmpx_ne_u16_e32 0x80, v14
	s_cbranch_execz .LBB4_4050
; %bb.4043:                             ;   in Loop: Header=BB4_2911 Depth=2
	v_and_b32_e32 v11, 0x7c, v13
	v_and_b32_e32 v14, 3, v13
	s_delay_alu instid0(VALU_DEP_2) | instskip(SKIP_1) | instid1(SALU_CYCLE_1)
	v_cmp_ne_u32_e32 vcc_lo, 0x7c, v11
                                        ; implicit-def: $vgpr11
	s_and_saveexec_b32 s25, vcc_lo
	s_xor_b32 s25, exec_lo, s25
	s_cbranch_execz .LBB4_4047
; %bb.4044:                             ;   in Loop: Header=BB4_2911 Depth=2
	v_bfe_u32 v11, v13, 2, 5
	s_mov_b32 s26, exec_lo
	s_delay_alu instid0(VALU_DEP_1)
	v_cmpx_eq_u32_e32 0, v11
; %bb.4045:                             ;   in Loop: Header=BB4_2911 Depth=2
	v_clz_i32_u32_e32 v11, v14
	v_dual_mov_b32 v14, v13 :: v_dual_mov_b32 v15, v55
	s_delay_alu instid0(VALU_DEP_2) | instskip(NEXT) | instid1(VALU_DEP_1)
	v_min_u32_e32 v11, 32, v11
	v_subrev_nc_u32_e32 v56, 29, v11
	s_delay_alu instid0(VALU_DEP_1) | instskip(NEXT) | instid1(VALU_DEP_1)
	v_lshlrev_b64_e32 v[14:15], v56, v[14:15]
	v_dual_sub_nc_u32 v11, 30, v11 :: v_dual_bitop2_b32 v14, 3, v14 bitop3:0x40
; %bb.4046:                             ;   in Loop: Header=BB4_2911 Depth=2
	s_or_b32 exec_lo, exec_lo, s26
	v_lshlrev_b32_e32 v15, 24, v13
	s_delay_alu instid0(VALU_DEP_1) | instskip(NEXT) | instid1(VALU_DEP_1)
	v_and_b32_e32 v15, 0x80000000, v15
	v_lshl_add_u32 v11, v11, 23, v15
	s_delay_alu instid0(VALU_DEP_1) | instskip(NEXT) | instid1(VALU_DEP_1)
	v_lshl_or_b32 v11, v14, 21, v11
                                        ; implicit-def: $vgpr14
	v_add_nc_u32_e32 v11, 0x38000000, v11
.LBB4_4047:                             ;   in Loop: Header=BB4_2911 Depth=2
	s_and_not1_saveexec_b32 s25, s25
; %bb.4048:                             ;   in Loop: Header=BB4_2911 Depth=2
	v_bfe_i32 v11, v13, 0, 8
	s_delay_alu instid0(VALU_DEP_1) | instskip(SKIP_2) | instid1(VALU_DEP_2)
	v_cmp_lt_i16_e32 vcc_lo, -1, v11
	v_cndmask_b32_e32 v11, 0xff800000, v109, vcc_lo
	v_cmp_eq_u32_e32 vcc_lo, 0, v14
	v_cndmask_b32_e32 v11, 0x7f800001, v11, vcc_lo
; %bb.4049:                             ;   in Loop: Header=BB4_2911 Depth=2
	s_or_b32 exec_lo, exec_lo, s25
.LBB4_4050:                             ;   in Loop: Header=BB4_2911 Depth=2
	s_delay_alu instid0(SALU_CYCLE_1)
	s_or_b32 exec_lo, exec_lo, s24
.LBB4_4051:                             ;   in Loop: Header=BB4_2911 Depth=2
	s_delay_alu instid0(SALU_CYCLE_1) | instskip(NEXT) | instid1(VALU_DEP_1)
	s_or_b32 exec_lo, exec_lo, s7
	v_dual_mul_f32 v14, v10, v11 :: v_dual_mov_b32 v57, v55
	s_delay_alu instid0(VALU_DEP_1) | instskip(SKIP_2) | instid1(VALU_DEP_2)
	v_dual_mov_b32 v11, v55 :: v_dual_lshrrev_b32 v15, 24, v14
	v_and_b32_e32 v56, 0x7f800000, v14
	v_and_b32_e32 v10, 0x7fffff, v14
	v_cmp_ne_u64_e32 vcc_lo, 0x7f800000, v[56:57]
                                        ; implicit-def: $vgpr56
	s_and_saveexec_b32 s7, vcc_lo
	s_delay_alu instid0(SALU_CYCLE_1)
	s_xor_b32 s24, exec_lo, s7
	s_cbranch_execz .LBB4_4065
; %bb.4052:                             ;   in Loop: Header=BB4_2911 Depth=2
	v_and_b32_e32 v56, 0x7fffffff, v14
	v_mov_b32_e32 v57, v55
	s_delay_alu instid0(VALU_DEP_1) | instskip(SKIP_2) | instid1(SALU_CYCLE_1)
	v_cmp_gt_u64_e32 vcc_lo, 0x47600001, v[56:57]
	v_and_b32_e32 v57, 0x80, v15
                                        ; implicit-def: $vgpr56
	s_and_saveexec_b32 s7, vcc_lo
	s_xor_b32 s25, exec_lo, s7
	s_cbranch_execz .LBB4_4062
; %bb.4053:                             ;   in Loop: Header=BB4_2911 Depth=2
	v_mov_b32_e32 v56, 0
	s_mov_b32 s26, exec_lo
	v_cmpx_ne_u32_e32 0, v14
	s_cbranch_execz .LBB4_4061
; %bb.4054:                             ;   in Loop: Header=BB4_2911 Depth=2
	v_bfe_u32 v56, v14, 23, 8
	v_or_b32_e32 v59, 0x800000, v10
	s_delay_alu instid0(VALU_DEP_2) | instskip(SKIP_1) | instid1(VALU_DEP_2)
	v_sub_nc_u32_e32 v14, 0x71, v56
	v_cmp_gt_u32_e32 vcc_lo, 0x72, v56
	v_cndmask_b32_e32 v14, 0, v14, vcc_lo
	v_cmp_eq_u32_e32 vcc_lo, 0, v56
	s_delay_alu instid0(VALU_DEP_2) | instskip(SKIP_1) | instid1(VALU_DEP_2)
	v_cndmask_b32_e64 v58, v14, 0x70, vcc_lo
	v_cndmask_b32_e32 v10, v59, v10, vcc_lo
	v_dual_add_nc_u32 v14, 21, v58 :: v_dual_add_nc_u32 v60, 20, v58
	s_delay_alu instid0(VALU_DEP_1) | instskip(NEXT) | instid1(VALU_DEP_2)
	v_lshlrev_b64_e64 v[14:15], v14, -1
	v_lshlrev_b64_e64 v[60:61], v60, 1
	s_delay_alu instid0(VALU_DEP_2) | instskip(SKIP_1) | instid1(VALU_DEP_4)
	v_bfi_b32 v14, v14, 0, v10
	v_lshrrev_b64 v[10:11], v58, v[10:11]
	v_bfi_b32 v15, v15, 0, 0
	s_delay_alu instid0(VALU_DEP_1) | instskip(NEXT) | instid1(VALU_DEP_3)
	v_cmp_eq_u64_e64 s7, v[14:15], v[60:61]
	v_mov_b64_e32 v[14:15], v[10:11]
	s_and_saveexec_b32 s27, s7
; %bb.4055:                             ;   in Loop: Header=BB4_2911 Depth=2
	v_bfe_u32 v14, v10, 21, 1
	v_mov_b32_e32 v15, v55
	s_delay_alu instid0(VALU_DEP_1) | instskip(NEXT) | instid1(VALU_DEP_1)
	v_add_nc_u64_e32 v[14:15], v[10:11], v[14:15]
	v_add_nc_u64_e32 v[14:15], -1, v[14:15]
; %bb.4056:                             ;   in Loop: Header=BB4_2911 Depth=2
	s_or_b32 exec_lo, exec_lo, s27
	v_add_nc_u32_e32 v11, 0xffffff81, v56
	v_lshrrev_b32_e32 v15, 23, v10
	s_mov_b32 s7, exec_lo
	s_delay_alu instid0(VALU_DEP_2) | instskip(NEXT) | instid1(VALU_DEP_1)
	v_cndmask_b32_e64 v11, v11, 0xffffff82, vcc_lo
	v_add3_u32 v15, v58, v11, v15
	v_and_b32_e32 v11, 0x1fffff, v14
                                        ; implicit-def: $vgpr14
	s_delay_alu instid0(VALU_DEP_1) | instskip(SKIP_1) | instid1(VALU_DEP_2)
	v_dual_add_nc_u32 v56, 14, v15 :: v_dual_add_nc_u32 v10, v11, v10
	v_mov_b32_e32 v11, v55
	v_cmpx_ne_u32_e32 0, v56
	s_xor_b32 s7, exec_lo, s7
; %bb.4057:                             ;   in Loop: Header=BB4_2911 Depth=2
	s_delay_alu instid0(VALU_DEP_2) | instskip(SKIP_2) | instid1(VALU_DEP_2)
	v_cmp_lt_u64_e32 vcc_lo, 0xffffff, v[10:11]
	v_add_nc_u32_e32 v14, 15, v15
	v_cndmask_b32_e64 v15, 0, 1, vcc_lo
	v_cndmask_b32_e32 v14, v56, v14, vcc_lo
	s_delay_alu instid0(VALU_DEP_2)
	v_lshrrev_b64 v[10:11], v15, v[10:11]
; %bb.4058:                             ;   in Loop: Header=BB4_2911 Depth=2
	s_and_not1_saveexec_b32 s7, s7
; %bb.4059:                             ;   in Loop: Header=BB4_2911 Depth=2
	s_delay_alu instid0(VALU_DEP_1)
	v_bfe_u32 v14, v10, 23, 1
; %bb.4060:                             ;   in Loop: Header=BB4_2911 Depth=2
	s_or_b32 exec_lo, exec_lo, s7
	s_delay_alu instid0(VALU_DEP_2) | instskip(NEXT) | instid1(VALU_DEP_2)
	v_lshrrev_b64 v[10:11], 21, v[10:11]
	v_cmp_gt_i32_e32 vcc_lo, 32, v14
	v_min_i32_e32 v15, 31, v14
	v_cmp_eq_u32_e64 s7, 0, v14
	s_delay_alu instid0(VALU_DEP_4) | instskip(NEXT) | instid1(VALU_DEP_3)
	v_cndmask_b32_e32 v11, 0, v11, vcc_lo
	v_dual_cndmask_b32 v10, 3, v10 :: v_dual_lshlrev_b32 v15, 2, v15
	s_delay_alu instid0(VALU_DEP_1) | instskip(NEXT) | instid1(VALU_DEP_2)
	v_and_b32_e32 v15, 0xfc, v15
	v_cmp_eq_u64_e32 vcc_lo, 0, v[10:11]
	s_delay_alu instid0(VALU_DEP_2)
	v_and_or_b32 v10, v10, 3, v15
	s_and_b32 s7, s7, vcc_lo
	s_delay_alu instid0(VALU_DEP_1) | instid1(SALU_CYCLE_1)
	v_cndmask_b32_e64 v10, v10, 0, s7
	s_delay_alu instid0(VALU_DEP_1)
	v_or_b32_e32 v56, v10, v57
.LBB4_4061:                             ;   in Loop: Header=BB4_2911 Depth=2
	s_or_b32 exec_lo, exec_lo, s26
                                        ; implicit-def: $vgpr57
.LBB4_4062:                             ;   in Loop: Header=BB4_2911 Depth=2
	s_and_not1_saveexec_b32 s7, s25
; %bb.4063:                             ;   in Loop: Header=BB4_2911 Depth=2
	v_or_b32_e32 v56, 0x7b, v57
; %bb.4064:                             ;   in Loop: Header=BB4_2911 Depth=2
	s_or_b32 exec_lo, exec_lo, s7
                                        ; implicit-def: $vgpr14
                                        ; implicit-def: $vgpr10_vgpr11
                                        ; implicit-def: $vgpr15
.LBB4_4065:                             ;   in Loop: Header=BB4_2911 Depth=2
	s_and_not1_saveexec_b32 s7, s24
	s_cbranch_execz .LBB4_4071
; %bb.4066:                             ;   in Loop: Header=BB4_2911 Depth=2
	s_mov_b32 s24, exec_lo
                                        ; implicit-def: $vgpr56
	v_cmpx_ne_u64_e32 0, v[10:11]
	s_xor_b32 s24, exec_lo, s24
; %bb.4067:                             ;   in Loop: Header=BB4_2911 Depth=2
	v_or_b32_e32 v56, 0x7f, v15
                                        ; implicit-def: $vgpr14
; %bb.4068:                             ;   in Loop: Header=BB4_2911 Depth=2
	s_and_not1_saveexec_b32 s24, s24
; %bb.4069:                             ;   in Loop: Header=BB4_2911 Depth=2
	v_cmp_lt_i32_e32 vcc_lo, -1, v14
	v_cndmask_b32_e32 v56, 0xfc, v110, vcc_lo
; %bb.4070:                             ;   in Loop: Header=BB4_2911 Depth=2
	s_or_b32 exec_lo, exec_lo, s24
.LBB4_4071:                             ;   in Loop: Header=BB4_2911 Depth=2
	s_delay_alu instid0(SALU_CYCLE_1) | instskip(SKIP_3) | instid1(VALU_DEP_2)
	s_or_b32 exec_lo, exec_lo, s7
	v_lshrrev_b16 v10, 8, v54
	v_dual_mov_b32 v14, 0 :: v_dual_mov_b32 v11, 0
	s_mov_b32 s7, exec_lo
	v_cmpx_ne_u16_e32 0, v10
	s_cbranch_execz .LBB4_4081
; %bb.4072:                             ;   in Loop: Header=BB4_2911 Depth=2
	v_bfrev_b32_e32 v11, 1
	s_mov_b32 s24, exec_lo
	v_cmpx_ne_u16_e32 0x80, v10
	s_cbranch_execz .LBB4_4080
; %bb.4073:                             ;   in Loop: Header=BB4_2911 Depth=2
	v_and_b32_e32 v57, 0xffff, v10
	s_delay_alu instid0(VALU_DEP_1) | instskip(SKIP_1) | instid1(VALU_DEP_2)
	v_and_b32_e32 v11, 0x7c, v57
	v_and_b32_e32 v15, 3, v57
	v_cmp_ne_u32_e32 vcc_lo, 0x7c, v11
                                        ; implicit-def: $vgpr11
	s_and_saveexec_b32 s25, vcc_lo
	s_delay_alu instid0(SALU_CYCLE_1)
	s_xor_b32 s25, exec_lo, s25
	s_cbranch_execz .LBB4_4077
; %bb.4074:                             ;   in Loop: Header=BB4_2911 Depth=2
	v_bfe_u32 v11, v57, 2, 5
	s_mov_b32 s26, exec_lo
	s_delay_alu instid0(VALU_DEP_1)
	v_cmpx_eq_u32_e32 0, v11
; %bb.4075:                             ;   in Loop: Header=BB4_2911 Depth=2
	v_clz_i32_u32_e32 v11, v15
	s_delay_alu instid0(VALU_DEP_1) | instskip(SKIP_1) | instid1(VALU_DEP_2)
	v_min_u32_e32 v15, 32, v11
	v_mov_b32_e32 v11, v55
	v_subrev_nc_u32_e32 v57, 29, v15
	s_delay_alu instid0(VALU_DEP_1) | instskip(NEXT) | instid1(VALU_DEP_1)
	v_lshlrev_b64_e32 v[10:11], v57, v[10:11]
	v_dual_sub_nc_u32 v11, 30, v15 :: v_dual_bitop2_b32 v15, 3, v10 bitop3:0x40
; %bb.4076:                             ;   in Loop: Header=BB4_2911 Depth=2
	s_or_b32 exec_lo, exec_lo, s26
	v_lshlrev_b32_e32 v10, 16, v54
	s_delay_alu instid0(VALU_DEP_1) | instskip(NEXT) | instid1(VALU_DEP_1)
	v_and_b32_e32 v10, 0x80000000, v10
	v_lshl_add_u32 v10, v11, 23, v10
	s_delay_alu instid0(VALU_DEP_1) | instskip(NEXT) | instid1(VALU_DEP_1)
	v_lshl_or_b32 v10, v15, 21, v10
                                        ; implicit-def: $vgpr15
	v_add_nc_u32_e32 v11, 0x38000000, v10
.LBB4_4077:                             ;   in Loop: Header=BB4_2911 Depth=2
	s_and_not1_saveexec_b32 s25, s25
; %bb.4078:                             ;   in Loop: Header=BB4_2911 Depth=2
	v_cmp_lt_i16_e32 vcc_lo, -1, v54
	v_cndmask_b32_e32 v10, 0xff800000, v109, vcc_lo
	v_cmp_eq_u32_e32 vcc_lo, 0, v15
	s_delay_alu instid0(VALU_DEP_2)
	v_cndmask_b32_e32 v11, 0x7f800001, v10, vcc_lo
; %bb.4079:                             ;   in Loop: Header=BB4_2911 Depth=2
	s_or_b32 exec_lo, exec_lo, s25
.LBB4_4080:                             ;   in Loop: Header=BB4_2911 Depth=2
	s_delay_alu instid0(SALU_CYCLE_1)
	s_or_b32 exec_lo, exec_lo, s24
.LBB4_4081:                             ;   in Loop: Header=BB4_2911 Depth=2
	s_delay_alu instid0(SALU_CYCLE_1) | instskip(SKIP_2) | instid1(VALU_DEP_1)
	s_or_b32 exec_lo, exec_lo, s7
	v_lshrrev_b16 v54, 8, v13
	s_mov_b32 s7, exec_lo
	v_cmpx_ne_u16_e32 0, v54
	s_cbranch_execz .LBB4_4091
; %bb.4082:                             ;   in Loop: Header=BB4_2911 Depth=2
	v_bfrev_b32_e32 v14, 1
	s_mov_b32 s24, exec_lo
	v_cmpx_ne_u16_e32 0x80, v54
	s_cbranch_execz .LBB4_4090
; %bb.4083:                             ;   in Loop: Header=BB4_2911 Depth=2
	v_and_b32_e32 v15, 0xffff, v54
	s_delay_alu instid0(VALU_DEP_1) | instskip(SKIP_1) | instid1(VALU_DEP_2)
	v_and_b32_e32 v14, 0x7c, v15
	v_and_b32_e32 v10, 3, v15
	v_cmp_ne_u32_e32 vcc_lo, 0x7c, v14
                                        ; implicit-def: $vgpr14
	s_and_saveexec_b32 s25, vcc_lo
	s_delay_alu instid0(SALU_CYCLE_1)
	s_xor_b32 s25, exec_lo, s25
	s_cbranch_execz .LBB4_4087
; %bb.4084:                             ;   in Loop: Header=BB4_2911 Depth=2
	v_bfe_u32 v14, v15, 2, 5
	s_mov_b32 s26, exec_lo
	s_delay_alu instid0(VALU_DEP_1)
	v_cmpx_eq_u32_e32 0, v14
; %bb.4085:                             ;   in Loop: Header=BB4_2911 Depth=2
	v_clz_i32_u32_e32 v10, v10
	s_delay_alu instid0(VALU_DEP_1) | instskip(NEXT) | instid1(VALU_DEP_1)
	v_min_u32_e32 v10, 32, v10
	v_subrev_nc_u32_e32 v14, 29, v10
	s_delay_alu instid0(VALU_DEP_1) | instskip(SKIP_1) | instid1(VALU_DEP_2)
	v_lshlrev_b64_e32 v[58:59], v14, v[54:55]
	v_sub_nc_u32_e32 v14, 30, v10
	v_and_b32_e32 v10, 3, v58
; %bb.4086:                             ;   in Loop: Header=BB4_2911 Depth=2
	s_or_b32 exec_lo, exec_lo, s26
	v_lshlrev_b32_e32 v15, 16, v13
	s_delay_alu instid0(VALU_DEP_1) | instskip(NEXT) | instid1(VALU_DEP_1)
	v_and_b32_e32 v15, 0x80000000, v15
	v_lshl_add_u32 v14, v14, 23, v15
	s_delay_alu instid0(VALU_DEP_1) | instskip(NEXT) | instid1(VALU_DEP_1)
	v_lshl_or_b32 v10, v10, 21, v14
	v_add_nc_u32_e32 v14, 0x38000000, v10
                                        ; implicit-def: $vgpr10
.LBB4_4087:                             ;   in Loop: Header=BB4_2911 Depth=2
	s_and_not1_saveexec_b32 s25, s25
; %bb.4088:                             ;   in Loop: Header=BB4_2911 Depth=2
	v_cmp_lt_i16_e32 vcc_lo, -1, v13
	v_cndmask_b32_e32 v14, 0xff800000, v109, vcc_lo
	v_cmp_eq_u32_e32 vcc_lo, 0, v10
	s_delay_alu instid0(VALU_DEP_2)
	v_cndmask_b32_e32 v14, 0x7f800001, v14, vcc_lo
; %bb.4089:                             ;   in Loop: Header=BB4_2911 Depth=2
	s_or_b32 exec_lo, exec_lo, s25
.LBB4_4090:                             ;   in Loop: Header=BB4_2911 Depth=2
	s_delay_alu instid0(SALU_CYCLE_1)
	s_or_b32 exec_lo, exec_lo, s24
.LBB4_4091:                             ;   in Loop: Header=BB4_2911 Depth=2
	s_delay_alu instid0(SALU_CYCLE_1) | instskip(NEXT) | instid1(VALU_DEP_1)
	s_or_b32 exec_lo, exec_lo, s7
	v_mul_f32_e32 v10, v11, v14
	v_mov_b32_e32 v15, v55
                                        ; implicit-def: $vgpr57
	s_mov_b32 s7, exec_lo
	s_delay_alu instid0(VALU_DEP_2) | instskip(SKIP_2) | instid1(VALU_DEP_3)
	v_and_b32_e32 v14, 0x7f800000, v10
	v_and_b32_e32 v54, 0x7fffff, v10
	v_lshrrev_b32_e32 v11, 24, v10
	v_cmpx_ne_u64_e32 0x7f800000, v[14:15]
	s_xor_b32 s24, exec_lo, s7
	s_cbranch_execz .LBB4_4105
; %bb.4092:                             ;   in Loop: Header=BB4_2911 Depth=2
	v_and_b32_e32 v14, 0x7fffffff, v10
	v_mov_b32_e32 v15, v55
	v_and_b32_e32 v58, 0x80, v11
                                        ; implicit-def: $vgpr57
	s_mov_b32 s7, exec_lo
	s_delay_alu instid0(VALU_DEP_2)
	v_cmpx_gt_u64_e32 0x47600001, v[14:15]
	s_xor_b32 s25, exec_lo, s7
	s_cbranch_execz .LBB4_4102
; %bb.4093:                             ;   in Loop: Header=BB4_2911 Depth=2
	v_mov_b32_e32 v57, 0
	s_mov_b32 s26, exec_lo
	v_cmpx_ne_u32_e32 0, v10
	s_cbranch_execz .LBB4_4101
; %bb.4094:                             ;   in Loop: Header=BB4_2911 Depth=2
	v_bfe_u32 v57, v10, 23, 8
	v_or_b32_e32 v14, 0x800000, v54
	s_delay_alu instid0(VALU_DEP_2) | instskip(SKIP_1) | instid1(VALU_DEP_2)
	v_sub_nc_u32_e32 v10, 0x71, v57
	v_cmp_gt_u32_e32 vcc_lo, 0x72, v57
	v_cndmask_b32_e32 v10, 0, v10, vcc_lo
	v_cmp_eq_u32_e32 vcc_lo, 0, v57
	s_delay_alu instid0(VALU_DEP_2) | instskip(NEXT) | instid1(VALU_DEP_1)
	v_cndmask_b32_e64 v59, v10, 0x70, vcc_lo
	v_dual_cndmask_b32 v54, v14, v54, vcc_lo :: v_dual_add_nc_u32 v10, 21, v59
	v_add_nc_u32_e32 v15, 20, v59
	s_delay_alu instid0(VALU_DEP_2) | instskip(NEXT) | instid1(VALU_DEP_2)
	v_lshlrev_b64_e64 v[10:11], v10, -1
	v_lshlrev_b64_e64 v[14:15], v15, 1
	s_delay_alu instid0(VALU_DEP_2) | instskip(NEXT) | instid1(VALU_DEP_3)
	v_bfi_b32 v61, v11, 0, 0
	v_bfi_b32 v60, v10, 0, v54
	v_lshrrev_b64 v[10:11], v59, v[54:55]
	s_delay_alu instid0(VALU_DEP_2) | instskip(NEXT) | instid1(VALU_DEP_2)
	v_cmp_eq_u64_e64 s7, v[60:61], v[14:15]
	v_mov_b64_e32 v[14:15], v[10:11]
	s_and_saveexec_b32 s27, s7
; %bb.4095:                             ;   in Loop: Header=BB4_2911 Depth=2
	v_bfe_u32 v54, v10, 21, 1
	s_delay_alu instid0(VALU_DEP_1) | instskip(NEXT) | instid1(VALU_DEP_1)
	v_add_nc_u64_e32 v[14:15], v[10:11], v[54:55]
	v_add_nc_u64_e32 v[14:15], -1, v[14:15]
; %bb.4096:                             ;   in Loop: Header=BB4_2911 Depth=2
	s_or_b32 exec_lo, exec_lo, s27
	v_add_nc_u32_e32 v11, 0xffffff81, v57
	v_lshrrev_b32_e32 v15, 23, v10
	s_mov_b32 s7, exec_lo
	s_delay_alu instid0(VALU_DEP_2) | instskip(NEXT) | instid1(VALU_DEP_1)
	v_cndmask_b32_e64 v11, v11, 0xffffff82, vcc_lo
	v_add3_u32 v15, v59, v11, v15
	v_and_b32_e32 v11, 0x1fffff, v14
                                        ; implicit-def: $vgpr14
	s_delay_alu instid0(VALU_DEP_1) | instskip(NEXT) | instid1(VALU_DEP_1)
	v_dual_add_nc_u32 v57, 14, v15 :: v_dual_add_nc_u32 v54, v11, v10
                                        ; implicit-def: $vgpr10_vgpr11
	v_cmpx_ne_u32_e32 0, v57
	s_xor_b32 s7, exec_lo, s7
; %bb.4097:                             ;   in Loop: Header=BB4_2911 Depth=2
	s_delay_alu instid0(VALU_DEP_2) | instskip(SKIP_1) | instid1(VALU_DEP_1)
	v_cmp_lt_u64_e32 vcc_lo, 0xffffff, v[54:55]
	v_add_nc_u32_e32 v10, 15, v15
	v_cndmask_b32_e32 v14, v57, v10, vcc_lo
	v_cndmask_b32_e64 v10, 0, 1, vcc_lo
	s_delay_alu instid0(VALU_DEP_1)
	v_lshrrev_b64 v[10:11], v10, v[54:55]
; %bb.4098:                             ;   in Loop: Header=BB4_2911 Depth=2
	s_and_not1_saveexec_b32 s7, s7
; %bb.4099:                             ;   in Loop: Header=BB4_2911 Depth=2
	v_mov_b64_e32 v[10:11], v[54:55]
	v_bfe_u32 v14, v54, 23, 1
; %bb.4100:                             ;   in Loop: Header=BB4_2911 Depth=2
	s_or_b32 exec_lo, exec_lo, s7
	s_delay_alu instid0(VALU_DEP_2) | instskip(NEXT) | instid1(VALU_DEP_2)
	v_lshrrev_b64 v[10:11], 21, v[10:11]
	v_cmp_gt_i32_e32 vcc_lo, 32, v14
	v_min_i32_e32 v15, 31, v14
	v_cmp_eq_u32_e64 s7, 0, v14
	s_delay_alu instid0(VALU_DEP_4) | instskip(NEXT) | instid1(VALU_DEP_3)
	v_cndmask_b32_e32 v11, 0, v11, vcc_lo
	v_dual_cndmask_b32 v10, 3, v10 :: v_dual_lshlrev_b32 v15, 2, v15
	s_delay_alu instid0(VALU_DEP_1) | instskip(NEXT) | instid1(VALU_DEP_2)
	v_and_b32_e32 v15, 0xfc, v15
	v_cmp_eq_u64_e32 vcc_lo, 0, v[10:11]
	s_delay_alu instid0(VALU_DEP_2)
	v_and_or_b32 v10, v10, 3, v15
	s_and_b32 s7, s7, vcc_lo
	s_delay_alu instid0(VALU_DEP_1) | instid1(SALU_CYCLE_1)
	v_cndmask_b32_e64 v10, v10, 0, s7
	s_delay_alu instid0(VALU_DEP_1)
	v_or_b32_e32 v57, v10, v58
.LBB4_4101:                             ;   in Loop: Header=BB4_2911 Depth=2
	s_or_b32 exec_lo, exec_lo, s26
                                        ; implicit-def: $vgpr58
.LBB4_4102:                             ;   in Loop: Header=BB4_2911 Depth=2
	s_and_not1_saveexec_b32 s7, s25
; %bb.4103:                             ;   in Loop: Header=BB4_2911 Depth=2
	v_or_b32_e32 v57, 0x7b, v58
; %bb.4104:                             ;   in Loop: Header=BB4_2911 Depth=2
	s_or_b32 exec_lo, exec_lo, s7
                                        ; implicit-def: $vgpr10
                                        ; implicit-def: $vgpr11
.LBB4_4105:                             ;   in Loop: Header=BB4_2911 Depth=2
	s_and_not1_saveexec_b32 s7, s24
	s_cbranch_execz .LBB4_4111
; %bb.4106:                             ;   in Loop: Header=BB4_2911 Depth=2
	s_mov_b32 s24, exec_lo
                                        ; implicit-def: $vgpr57
	v_cmpx_ne_u64_e32 0, v[54:55]
	s_xor_b32 s24, exec_lo, s24
; %bb.4107:                             ;   in Loop: Header=BB4_2911 Depth=2
	v_or_b32_e32 v57, 0x7f, v11
                                        ; implicit-def: $vgpr10
; %bb.4108:                             ;   in Loop: Header=BB4_2911 Depth=2
	s_and_not1_saveexec_b32 s24, s24
; %bb.4109:                             ;   in Loop: Header=BB4_2911 Depth=2
	v_cmp_lt_i32_e32 vcc_lo, -1, v10
	v_cndmask_b32_e32 v57, 0xfc, v110, vcc_lo
; %bb.4110:                             ;   in Loop: Header=BB4_2911 Depth=2
	s_or_b32 exec_lo, exec_lo, s24
.LBB4_4111:                             ;   in Loop: Header=BB4_2911 Depth=2
	s_delay_alu instid0(SALU_CYCLE_1) | instskip(SKIP_3) | instid1(VALU_DEP_2)
	s_or_b32 exec_lo, exec_lo, s7
	v_dual_mov_b32 v11, 0 :: v_dual_lshrrev_b32 v10, 16, v17
	v_mov_b32_e32 v14, 0
	s_mov_b32 s7, exec_lo
	v_and_b32_e32 v15, 0xff, v10
	s_delay_alu instid0(VALU_DEP_1)
	v_cmpx_ne_u16_e32 0, v15
	s_cbranch_execz .LBB4_4121
; %bb.4112:                             ;   in Loop: Header=BB4_2911 Depth=2
	v_bfrev_b32_e32 v14, 1
	s_mov_b32 s24, exec_lo
	v_cmpx_ne_u16_e32 0x80, v15
	s_cbranch_execz .LBB4_4120
; %bb.4113:                             ;   in Loop: Header=BB4_2911 Depth=2
	v_and_b32_e32 v14, 0x7c0000, v17
	v_bfe_u32 v15, v17, 16, 2
	s_delay_alu instid0(VALU_DEP_2) | instskip(SKIP_1) | instid1(SALU_CYCLE_1)
	v_cmp_ne_u32_e32 vcc_lo, 0x7c0000, v14
                                        ; implicit-def: $vgpr14
	s_and_saveexec_b32 s25, vcc_lo
	s_xor_b32 s25, exec_lo, s25
	s_cbranch_execz .LBB4_4117
; %bb.4114:                             ;   in Loop: Header=BB4_2911 Depth=2
	v_bfe_u32 v14, v17, 18, 5
	s_mov_b32 s26, exec_lo
	s_delay_alu instid0(VALU_DEP_1)
	v_cmpx_eq_u32_e32 0, v14
; %bb.4115:                             ;   in Loop: Header=BB4_2911 Depth=2
	v_clz_i32_u32_e32 v14, v15
	s_delay_alu instid0(VALU_DEP_1) | instskip(NEXT) | instid1(VALU_DEP_1)
	v_min_u32_e32 v14, 32, v14
	v_subrev_nc_u32_e32 v15, 29, v14
	v_sub_nc_u32_e32 v14, 30, v14
	s_delay_alu instid0(VALU_DEP_2) | instskip(NEXT) | instid1(VALU_DEP_1)
	v_lshlrev_b64_e32 v[58:59], v15, v[10:11]
	v_and_b32_e32 v15, 3, v58
; %bb.4116:                             ;   in Loop: Header=BB4_2911 Depth=2
	s_or_b32 exec_lo, exec_lo, s26
	v_lshlrev_b32_e32 v10, 24, v10
	s_delay_alu instid0(VALU_DEP_1) | instskip(NEXT) | instid1(VALU_DEP_1)
	v_and_b32_e32 v10, 0x80000000, v10
	v_lshl_add_u32 v10, v14, 23, v10
	s_delay_alu instid0(VALU_DEP_1) | instskip(NEXT) | instid1(VALU_DEP_1)
	v_lshl_or_b32 v10, v15, 21, v10
                                        ; implicit-def: $vgpr15
	v_add_nc_u32_e32 v14, 0x38000000, v10
                                        ; implicit-def: $vgpr10
.LBB4_4117:                             ;   in Loop: Header=BB4_2911 Depth=2
	s_and_not1_saveexec_b32 s25, s25
; %bb.4118:                             ;   in Loop: Header=BB4_2911 Depth=2
	v_bfe_i32 v10, v10, 0, 8
	s_delay_alu instid0(VALU_DEP_1) | instskip(SKIP_2) | instid1(VALU_DEP_2)
	v_cmp_lt_i16_e32 vcc_lo, -1, v10
	v_cndmask_b32_e32 v10, 0xff800000, v109, vcc_lo
	v_cmp_eq_u32_e32 vcc_lo, 0, v15
	v_cndmask_b32_e32 v14, 0x7f800001, v10, vcc_lo
; %bb.4119:                             ;   in Loop: Header=BB4_2911 Depth=2
	s_or_b32 exec_lo, exec_lo, s25
.LBB4_4120:                             ;   in Loop: Header=BB4_2911 Depth=2
	s_delay_alu instid0(SALU_CYCLE_1)
	s_or_b32 exec_lo, exec_lo, s24
.LBB4_4121:                             ;   in Loop: Header=BB4_2911 Depth=2
	s_delay_alu instid0(SALU_CYCLE_1) | instskip(SKIP_2) | instid1(VALU_DEP_1)
	s_or_b32 exec_lo, exec_lo, s7
	v_lshrrev_b32_e32 v10, 16, v13
	s_mov_b32 s7, exec_lo
	v_and_b32_e32 v15, 0xff, v10
	s_delay_alu instid0(VALU_DEP_1)
	v_cmpx_ne_u16_e32 0, v15
	s_cbranch_execz .LBB4_4131
; %bb.4122:                             ;   in Loop: Header=BB4_2911 Depth=2
	v_bfrev_b32_e32 v11, 1
	s_mov_b32 s24, exec_lo
	v_cmpx_ne_u16_e32 0x80, v15
	s_cbranch_execz .LBB4_4130
; %bb.4123:                             ;   in Loop: Header=BB4_2911 Depth=2
	v_and_b32_e32 v11, 0x7c0000, v13
	v_bfe_u32 v15, v13, 16, 2
	s_delay_alu instid0(VALU_DEP_2) | instskip(SKIP_1) | instid1(SALU_CYCLE_1)
	v_cmp_ne_u32_e32 vcc_lo, 0x7c0000, v11
                                        ; implicit-def: $vgpr11
	s_and_saveexec_b32 s25, vcc_lo
	s_xor_b32 s25, exec_lo, s25
	s_cbranch_execz .LBB4_4127
; %bb.4124:                             ;   in Loop: Header=BB4_2911 Depth=2
	v_bfe_u32 v11, v13, 18, 5
	s_mov_b32 s26, exec_lo
	s_delay_alu instid0(VALU_DEP_1)
	v_cmpx_eq_u32_e32 0, v11
; %bb.4125:                             ;   in Loop: Header=BB4_2911 Depth=2
	v_clz_i32_u32_e32 v11, v15
	s_delay_alu instid0(VALU_DEP_1) | instskip(NEXT) | instid1(VALU_DEP_1)
	v_min_u32_e32 v11, 32, v11
	v_subrev_nc_u32_e32 v15, 29, v11
	s_delay_alu instid0(VALU_DEP_1) | instskip(NEXT) | instid1(VALU_DEP_1)
	v_lshlrev_b64_e32 v[58:59], v15, v[10:11]
	v_dual_sub_nc_u32 v11, 30, v11 :: v_dual_bitop2_b32 v15, 3, v58 bitop3:0x40
; %bb.4126:                             ;   in Loop: Header=BB4_2911 Depth=2
	s_or_b32 exec_lo, exec_lo, s26
	v_lshlrev_b32_e32 v10, 24, v10
	s_delay_alu instid0(VALU_DEP_1) | instskip(NEXT) | instid1(VALU_DEP_1)
	v_and_b32_e32 v10, 0x80000000, v10
	v_lshl_add_u32 v10, v11, 23, v10
	s_delay_alu instid0(VALU_DEP_1) | instskip(NEXT) | instid1(VALU_DEP_1)
	v_lshl_or_b32 v10, v15, 21, v10
                                        ; implicit-def: $vgpr15
	v_add_nc_u32_e32 v11, 0x38000000, v10
                                        ; implicit-def: $vgpr10
.LBB4_4127:                             ;   in Loop: Header=BB4_2911 Depth=2
	s_and_not1_saveexec_b32 s25, s25
; %bb.4128:                             ;   in Loop: Header=BB4_2911 Depth=2
	v_bfe_i32 v10, v10, 0, 8
	s_delay_alu instid0(VALU_DEP_1) | instskip(SKIP_2) | instid1(VALU_DEP_2)
	v_cmp_lt_i16_e32 vcc_lo, -1, v10
	v_cndmask_b32_e32 v10, 0xff800000, v109, vcc_lo
	v_cmp_eq_u32_e32 vcc_lo, 0, v15
	v_cndmask_b32_e32 v11, 0x7f800001, v10, vcc_lo
; %bb.4129:                             ;   in Loop: Header=BB4_2911 Depth=2
	s_or_b32 exec_lo, exec_lo, s25
.LBB4_4130:                             ;   in Loop: Header=BB4_2911 Depth=2
	s_delay_alu instid0(SALU_CYCLE_1)
	s_or_b32 exec_lo, exec_lo, s24
.LBB4_4131:                             ;   in Loop: Header=BB4_2911 Depth=2
	s_delay_alu instid0(SALU_CYCLE_1) | instskip(NEXT) | instid1(VALU_DEP_1)
	s_or_b32 exec_lo, exec_lo, s7
	v_dual_mul_f32 v10, v14, v11 :: v_dual_mov_b32 v15, v55
	s_delay_alu instid0(VALU_DEP_1) | instskip(SKIP_2) | instid1(VALU_DEP_3)
	v_and_b32_e32 v14, 0x7f800000, v10
	v_and_b32_e32 v54, 0x7fffff, v10
	v_lshrrev_b32_e32 v11, 24, v10
	v_cmp_ne_u64_e32 vcc_lo, 0x7f800000, v[14:15]
                                        ; implicit-def: $vgpr14
	s_and_saveexec_b32 s7, vcc_lo
	s_delay_alu instid0(SALU_CYCLE_1)
	s_xor_b32 s24, exec_lo, s7
	s_cbranch_execz .LBB4_4145
; %bb.4132:                             ;   in Loop: Header=BB4_2911 Depth=2
	v_and_b32_e32 v14, 0x7fffffff, v10
	v_mov_b32_e32 v15, v55
	v_and_b32_e32 v58, 0x80, v11
	s_delay_alu instid0(VALU_DEP_2) | instskip(SKIP_1) | instid1(SALU_CYCLE_1)
	v_cmp_gt_u64_e32 vcc_lo, 0x47600001, v[14:15]
                                        ; implicit-def: $vgpr14
	s_and_saveexec_b32 s7, vcc_lo
	s_xor_b32 s25, exec_lo, s7
	s_cbranch_execz .LBB4_4142
; %bb.4133:                             ;   in Loop: Header=BB4_2911 Depth=2
	v_mov_b32_e32 v14, 0
	s_mov_b32 s26, exec_lo
	v_cmpx_ne_u32_e32 0, v10
	s_cbranch_execz .LBB4_4141
; %bb.4134:                             ;   in Loop: Header=BB4_2911 Depth=2
	v_bfe_u32 v59, v10, 23, 8
	v_or_b32_e32 v14, 0x800000, v54
	s_delay_alu instid0(VALU_DEP_2) | instskip(SKIP_1) | instid1(VALU_DEP_2)
	v_sub_nc_u32_e32 v10, 0x71, v59
	v_cmp_gt_u32_e32 vcc_lo, 0x72, v59
	v_cndmask_b32_e32 v10, 0, v10, vcc_lo
	v_cmp_eq_u32_e32 vcc_lo, 0, v59
	s_delay_alu instid0(VALU_DEP_2) | instskip(NEXT) | instid1(VALU_DEP_1)
	v_cndmask_b32_e64 v60, v10, 0x70, vcc_lo
	v_dual_cndmask_b32 v54, v14, v54, vcc_lo :: v_dual_add_nc_u32 v10, 21, v60
	v_add_nc_u32_e32 v15, 20, v60
	s_delay_alu instid0(VALU_DEP_2) | instskip(NEXT) | instid1(VALU_DEP_2)
	v_lshlrev_b64_e64 v[10:11], v10, -1
	v_lshlrev_b64_e64 v[14:15], v15, 1
	s_delay_alu instid0(VALU_DEP_2) | instskip(NEXT) | instid1(VALU_DEP_3)
	v_bfi_b32 v63, v11, 0, 0
	v_bfi_b32 v62, v10, 0, v54
	v_lshrrev_b64 v[10:11], v60, v[54:55]
	s_delay_alu instid0(VALU_DEP_2) | instskip(NEXT) | instid1(VALU_DEP_2)
	v_cmp_eq_u64_e64 s7, v[62:63], v[14:15]
	v_mov_b64_e32 v[14:15], v[10:11]
	s_and_saveexec_b32 s27, s7
; %bb.4135:                             ;   in Loop: Header=BB4_2911 Depth=2
	v_bfe_u32 v54, v10, 21, 1
	s_delay_alu instid0(VALU_DEP_1) | instskip(NEXT) | instid1(VALU_DEP_1)
	v_add_nc_u64_e32 v[14:15], v[10:11], v[54:55]
	v_add_nc_u64_e32 v[14:15], -1, v[14:15]
; %bb.4136:                             ;   in Loop: Header=BB4_2911 Depth=2
	s_or_b32 exec_lo, exec_lo, s27
	v_add_nc_u32_e32 v11, 0xffffff81, v59
	v_lshrrev_b32_e32 v15, 23, v10
	s_mov_b32 s7, exec_lo
	s_delay_alu instid0(VALU_DEP_2) | instskip(NEXT) | instid1(VALU_DEP_1)
	v_cndmask_b32_e64 v11, v11, 0xffffff82, vcc_lo
	v_add3_u32 v15, v60, v11, v15
	v_and_b32_e32 v11, 0x1fffff, v14
                                        ; implicit-def: $vgpr14
	s_delay_alu instid0(VALU_DEP_1) | instskip(NEXT) | instid1(VALU_DEP_1)
	v_dual_add_nc_u32 v59, 14, v15 :: v_dual_add_nc_u32 v54, v11, v10
                                        ; implicit-def: $vgpr10_vgpr11
	v_cmpx_ne_u32_e32 0, v59
	s_xor_b32 s7, exec_lo, s7
; %bb.4137:                             ;   in Loop: Header=BB4_2911 Depth=2
	s_delay_alu instid0(VALU_DEP_2) | instskip(SKIP_1) | instid1(VALU_DEP_1)
	v_cmp_lt_u64_e32 vcc_lo, 0xffffff, v[54:55]
	v_add_nc_u32_e32 v10, 15, v15
	v_cndmask_b32_e32 v14, v59, v10, vcc_lo
	v_cndmask_b32_e64 v10, 0, 1, vcc_lo
	s_delay_alu instid0(VALU_DEP_1)
	v_lshrrev_b64 v[10:11], v10, v[54:55]
; %bb.4138:                             ;   in Loop: Header=BB4_2911 Depth=2
	s_and_not1_saveexec_b32 s7, s7
; %bb.4139:                             ;   in Loop: Header=BB4_2911 Depth=2
	v_mov_b64_e32 v[10:11], v[54:55]
	v_bfe_u32 v14, v54, 23, 1
; %bb.4140:                             ;   in Loop: Header=BB4_2911 Depth=2
	s_or_b32 exec_lo, exec_lo, s7
	s_delay_alu instid0(VALU_DEP_2) | instskip(NEXT) | instid1(VALU_DEP_2)
	v_lshrrev_b64 v[10:11], 21, v[10:11]
	v_cmp_gt_i32_e32 vcc_lo, 32, v14
	v_min_i32_e32 v15, 31, v14
	v_cmp_eq_u32_e64 s7, 0, v14
	s_delay_alu instid0(VALU_DEP_4) | instskip(NEXT) | instid1(VALU_DEP_3)
	v_cndmask_b32_e32 v11, 0, v11, vcc_lo
	v_dual_cndmask_b32 v10, 3, v10 :: v_dual_lshlrev_b32 v15, 2, v15
	s_delay_alu instid0(VALU_DEP_1) | instskip(NEXT) | instid1(VALU_DEP_2)
	v_and_b32_e32 v15, 0xfc, v15
	v_cmp_eq_u64_e32 vcc_lo, 0, v[10:11]
	s_delay_alu instid0(VALU_DEP_2)
	v_and_or_b32 v10, v10, 3, v15
	s_and_b32 s7, s7, vcc_lo
	s_delay_alu instid0(VALU_DEP_1) | instid1(SALU_CYCLE_1)
	v_cndmask_b32_e64 v10, v10, 0, s7
	s_delay_alu instid0(VALU_DEP_1)
	v_or_b32_e32 v14, v10, v58
.LBB4_4141:                             ;   in Loop: Header=BB4_2911 Depth=2
	s_or_b32 exec_lo, exec_lo, s26
                                        ; implicit-def: $vgpr58
.LBB4_4142:                             ;   in Loop: Header=BB4_2911 Depth=2
	s_and_not1_saveexec_b32 s7, s25
; %bb.4143:                             ;   in Loop: Header=BB4_2911 Depth=2
	v_or_b32_e32 v14, 0x7b, v58
; %bb.4144:                             ;   in Loop: Header=BB4_2911 Depth=2
	s_or_b32 exec_lo, exec_lo, s7
                                        ; implicit-def: $vgpr10
                                        ; implicit-def: $vgpr11
.LBB4_4145:                             ;   in Loop: Header=BB4_2911 Depth=2
	s_and_not1_saveexec_b32 s7, s24
	s_cbranch_execz .LBB4_4151
; %bb.4146:                             ;   in Loop: Header=BB4_2911 Depth=2
	s_mov_b32 s24, exec_lo
                                        ; implicit-def: $vgpr14
	v_cmpx_ne_u64_e32 0, v[54:55]
	s_xor_b32 s24, exec_lo, s24
; %bb.4147:                             ;   in Loop: Header=BB4_2911 Depth=2
	v_or_b32_e32 v14, 0x7f, v11
                                        ; implicit-def: $vgpr10
; %bb.4148:                             ;   in Loop: Header=BB4_2911 Depth=2
	s_and_not1_saveexec_b32 s24, s24
; %bb.4149:                             ;   in Loop: Header=BB4_2911 Depth=2
	v_cmp_lt_i32_e32 vcc_lo, -1, v10
	v_cndmask_b32_e32 v14, 0xfc, v110, vcc_lo
; %bb.4150:                             ;   in Loop: Header=BB4_2911 Depth=2
	s_or_b32 exec_lo, exec_lo, s24
.LBB4_4151:                             ;   in Loop: Header=BB4_2911 Depth=2
	s_delay_alu instid0(SALU_CYCLE_1)
	s_or_b32 exec_lo, exec_lo, s7
	v_dual_mov_b32 v11, 0 :: v_dual_mov_b32 v15, 0
	s_mov_b32 s7, exec_lo
	v_cmpx_lt_u64_e64 s[12:13], v[16:17]
	s_cbranch_execz .LBB4_4161
; %bb.4152:                             ;   in Loop: Header=BB4_2911 Depth=2
	v_lshrrev_b32_e32 v10, 24, v17
	v_bfrev_b32_e32 v15, 1
	s_mov_b32 s24, exec_lo
	s_delay_alu instid0(VALU_DEP_2)
	v_cmpx_ne_u32_e32 0x80, v10
	s_cbranch_execz .LBB4_4160
; %bb.4153:                             ;   in Loop: Header=BB4_2911 Depth=2
	v_and_b32_e32 v15, 0x7c000000, v17
	v_bfe_u32 v54, v17, 24, 2
	s_delay_alu instid0(VALU_DEP_2) | instskip(SKIP_1) | instid1(SALU_CYCLE_1)
	v_cmp_ne_u32_e32 vcc_lo, 0x7c000000, v15
                                        ; implicit-def: $vgpr15
	s_and_saveexec_b32 s25, vcc_lo
	s_xor_b32 s25, exec_lo, s25
	s_cbranch_execz .LBB4_4157
; %bb.4154:                             ;   in Loop: Header=BB4_2911 Depth=2
	v_bfe_u32 v15, v17, 26, 5
	s_mov_b32 s26, exec_lo
	s_delay_alu instid0(VALU_DEP_1)
	v_cmpx_eq_u32_e32 0, v15
; %bb.4155:                             ;   in Loop: Header=BB4_2911 Depth=2
	v_clz_i32_u32_e32 v15, v54
	s_delay_alu instid0(VALU_DEP_1) | instskip(NEXT) | instid1(VALU_DEP_1)
	v_min_u32_e32 v15, 32, v15
	v_subrev_nc_u32_e32 v16, 29, v15
	s_delay_alu instid0(VALU_DEP_1) | instskip(NEXT) | instid1(VALU_DEP_1)
	v_lshlrev_b64_e32 v[58:59], v16, v[10:11]
	v_dual_sub_nc_u32 v15, 30, v15 :: v_dual_bitop2_b32 v54, 3, v58 bitop3:0x40
; %bb.4156:                             ;   in Loop: Header=BB4_2911 Depth=2
	s_or_b32 exec_lo, exec_lo, s26
	v_and_b32_e32 v10, 0x80000000, v17
                                        ; implicit-def: $vgpr16_vgpr17
	s_delay_alu instid0(VALU_DEP_1) | instskip(NEXT) | instid1(VALU_DEP_1)
	v_lshl_add_u32 v10, v15, 23, v10
	v_lshl_or_b32 v10, v54, 21, v10
                                        ; implicit-def: $vgpr54
	s_delay_alu instid0(VALU_DEP_1)
	v_add_nc_u32_e32 v15, 0x38000000, v10
.LBB4_4157:                             ;   in Loop: Header=BB4_2911 Depth=2
	s_and_not1_saveexec_b32 s25, s25
; %bb.4158:                             ;   in Loop: Header=BB4_2911 Depth=2
	v_cmp_lt_i64_e32 vcc_lo, -1, v[16:17]
	v_cndmask_b32_e32 v10, 0xff800000, v109, vcc_lo
	v_cmp_eq_u32_e32 vcc_lo, 0, v54
	s_delay_alu instid0(VALU_DEP_2)
	v_cndmask_b32_e32 v15, 0x7f800001, v10, vcc_lo
; %bb.4159:                             ;   in Loop: Header=BB4_2911 Depth=2
	s_or_b32 exec_lo, exec_lo, s25
.LBB4_4160:                             ;   in Loop: Header=BB4_2911 Depth=2
	s_delay_alu instid0(SALU_CYCLE_1)
	s_or_b32 exec_lo, exec_lo, s24
.LBB4_4161:                             ;   in Loop: Header=BB4_2911 Depth=2
	s_delay_alu instid0(SALU_CYCLE_1) | instskip(NEXT) | instid1(SALU_CYCLE_1)
	s_or_b32 exec_lo, exec_lo, s7
	s_mov_b32 s7, exec_lo
	v_cmpx_lt_u64_e64 s[12:13], v[12:13]
	s_cbranch_execz .LBB4_4171
; %bb.4162:                             ;   in Loop: Header=BB4_2911 Depth=2
	v_lshrrev_b32_e32 v10, 24, v13
	v_bfrev_b32_e32 v11, 1
	s_mov_b32 s24, exec_lo
	s_delay_alu instid0(VALU_DEP_2)
	v_cmpx_ne_u32_e32 0x80, v10
	s_cbranch_execz .LBB4_4170
; %bb.4163:                             ;   in Loop: Header=BB4_2911 Depth=2
	v_and_b32_e32 v11, 0x7c000000, v13
	v_bfe_u32 v16, v13, 24, 2
	s_delay_alu instid0(VALU_DEP_2) | instskip(SKIP_1) | instid1(SALU_CYCLE_1)
	v_cmp_ne_u32_e32 vcc_lo, 0x7c000000, v11
                                        ; implicit-def: $vgpr11
	s_and_saveexec_b32 s25, vcc_lo
	s_xor_b32 s25, exec_lo, s25
	s_cbranch_execz .LBB4_4167
; %bb.4164:                             ;   in Loop: Header=BB4_2911 Depth=2
	v_bfe_u32 v11, v13, 26, 5
	s_mov_b32 s26, exec_lo
	s_delay_alu instid0(VALU_DEP_1)
	v_cmpx_eq_u32_e32 0, v11
; %bb.4165:                             ;   in Loop: Header=BB4_2911 Depth=2
	v_clz_i32_u32_e32 v11, v16
	s_delay_alu instid0(VALU_DEP_1) | instskip(NEXT) | instid1(VALU_DEP_1)
	v_min_u32_e32 v12, 32, v11
	v_subrev_nc_u32_e32 v11, 29, v12
	s_delay_alu instid0(VALU_DEP_1) | instskip(NEXT) | instid1(VALU_DEP_1)
	v_lshlrev_b64_e32 v[10:11], v11, v[10:11]
	v_dual_sub_nc_u32 v11, 30, v12 :: v_dual_bitop2_b32 v16, 3, v10 bitop3:0x40
; %bb.4166:                             ;   in Loop: Header=BB4_2911 Depth=2
	s_or_b32 exec_lo, exec_lo, s26
	v_and_b32_e32 v10, 0x80000000, v13
                                        ; implicit-def: $vgpr12_vgpr13
	s_delay_alu instid0(VALU_DEP_1) | instskip(NEXT) | instid1(VALU_DEP_1)
	v_lshl_add_u32 v10, v11, 23, v10
	v_lshl_or_b32 v10, v16, 21, v10
                                        ; implicit-def: $vgpr16
	s_delay_alu instid0(VALU_DEP_1)
	v_add_nc_u32_e32 v11, 0x38000000, v10
.LBB4_4167:                             ;   in Loop: Header=BB4_2911 Depth=2
	s_and_not1_saveexec_b32 s25, s25
; %bb.4168:                             ;   in Loop: Header=BB4_2911 Depth=2
	v_cmp_lt_i64_e32 vcc_lo, -1, v[12:13]
	v_cndmask_b32_e32 v10, 0xff800000, v109, vcc_lo
	v_cmp_eq_u32_e32 vcc_lo, 0, v16
	s_delay_alu instid0(VALU_DEP_2)
	v_cndmask_b32_e32 v11, 0x7f800001, v10, vcc_lo
; %bb.4169:                             ;   in Loop: Header=BB4_2911 Depth=2
	s_or_b32 exec_lo, exec_lo, s25
.LBB4_4170:                             ;   in Loop: Header=BB4_2911 Depth=2
	s_delay_alu instid0(SALU_CYCLE_1)
	s_or_b32 exec_lo, exec_lo, s24
.LBB4_4171:                             ;   in Loop: Header=BB4_2911 Depth=2
	s_delay_alu instid0(SALU_CYCLE_1) | instskip(NEXT) | instid1(VALU_DEP_1)
	s_or_b32 exec_lo, exec_lo, s7
	v_mul_f32_e32 v11, v15, v11
	v_mov_b32_e32 v13, v55
                                        ; implicit-def: $vgpr10
	s_delay_alu instid0(VALU_DEP_2) | instskip(SKIP_1) | instid1(VALU_DEP_2)
	v_and_b32_e32 v12, 0x7f800000, v11
	v_and_b32_e32 v54, 0x7fffff, v11
	v_cmp_ne_u64_e32 vcc_lo, 0x7f800000, v[12:13]
	v_lshrrev_b32_e32 v12, 24, v11
	s_and_saveexec_b32 s7, vcc_lo
	s_delay_alu instid0(SALU_CYCLE_1)
	s_xor_b32 s24, exec_lo, s7
	s_cbranch_execz .LBB4_4185
; %bb.4172:                             ;   in Loop: Header=BB4_2911 Depth=2
	v_and_b32_e32 v16, 0x7fffffff, v11
	v_mov_b32_e32 v17, v55
	v_and_b32_e32 v15, 0x80, v12
                                        ; implicit-def: $vgpr10
	s_mov_b32 s7, exec_lo
	s_delay_alu instid0(VALU_DEP_2)
	v_cmpx_gt_u64_e32 0x47600001, v[16:17]
	s_xor_b32 s25, exec_lo, s7
	s_cbranch_execz .LBB4_4182
; %bb.4173:                             ;   in Loop: Header=BB4_2911 Depth=2
	v_mov_b32_e32 v10, 0
	s_mov_b32 s26, exec_lo
	v_cmpx_ne_u32_e32 0, v11
	s_cbranch_execz .LBB4_4181
; %bb.4174:                             ;   in Loop: Header=BB4_2911 Depth=2
	v_bfe_u32 v16, v11, 23, 8
	v_or_b32_e32 v12, 0x800000, v54
	s_delay_alu instid0(VALU_DEP_2) | instskip(SKIP_1) | instid1(VALU_DEP_2)
	v_sub_nc_u32_e32 v10, 0x71, v16
	v_cmp_gt_u32_e32 vcc_lo, 0x72, v16
	v_cndmask_b32_e32 v10, 0, v10, vcc_lo
	v_cmp_eq_u32_e32 vcc_lo, 0, v16
	s_delay_alu instid0(VALU_DEP_2) | instskip(NEXT) | instid1(VALU_DEP_1)
	v_cndmask_b32_e64 v17, v10, 0x70, vcc_lo
	v_dual_cndmask_b32 v54, v12, v54, vcc_lo :: v_dual_add_nc_u32 v10, 21, v17
	v_add_nc_u32_e32 v13, 20, v17
	s_delay_alu instid0(VALU_DEP_2) | instskip(NEXT) | instid1(VALU_DEP_2)
	v_lshlrev_b64_e64 v[10:11], v10, -1
	v_lshlrev_b64_e64 v[12:13], v13, 1
	s_delay_alu instid0(VALU_DEP_2) | instskip(NEXT) | instid1(VALU_DEP_3)
	v_bfi_b32 v59, v11, 0, 0
	v_bfi_b32 v58, v10, 0, v54
	v_lshrrev_b64 v[10:11], v17, v[54:55]
	s_delay_alu instid0(VALU_DEP_2) | instskip(NEXT) | instid1(VALU_DEP_2)
	v_cmp_eq_u64_e64 s7, v[58:59], v[12:13]
	v_mov_b64_e32 v[12:13], v[10:11]
	s_and_saveexec_b32 s27, s7
; %bb.4175:                             ;   in Loop: Header=BB4_2911 Depth=2
	v_bfe_u32 v54, v10, 21, 1
	s_delay_alu instid0(VALU_DEP_1) | instskip(NEXT) | instid1(VALU_DEP_1)
	v_add_nc_u64_e32 v[12:13], v[10:11], v[54:55]
	v_add_nc_u64_e32 v[12:13], -1, v[12:13]
; %bb.4176:                             ;   in Loop: Header=BB4_2911 Depth=2
	s_or_b32 exec_lo, exec_lo, s27
	v_add_nc_u32_e32 v11, 0xffffff81, v16
	v_lshrrev_b32_e32 v13, 23, v10
	s_mov_b32 s7, exec_lo
	s_delay_alu instid0(VALU_DEP_2) | instskip(NEXT) | instid1(VALU_DEP_1)
	v_cndmask_b32_e64 v11, v11, 0xffffff82, vcc_lo
	v_add3_u32 v13, v17, v11, v13
	v_and_b32_e32 v11, 0x1fffff, v12
                                        ; implicit-def: $vgpr12
	s_delay_alu instid0(VALU_DEP_1) | instskip(NEXT) | instid1(VALU_DEP_1)
	v_dual_add_nc_u32 v16, 14, v13 :: v_dual_add_nc_u32 v54, v11, v10
                                        ; implicit-def: $vgpr10_vgpr11
	v_cmpx_ne_u32_e32 0, v16
	s_xor_b32 s7, exec_lo, s7
; %bb.4177:                             ;   in Loop: Header=BB4_2911 Depth=2
	s_delay_alu instid0(VALU_DEP_2) | instskip(SKIP_1) | instid1(VALU_DEP_1)
	v_cmp_lt_u64_e32 vcc_lo, 0xffffff, v[54:55]
	v_add_nc_u32_e32 v10, 15, v13
	v_cndmask_b32_e32 v12, v16, v10, vcc_lo
	v_cndmask_b32_e64 v10, 0, 1, vcc_lo
	s_delay_alu instid0(VALU_DEP_1)
	v_lshrrev_b64 v[10:11], v10, v[54:55]
; %bb.4178:                             ;   in Loop: Header=BB4_2911 Depth=2
	s_and_not1_saveexec_b32 s7, s7
; %bb.4179:                             ;   in Loop: Header=BB4_2911 Depth=2
	v_mov_b64_e32 v[10:11], v[54:55]
	v_bfe_u32 v12, v54, 23, 1
; %bb.4180:                             ;   in Loop: Header=BB4_2911 Depth=2
	s_or_b32 exec_lo, exec_lo, s7
	s_delay_alu instid0(VALU_DEP_2) | instskip(NEXT) | instid1(VALU_DEP_2)
	v_lshrrev_b64 v[10:11], 21, v[10:11]
	v_cmp_gt_i32_e32 vcc_lo, 32, v12
	v_min_i32_e32 v13, 31, v12
	v_cmp_eq_u32_e64 s7, 0, v12
	s_delay_alu instid0(VALU_DEP_2) | instskip(SKIP_1) | instid1(VALU_DEP_2)
	v_dual_cndmask_b32 v11, 0, v11, vcc_lo :: v_dual_lshlrev_b32 v13, 2, v13
	v_cndmask_b32_e32 v10, 3, v10, vcc_lo
	v_and_b32_e32 v13, 0xfc, v13
	s_delay_alu instid0(VALU_DEP_2) | instskip(NEXT) | instid1(VALU_DEP_2)
	v_cmp_eq_u64_e32 vcc_lo, 0, v[10:11]
	v_and_or_b32 v10, v10, 3, v13
	s_and_b32 s7, s7, vcc_lo
	s_delay_alu instid0(VALU_DEP_1) | instid1(SALU_CYCLE_1)
	v_cndmask_b32_e64 v10, v10, 0, s7
	s_delay_alu instid0(VALU_DEP_1)
	v_or_b32_e32 v10, v10, v15
.LBB4_4181:                             ;   in Loop: Header=BB4_2911 Depth=2
	s_or_b32 exec_lo, exec_lo, s26
                                        ; implicit-def: $vgpr15
.LBB4_4182:                             ;   in Loop: Header=BB4_2911 Depth=2
	s_and_not1_saveexec_b32 s7, s25
; %bb.4183:                             ;   in Loop: Header=BB4_2911 Depth=2
	v_or_b32_e32 v10, 0x7b, v15
; %bb.4184:                             ;   in Loop: Header=BB4_2911 Depth=2
	s_or_b32 exec_lo, exec_lo, s7
                                        ; implicit-def: $vgpr11
                                        ; implicit-def: $vgpr12
.LBB4_4185:                             ;   in Loop: Header=BB4_2911 Depth=2
	s_and_not1_saveexec_b32 s7, s24
	s_cbranch_execz .LBB4_2910
; %bb.4186:                             ;   in Loop: Header=BB4_2911 Depth=2
	s_mov_b32 s24, exec_lo
                                        ; implicit-def: $vgpr10
	v_cmpx_ne_u64_e32 0, v[54:55]
	s_xor_b32 s24, exec_lo, s24
; %bb.4187:                             ;   in Loop: Header=BB4_2911 Depth=2
	v_or_b32_e32 v10, 0x7f, v12
                                        ; implicit-def: $vgpr11
; %bb.4188:                             ;   in Loop: Header=BB4_2911 Depth=2
	s_and_not1_saveexec_b32 s24, s24
	s_cbranch_execz .LBB4_2909
; %bb.4189:                             ;   in Loop: Header=BB4_2911 Depth=2
	v_cmp_lt_i32_e32 vcc_lo, -1, v11
	v_cndmask_b32_e32 v10, 0xfc, v110, vcc_lo
	s_branch .LBB4_2909
.LBB4_4190:                             ;   in Loop: Header=BB4_2835 Depth=1
	s_or_b32 exec_lo, exec_lo, s23
.LBB4_4191:                             ;   in Loop: Header=BB4_2835 Depth=1
	s_delay_alu instid0(SALU_CYCLE_1) | instskip(SKIP_4) | instid1(VALU_DEP_2)
	s_or_b32 exec_lo, exec_lo, s10
	v_and_b32_e32 v11, 0x3ffffc00, v111
	v_mov_b32_e32 v30, 0
	s_mov_b32 s7, 0
	s_mov_b32 s23, exec_lo
                                        ; implicit-def: $vgpr122
                                        ; implicit-def: $vgpr123
                                        ; implicit-def: $vgpr10
	v_cmpx_ne_u32_e64 v111, v11
	s_cbranch_execz .LBB4_4775
; %bb.4192:                             ;   in Loop: Header=BB4_2835 Depth=1
	v_lshlrev_b32_e32 v0, 5, v114
	v_and_b32_e32 v30, 0x1ff, v111
	v_bfe_u32 v13, v111, 9, 1
	v_and_b32_e32 v12, 0x3ff, v111
	s_mov_b32 s24, exec_lo
	v_sub_nc_u32_e32 v0, v107, v0
	v_cmp_lt_u32_e32 vcc_lo, 15, v30
	s_delay_alu instid0(VALU_DEP_2) | instskip(SKIP_1) | instid1(VALU_DEP_2)
	v_ashrrev_i32_e32 v3, 31, v0
	v_add_co_ci_u32_e64 v13, null, 0, v13, vcc_lo
	v_lshrrev_b32_e32 v3, 27, v3
	s_delay_alu instid0(VALU_DEP_1) | instskip(NEXT) | instid1(VALU_DEP_1)
	v_add_nc_u32_e32 v3, v0, v3
	v_and_b32_e32 v10, 0xffffffe0, v3
	s_delay_alu instid0(VALU_DEP_1) | instskip(NEXT) | instid1(VALU_DEP_1)
	v_dual_ashrrev_i32 v3, 5, v3 :: v_dual_sub_nc_u32 v0, v0, v10
	v_lshlrev_b32_e32 v10, 4, v0
	s_delay_alu instid0(VALU_DEP_1) | instskip(NEXT) | instid1(VALU_DEP_1)
	v_lshl_add_u32 v10, v3, 9, v10
	v_dual_sub_nc_u32 v3, v13, v3 :: v_dual_sub_nc_u32 v100, v12, v10
	s_delay_alu instid0(VALU_DEP_1)
	v_cmpx_lt_i32_e32 15, v100
	s_cbranch_execz .LBB4_4772
; %bb.4193:                             ;   in Loop: Header=BB4_2835 Depth=1
	s_trap 2
	ds_load_b64 v[12:13], v0
	v_add_nc_u32_e32 v10, v10, v11
	s_mov_b32 s25, 0
	s_delay_alu instid0(VALU_DEP_1) | instskip(NEXT) | instid1(VALU_DEP_1)
	v_ashrrev_i32_e32 v11, 31, v10
	v_add_nc_u64_e32 v[18:19], v[10:11], v[84:85]
	v_add_nc_u64_e32 v[22:23], v[10:11], v[86:87]
	s_wait_dscnt 0x0
	v_add_nc_u64_e32 v[20:21], v[12:13], v[10:11]
	s_branch .LBB4_4196
.LBB4_4194:                             ;   in Loop: Header=BB4_4196 Depth=2
	s_or_b32 exec_lo, exec_lo, s26
.LBB4_4195:                             ;   in Loop: Header=BB4_4196 Depth=2
	s_delay_alu instid0(SALU_CYCLE_1)
	s_or_b32 exec_lo, exec_lo, s10
	v_lshl_or_b32 v11, v99, 8, v98
	v_dual_lshlrev_b32 v12, 16, v96 :: v_dual_lshlrev_b32 v13, 24, v97
	v_lshl_or_b32 v15, v102, 8, v101
	v_dual_lshlrev_b32 v16, 16, v103 :: v_dual_lshlrev_b32 v17, 24, v112
	v_lshl_or_b32 v54, v114, 8, v113
	v_dual_lshlrev_b32 v96, 16, v115 :: v_dual_lshlrev_b32 v97, 24, v116
	v_dual_lshlrev_b32 v98, 24, v10 :: v_dual_sub_nc_u32 v3, v3, v52
	v_lshlrev_b32_e32 v14, 16, v14
	v_lshl_or_b32 v24, v25, 8, v24
	v_or3_b32 v11, v11, v12, v13
	v_or3_b32 v10, v15, v16, v17
	;; [unrolled: 1-line block ×3, first 2 shown]
	v_sub_nc_u32_e32 v100, v100, v70
	v_or3_b32 v13, v24, v14, v98
	v_add_nc_u64_e32 v[18:19], v[18:19], v[70:71]
	v_add_nc_u64_e32 v[20:21], v[20:21], v[70:71]
	s_delay_alu instid0(VALU_DEP_4) | instskip(SKIP_4) | instid1(SALU_CYCLE_1)
	v_cmp_gt_i32_e64 s7, 16, v100
	global_store_b128 v[22:23], v[10:13], off th:TH_STORE_NT
	s_wait_xcnt 0x0
	v_add_nc_u64_e32 v[22:23], v[22:23], v[70:71]
	s_or_b32 s25, s7, s25
	s_and_not1_b32 exec_lo, exec_lo, s25
	s_cbranch_execz .LBB4_4771
.LBB4_4196:                             ;   Parent Loop BB4_2835 Depth=1
                                        ; =>  This Inner Loop Header: Depth=2
	global_load_b128 v[14:17], v[18:19], off th:TH_LOAD_NT
	global_load_b128 v[10:13], v[20:21], off th:TH_LOAD_NT
	s_wait_loadcnt 0x1
	v_and_b32_e32 v24, 0xff, v14
	s_delay_alu instid0(VALU_DEP_1)
	v_cmp_ne_u16_e64 s7, 0, v24
	v_mov_b32_e32 v24, 0
	s_wait_xcnt 0x0
	s_and_saveexec_b32 s10, s7
	s_cbranch_execz .LBB4_4206
; %bb.4197:                             ;   in Loop: Header=BB4_4196 Depth=2
	v_bfe_i32 v54, v14, 0, 8
	v_bfrev_b32_e32 v24, 1
	s_mov_b32 s26, exec_lo
	s_delay_alu instid0(VALU_DEP_2)
	v_cmpx_ne_u16_e32 0xff80, v54
	s_cbranch_execz .LBB4_4205
; %bb.4198:                             ;   in Loop: Header=BB4_4196 Depth=2
	v_and_b32_e32 v24, 0x7c, v14
	v_and_b32_e32 v25, 3, v14
	s_delay_alu instid0(VALU_DEP_2) | instskip(SKIP_1) | instid1(SALU_CYCLE_1)
	v_cmp_ne_u32_e64 s7, 0x7c, v24
                                        ; implicit-def: $vgpr24
	s_and_saveexec_b32 s27, s7
	s_xor_b32 s27, exec_lo, s27
	s_cbranch_execz .LBB4_4202
; %bb.4199:                             ;   in Loop: Header=BB4_4196 Depth=2
	v_bfe_u32 v24, v14, 2, 5
	s_mov_b32 s28, exec_lo
	s_delay_alu instid0(VALU_DEP_1)
	v_cmpx_eq_u32_e32 0, v24
; %bb.4200:                             ;   in Loop: Header=BB4_4196 Depth=2
	v_clz_i32_u32_e32 v24, v25
	s_delay_alu instid0(VALU_DEP_1) | instskip(NEXT) | instid1(VALU_DEP_1)
	v_min_u32_e32 v24, 32, v24
	v_subrev_nc_u32_e32 v25, 29, v24
	v_sub_nc_u32_e32 v24, 30, v24
	s_delay_alu instid0(VALU_DEP_2) | instskip(NEXT) | instid1(VALU_DEP_1)
	v_lshlrev_b64_e32 v[96:97], v25, v[14:15]
	v_and_b32_e32 v25, 3, v96
; %bb.4201:                             ;   in Loop: Header=BB4_4196 Depth=2
	s_or_b32 exec_lo, exec_lo, s28
	v_lshlrev_b32_e32 v54, 24, v14
	s_delay_alu instid0(VALU_DEP_1) | instskip(NEXT) | instid1(VALU_DEP_1)
	v_and_b32_e32 v54, 0x80000000, v54
	v_lshl_add_u32 v24, v24, 23, v54
                                        ; implicit-def: $vgpr54
	s_delay_alu instid0(VALU_DEP_1) | instskip(NEXT) | instid1(VALU_DEP_1)
	v_lshl_or_b32 v24, v25, 21, v24
                                        ; implicit-def: $vgpr25
	v_add_nc_u32_e32 v24, 0x38000000, v24
.LBB4_4202:                             ;   in Loop: Header=BB4_4196 Depth=2
	s_and_not1_saveexec_b32 s27, s27
; %bb.4203:                             ;   in Loop: Header=BB4_4196 Depth=2
	v_cmp_lt_i16_e64 s7, -1, v54
	s_delay_alu instid0(VALU_DEP_1) | instskip(SKIP_1) | instid1(VALU_DEP_1)
	v_cndmask_b32_e64 v24, 0xff800000, v109, s7
	v_cmp_eq_u32_e64 s7, 0, v25
	v_cndmask_b32_e64 v24, 0x7f800001, v24, s7
; %bb.4204:                             ;   in Loop: Header=BB4_4196 Depth=2
	s_or_b32 exec_lo, exec_lo, s27
.LBB4_4205:                             ;   in Loop: Header=BB4_4196 Depth=2
	s_delay_alu instid0(SALU_CYCLE_1)
	s_or_b32 exec_lo, exec_lo, s26
.LBB4_4206:                             ;   in Loop: Header=BB4_4196 Depth=2
	s_delay_alu instid0(SALU_CYCLE_1) | instskip(SKIP_4) | instid1(VALU_DEP_1)
	s_or_b32 exec_lo, exec_lo, s10
	s_wait_loadcnt 0x0
	v_and_b32_e32 v54, 0xff, v10
	s_mov_b32 s26, 0
	s_mov_b32 s10, exec_lo
	v_cmpx_lt_i16_e32 0x7f, v54
	s_xor_b32 s10, exec_lo, s10
	s_cbranch_execz .LBB4_4747
; %bb.4207:                             ;   in Loop: Header=BB4_4196 Depth=2
	s_mov_b32 s26, -1
	s_mov_b32 s27, exec_lo
	v_cmpx_eq_u16_e32 0x80, v54
; %bb.4208:                             ;   in Loop: Header=BB4_4196 Depth=2
	s_xor_b32 s26, exec_lo, -1
; %bb.4209:                             ;   in Loop: Header=BB4_4196 Depth=2
	s_or_b32 exec_lo, exec_lo, s27
	s_delay_alu instid0(SALU_CYCLE_1)
	s_and_b32 s26, s26, exec_lo
                                        ; implicit-def: $vgpr54
	s_or_saveexec_b32 s10, s10
	v_bfrev_b32_e32 v25, 1
	s_xor_b32 exec_lo, exec_lo, s10
	s_cbranch_execnz .LBB4_4748
.LBB4_4210:                             ;   in Loop: Header=BB4_4196 Depth=2
	s_or_b32 exec_lo, exec_lo, s10
	s_and_saveexec_b32 s10, s26
	s_cbranch_execz .LBB4_4212
.LBB4_4211:                             ;   in Loop: Header=BB4_4196 Depth=2
	v_and_b32_e32 v25, 3, v10
	v_bfe_u32 v98, v10, 2, 5
	s_delay_alu instid0(VALU_DEP_2) | instskip(NEXT) | instid1(VALU_DEP_2)
	v_clz_i32_u32_e32 v54, v25
	v_cmp_eq_u32_e64 s7, 0, v98
	s_delay_alu instid0(VALU_DEP_2) | instskip(NEXT) | instid1(VALU_DEP_1)
	v_min_u32_e32 v54, 32, v54
	v_subrev_nc_u32_e32 v96, 29, v54
	s_delay_alu instid0(VALU_DEP_1) | instskip(SKIP_2) | instid1(VALU_DEP_2)
	v_lshlrev_b64_e32 v[96:97], v96, v[10:11]
	v_lshlrev_b32_e32 v97, 24, v10
	v_sub_nc_u32_e32 v54, 30, v54
	v_and_b32_e32 v97, 0x80000000, v97
	s_delay_alu instid0(VALU_DEP_2) | instskip(SKIP_1) | instid1(VALU_DEP_2)
	v_dual_cndmask_b32 v54, v98, v54, s7 :: v_dual_bitop2_b32 v96, 3, v96 bitop3:0x40
	v_bfe_i32 v98, v10, 0, 8
	v_cndmask_b32_e64 v96, v25, v96, s7
	s_delay_alu instid0(VALU_DEP_3) | instskip(NEXT) | instid1(VALU_DEP_3)
	v_lshl_add_u32 v54, v54, 23, v97
	v_cmp_lt_i16_e64 s7, -1, v98
	s_delay_alu instid0(VALU_DEP_2) | instskip(NEXT) | instid1(VALU_DEP_2)
	v_lshl_or_b32 v54, v96, 21, v54
	v_cndmask_b32_e64 v97, 0xff800000, v109, s7
	v_and_b32_e32 v96, 0x7c, v10
	v_cmp_eq_u32_e64 s7, 0, v25
	s_delay_alu instid0(VALU_DEP_4) | instskip(NEXT) | instid1(VALU_DEP_2)
	v_add_nc_u32_e32 v54, 0x38000000, v54
	v_cndmask_b32_e64 v25, 0x7f800001, v97, s7
	s_delay_alu instid0(VALU_DEP_4) | instskip(NEXT) | instid1(VALU_DEP_1)
	v_cmp_eq_u32_e64 s7, 0x7c, v96
	v_cndmask_b32_e64 v25, v54, v25, s7
.LBB4_4212:                             ;   in Loop: Header=BB4_4196 Depth=2
	s_or_b32 exec_lo, exec_lo, s10
	s_delay_alu instid0(VALU_DEP_1) | instskip(SKIP_1) | instid1(VALU_DEP_1)
	v_dual_mul_f32 v24, v24, v25 :: v_dual_mov_b32 v97, v55
                                        ; implicit-def: $vgpr101
	s_mov_b32 s10, exec_lo
	v_and_b32_e32 v96, 0x7f800000, v24
	v_and_b32_e32 v54, 0x7fffff, v24
	v_lshrrev_b32_e32 v25, 24, v24
	s_delay_alu instid0(VALU_DEP_3)
	v_cmpx_ne_u64_e32 0x7f800000, v[96:97]
	s_xor_b32 s26, exec_lo, s10
	s_cbranch_execz .LBB4_4226
; %bb.4213:                             ;   in Loop: Header=BB4_4196 Depth=2
	v_and_b32_e32 v96, 0x7fffffff, v24
	v_mov_b32_e32 v97, v55
	v_and_b32_e32 v98, 0x80, v25
                                        ; implicit-def: $vgpr101
	s_mov_b32 s10, exec_lo
	s_delay_alu instid0(VALU_DEP_2)
	v_cmpx_gt_u64_e32 0x47600001, v[96:97]
	s_xor_b32 s27, exec_lo, s10
	s_cbranch_execz .LBB4_4223
; %bb.4214:                             ;   in Loop: Header=BB4_4196 Depth=2
	v_mov_b32_e32 v101, 0
	s_mov_b32 s28, exec_lo
	v_cmpx_ne_u32_e32 0, v24
	s_cbranch_execz .LBB4_4222
; %bb.4215:                             ;   in Loop: Header=BB4_4196 Depth=2
	v_bfe_u32 v99, v24, 23, 8
	v_or_b32_e32 v96, 0x800000, v54
	s_delay_alu instid0(VALU_DEP_2) | instskip(SKIP_1) | instid1(VALU_DEP_1)
	v_sub_nc_u32_e32 v24, 0x71, v99
	v_cmp_gt_u32_e64 s7, 0x72, v99
	v_cndmask_b32_e64 v24, 0, v24, s7
	v_cmp_eq_u32_e64 s7, 0, v99
	s_delay_alu instid0(VALU_DEP_1) | instskip(NEXT) | instid1(VALU_DEP_1)
	v_cndmask_b32_e64 v101, v24, 0x70, s7
	v_dual_cndmask_b32 v54, v96, v54, s7 :: v_dual_add_nc_u32 v24, 21, v101
	v_add_nc_u32_e32 v97, 20, v101
	s_delay_alu instid0(VALU_DEP_2) | instskip(NEXT) | instid1(VALU_DEP_2)
	v_lshlrev_b64_e64 v[24:25], v24, -1
	v_lshlrev_b64_e64 v[96:97], v97, 1
	s_delay_alu instid0(VALU_DEP_2) | instskip(NEXT) | instid1(VALU_DEP_3)
	v_bfi_b32 v103, v25, 0, 0
	v_bfi_b32 v102, v24, 0, v54
	v_lshrrev_b64 v[24:25], v101, v[54:55]
	s_delay_alu instid0(VALU_DEP_2) | instskip(NEXT) | instid1(VALU_DEP_2)
	v_cmp_eq_u64_e64 s10, v[102:103], v[96:97]
	v_mov_b64_e32 v[96:97], v[24:25]
	s_and_saveexec_b32 s29, s10
; %bb.4216:                             ;   in Loop: Header=BB4_4196 Depth=2
	v_bfe_u32 v54, v24, 21, 1
	s_delay_alu instid0(VALU_DEP_1) | instskip(NEXT) | instid1(VALU_DEP_1)
	v_add_nc_u64_e32 v[96:97], v[24:25], v[54:55]
	v_add_nc_u64_e32 v[96:97], -1, v[96:97]
; %bb.4217:                             ;   in Loop: Header=BB4_4196 Depth=2
	s_or_b32 exec_lo, exec_lo, s29
	v_add_nc_u32_e32 v25, 0xffffff81, v99
	v_lshrrev_b32_e32 v54, 23, v24
	s_mov_b32 s10, exec_lo
	s_delay_alu instid0(VALU_DEP_2) | instskip(NEXT) | instid1(VALU_DEP_1)
	v_cndmask_b32_e64 v25, v25, 0xffffff82, s7
	v_add3_u32 v97, v101, v25, v54
	v_and_b32_e32 v25, 0x1fffff, v96
                                        ; implicit-def: $vgpr96
	s_delay_alu instid0(VALU_DEP_1) | instskip(NEXT) | instid1(VALU_DEP_1)
	v_dual_add_nc_u32 v99, 14, v97 :: v_dual_add_nc_u32 v54, v25, v24
                                        ; implicit-def: $vgpr24_vgpr25
	v_cmpx_ne_u32_e32 0, v99
	s_xor_b32 s10, exec_lo, s10
; %bb.4218:                             ;   in Loop: Header=BB4_4196 Depth=2
	s_delay_alu instid0(VALU_DEP_2) | instskip(SKIP_1) | instid1(VALU_DEP_1)
	v_cmp_lt_u64_e64 s7, 0xffffff, v[54:55]
	v_add_nc_u32_e32 v24, 15, v97
	v_cndmask_b32_e64 v96, v99, v24, s7
	v_cndmask_b32_e64 v24, 0, 1, s7
	s_delay_alu instid0(VALU_DEP_1)
	v_lshrrev_b64 v[24:25], v24, v[54:55]
; %bb.4219:                             ;   in Loop: Header=BB4_4196 Depth=2
	s_and_not1_saveexec_b32 s7, s10
; %bb.4220:                             ;   in Loop: Header=BB4_4196 Depth=2
	v_mov_b64_e32 v[24:25], v[54:55]
	v_bfe_u32 v96, v54, 23, 1
; %bb.4221:                             ;   in Loop: Header=BB4_4196 Depth=2
	s_or_b32 exec_lo, exec_lo, s7
	s_delay_alu instid0(VALU_DEP_2) | instskip(NEXT) | instid1(VALU_DEP_2)
	v_lshrrev_b64 v[24:25], 21, v[24:25]
	v_cmp_gt_i32_e64 s7, 32, v96
	v_min_i32_e32 v54, 31, v96
	v_cmp_eq_u32_e64 s10, 0, v96
	s_delay_alu instid0(VALU_DEP_2) | instskip(SKIP_1) | instid1(VALU_DEP_2)
	v_dual_cndmask_b32 v25, 0, v25, s7 :: v_dual_lshlrev_b32 v54, 2, v54
	v_cndmask_b32_e64 v24, 3, v24, s7
	v_and_b32_e32 v54, 0xfc, v54
	s_delay_alu instid0(VALU_DEP_2) | instskip(NEXT) | instid1(VALU_DEP_2)
	v_cmp_eq_u64_e64 s7, 0, v[24:25]
	v_and_or_b32 v24, v24, 3, v54
	s_and_b32 s7, s10, s7
	s_delay_alu instid0(VALU_DEP_1) | instid1(SALU_CYCLE_1)
	v_cndmask_b32_e64 v24, v24, 0, s7
	s_delay_alu instid0(VALU_DEP_1)
	v_or_b32_e32 v101, v24, v98
.LBB4_4222:                             ;   in Loop: Header=BB4_4196 Depth=2
	s_or_b32 exec_lo, exec_lo, s28
                                        ; implicit-def: $vgpr98
.LBB4_4223:                             ;   in Loop: Header=BB4_4196 Depth=2
	s_and_not1_saveexec_b32 s7, s27
; %bb.4224:                             ;   in Loop: Header=BB4_4196 Depth=2
	v_or_b32_e32 v101, 0x7b, v98
; %bb.4225:                             ;   in Loop: Header=BB4_4196 Depth=2
	s_or_b32 exec_lo, exec_lo, s7
                                        ; implicit-def: $vgpr24
                                        ; implicit-def: $vgpr25
.LBB4_4226:                             ;   in Loop: Header=BB4_4196 Depth=2
	s_and_not1_saveexec_b32 s10, s26
	s_cbranch_execz .LBB4_4232
; %bb.4227:                             ;   in Loop: Header=BB4_4196 Depth=2
	v_cmp_ne_u64_e64 s7, 0, v[54:55]
                                        ; implicit-def: $vgpr101
	s_and_saveexec_b32 s26, s7
	s_delay_alu instid0(SALU_CYCLE_1)
	s_xor_b32 s7, exec_lo, s26
; %bb.4228:                             ;   in Loop: Header=BB4_4196 Depth=2
	v_or_b32_e32 v101, 0x7f, v25
                                        ; implicit-def: $vgpr24
; %bb.4229:                             ;   in Loop: Header=BB4_4196 Depth=2
	s_and_not1_saveexec_b32 s26, s7
; %bb.4230:                             ;   in Loop: Header=BB4_4196 Depth=2
	v_cmp_lt_i32_e64 s7, -1, v24
	s_delay_alu instid0(VALU_DEP_1)
	v_cndmask_b32_e64 v101, 0xfc, v110, s7
; %bb.4231:                             ;   in Loop: Header=BB4_4196 Depth=2
	s_or_b32 exec_lo, exec_lo, s26
.LBB4_4232:                             ;   in Loop: Header=BB4_4196 Depth=2
	s_delay_alu instid0(SALU_CYCLE_1) | instskip(SKIP_3) | instid1(VALU_DEP_2)
	s_or_b32 exec_lo, exec_lo, s10
	v_lshrrev_b16 v54, 8, v14
	v_mov_b32_e32 v24, 0
	s_mov_b32 s10, exec_lo
	v_cmpx_ne_u16_e32 0, v54
	s_cbranch_execz .LBB4_4242
; %bb.4233:                             ;   in Loop: Header=BB4_4196 Depth=2
	v_bfrev_b32_e32 v24, 1
	s_mov_b32 s26, exec_lo
	v_cmpx_ne_u16_e32 0x80, v54
	s_cbranch_execz .LBB4_4241
; %bb.4234:                             ;   in Loop: Header=BB4_4196 Depth=2
	v_and_b32_e32 v96, 0xffff, v54
	s_delay_alu instid0(VALU_DEP_1) | instskip(SKIP_1) | instid1(VALU_DEP_2)
	v_and_b32_e32 v24, 0x7c, v96
	v_and_b32_e32 v25, 3, v96
	v_cmp_ne_u32_e64 s7, 0x7c, v24
                                        ; implicit-def: $vgpr24
	s_and_saveexec_b32 s27, s7
	s_delay_alu instid0(SALU_CYCLE_1)
	s_xor_b32 s27, exec_lo, s27
	s_cbranch_execz .LBB4_4238
; %bb.4235:                             ;   in Loop: Header=BB4_4196 Depth=2
	v_bfe_u32 v24, v96, 2, 5
	s_mov_b32 s28, exec_lo
	s_delay_alu instid0(VALU_DEP_1)
	v_cmpx_eq_u32_e32 0, v24
; %bb.4236:                             ;   in Loop: Header=BB4_4196 Depth=2
	v_clz_i32_u32_e32 v24, v25
	s_delay_alu instid0(VALU_DEP_1) | instskip(NEXT) | instid1(VALU_DEP_1)
	v_min_u32_e32 v24, 32, v24
	v_subrev_nc_u32_e32 v25, 29, v24
	v_sub_nc_u32_e32 v24, 30, v24
	s_delay_alu instid0(VALU_DEP_2) | instskip(NEXT) | instid1(VALU_DEP_1)
	v_lshlrev_b64_e32 v[96:97], v25, v[54:55]
	v_and_b32_e32 v25, 3, v96
; %bb.4237:                             ;   in Loop: Header=BB4_4196 Depth=2
	s_or_b32 exec_lo, exec_lo, s28
	v_lshlrev_b32_e32 v54, 16, v14
	s_delay_alu instid0(VALU_DEP_1) | instskip(NEXT) | instid1(VALU_DEP_1)
	v_and_b32_e32 v54, 0x80000000, v54
	v_lshl_add_u32 v24, v24, 23, v54
	s_delay_alu instid0(VALU_DEP_1) | instskip(NEXT) | instid1(VALU_DEP_1)
	v_lshl_or_b32 v24, v25, 21, v24
                                        ; implicit-def: $vgpr25
	v_add_nc_u32_e32 v24, 0x38000000, v24
.LBB4_4238:                             ;   in Loop: Header=BB4_4196 Depth=2
	s_and_not1_saveexec_b32 s27, s27
; %bb.4239:                             ;   in Loop: Header=BB4_4196 Depth=2
	v_cmp_lt_i16_e64 s7, -1, v14
	s_delay_alu instid0(VALU_DEP_1) | instskip(SKIP_1) | instid1(VALU_DEP_1)
	v_cndmask_b32_e64 v24, 0xff800000, v109, s7
	v_cmp_eq_u32_e64 s7, 0, v25
	v_cndmask_b32_e64 v24, 0x7f800001, v24, s7
; %bb.4240:                             ;   in Loop: Header=BB4_4196 Depth=2
	s_or_b32 exec_lo, exec_lo, s27
.LBB4_4241:                             ;   in Loop: Header=BB4_4196 Depth=2
	s_delay_alu instid0(SALU_CYCLE_1)
	s_or_b32 exec_lo, exec_lo, s26
.LBB4_4242:                             ;   in Loop: Header=BB4_4196 Depth=2
	s_delay_alu instid0(SALU_CYCLE_1) | instskip(SKIP_3) | instid1(VALU_DEP_1)
	s_or_b32 exec_lo, exec_lo, s10
	v_lshrrev_b16 v54, 8, v10
	s_mov_b32 s26, 0
	s_mov_b32 s10, exec_lo
	v_cmpx_lt_i16_e32 0x7f, v54
	s_xor_b32 s10, exec_lo, s10
	s_cbranch_execz .LBB4_4749
; %bb.4243:                             ;   in Loop: Header=BB4_4196 Depth=2
	s_mov_b32 s26, -1
	s_mov_b32 s27, exec_lo
	v_cmpx_eq_u16_e32 0x80, v54
; %bb.4244:                             ;   in Loop: Header=BB4_4196 Depth=2
	s_xor_b32 s26, exec_lo, -1
; %bb.4245:                             ;   in Loop: Header=BB4_4196 Depth=2
	s_or_b32 exec_lo, exec_lo, s27
	s_delay_alu instid0(SALU_CYCLE_1)
	s_and_b32 s26, s26, exec_lo
	s_or_saveexec_b32 s10, s10
	v_bfrev_b32_e32 v25, 1
	s_xor_b32 exec_lo, exec_lo, s10
	s_cbranch_execnz .LBB4_4750
.LBB4_4246:                             ;   in Loop: Header=BB4_4196 Depth=2
	s_or_b32 exec_lo, exec_lo, s10
	s_and_saveexec_b32 s10, s26
	s_cbranch_execz .LBB4_4248
.LBB4_4247:                             ;   in Loop: Header=BB4_4196 Depth=2
	v_and_b32_e32 v25, 0xffff, v54
	s_delay_alu instid0(VALU_DEP_1) | instskip(NEXT) | instid1(VALU_DEP_1)
	v_and_b32_e32 v98, 3, v25
	v_clz_i32_u32_e32 v96, v98
	s_delay_alu instid0(VALU_DEP_1) | instskip(NEXT) | instid1(VALU_DEP_1)
	v_min_u32_e32 v99, 32, v96
	v_subrev_nc_u32_e32 v96, 29, v99
	s_delay_alu instid0(VALU_DEP_1) | instskip(SKIP_3) | instid1(VALU_DEP_3)
	v_lshlrev_b64_e32 v[96:97], v96, v[54:55]
	v_bfe_u32 v97, v25, 2, 5
	v_dual_lshlrev_b32 v54, 24, v54 :: v_dual_sub_nc_u32 v99, 30, v99
	v_and_b32_e32 v25, 0x7c, v25
	v_cmp_eq_u32_e64 s7, 0, v97
	s_delay_alu instid0(VALU_DEP_3) | instskip(NEXT) | instid1(VALU_DEP_2)
	v_and_b32_e32 v54, 0x80000000, v54
	v_dual_cndmask_b32 v97, v97, v99, s7 :: v_dual_bitop2_b32 v96, 3, v96 bitop3:0x40
	s_delay_alu instid0(VALU_DEP_1) | instskip(SKIP_1) | instid1(VALU_DEP_3)
	v_cndmask_b32_e64 v96, v98, v96, s7
	v_cmp_lt_i16_e64 s7, -1, v10
	v_lshl_add_u32 v54, v97, 23, v54
	s_delay_alu instid0(VALU_DEP_2) | instskip(SKIP_1) | instid1(VALU_DEP_3)
	v_cndmask_b32_e64 v97, 0xff800000, v109, s7
	v_cmp_eq_u32_e64 s7, 0, v98
	v_lshl_or_b32 v54, v96, 21, v54
	s_delay_alu instid0(VALU_DEP_2) | instskip(NEXT) | instid1(VALU_DEP_2)
	v_cndmask_b32_e64 v96, 0x7f800001, v97, s7
	v_add_nc_u32_e32 v54, 0x38000000, v54
	v_cmp_eq_u32_e64 s7, 0x7c, v25
	s_delay_alu instid0(VALU_DEP_1)
	v_cndmask_b32_e64 v25, v54, v96, s7
.LBB4_4248:                             ;   in Loop: Header=BB4_4196 Depth=2
	s_or_b32 exec_lo, exec_lo, s10
	s_delay_alu instid0(VALU_DEP_1) | instskip(SKIP_1) | instid1(VALU_DEP_1)
	v_dual_mul_f32 v24, v24, v25 :: v_dual_mov_b32 v97, v55
                                        ; implicit-def: $vgpr102
	s_mov_b32 s10, exec_lo
	v_and_b32_e32 v96, 0x7f800000, v24
	v_and_b32_e32 v54, 0x7fffff, v24
	v_lshrrev_b32_e32 v25, 24, v24
	s_delay_alu instid0(VALU_DEP_3)
	v_cmpx_ne_u64_e32 0x7f800000, v[96:97]
	s_xor_b32 s26, exec_lo, s10
	s_cbranch_execz .LBB4_4262
; %bb.4249:                             ;   in Loop: Header=BB4_4196 Depth=2
	v_and_b32_e32 v96, 0x7fffffff, v24
	v_mov_b32_e32 v97, v55
	v_and_b32_e32 v98, 0x80, v25
                                        ; implicit-def: $vgpr102
	s_mov_b32 s10, exec_lo
	s_delay_alu instid0(VALU_DEP_2)
	v_cmpx_gt_u64_e32 0x47600001, v[96:97]
	s_xor_b32 s27, exec_lo, s10
	s_cbranch_execz .LBB4_4259
; %bb.4250:                             ;   in Loop: Header=BB4_4196 Depth=2
	v_mov_b32_e32 v102, 0
	s_mov_b32 s28, exec_lo
	v_cmpx_ne_u32_e32 0, v24
	s_cbranch_execz .LBB4_4258
; %bb.4251:                             ;   in Loop: Header=BB4_4196 Depth=2
	v_bfe_u32 v99, v24, 23, 8
	v_or_b32_e32 v96, 0x800000, v54
	s_delay_alu instid0(VALU_DEP_2) | instskip(SKIP_1) | instid1(VALU_DEP_1)
	v_sub_nc_u32_e32 v24, 0x71, v99
	v_cmp_gt_u32_e64 s7, 0x72, v99
	v_cndmask_b32_e64 v24, 0, v24, s7
	v_cmp_eq_u32_e64 s7, 0, v99
	s_delay_alu instid0(VALU_DEP_1) | instskip(SKIP_1) | instid1(VALU_DEP_2)
	v_cndmask_b32_e64 v102, v24, 0x70, s7
	v_cndmask_b32_e64 v54, v96, v54, s7
	v_dual_add_nc_u32 v24, 21, v102 :: v_dual_add_nc_u32 v97, 20, v102
	s_delay_alu instid0(VALU_DEP_1) | instskip(NEXT) | instid1(VALU_DEP_2)
	v_lshlrev_b64_e64 v[24:25], v24, -1
	v_lshlrev_b64_e64 v[96:97], v97, 1
	s_delay_alu instid0(VALU_DEP_2) | instskip(NEXT) | instid1(VALU_DEP_3)
	v_bfi_b32 v113, v25, 0, 0
	v_bfi_b32 v112, v24, 0, v54
	v_lshrrev_b64 v[24:25], v102, v[54:55]
	s_delay_alu instid0(VALU_DEP_2) | instskip(NEXT) | instid1(VALU_DEP_2)
	v_cmp_eq_u64_e64 s10, v[112:113], v[96:97]
	v_mov_b64_e32 v[96:97], v[24:25]
	s_and_saveexec_b32 s29, s10
; %bb.4252:                             ;   in Loop: Header=BB4_4196 Depth=2
	v_bfe_u32 v54, v24, 21, 1
	s_delay_alu instid0(VALU_DEP_1) | instskip(NEXT) | instid1(VALU_DEP_1)
	v_add_nc_u64_e32 v[96:97], v[24:25], v[54:55]
	v_add_nc_u64_e32 v[96:97], -1, v[96:97]
; %bb.4253:                             ;   in Loop: Header=BB4_4196 Depth=2
	s_or_b32 exec_lo, exec_lo, s29
	v_add_nc_u32_e32 v25, 0xffffff81, v99
	v_lshrrev_b32_e32 v54, 23, v24
	s_mov_b32 s10, exec_lo
	s_delay_alu instid0(VALU_DEP_2) | instskip(NEXT) | instid1(VALU_DEP_1)
	v_cndmask_b32_e64 v25, v25, 0xffffff82, s7
	v_add3_u32 v97, v102, v25, v54
	v_and_b32_e32 v25, 0x1fffff, v96
                                        ; implicit-def: $vgpr96
	s_delay_alu instid0(VALU_DEP_1) | instskip(NEXT) | instid1(VALU_DEP_1)
	v_dual_add_nc_u32 v99, 14, v97 :: v_dual_add_nc_u32 v54, v25, v24
                                        ; implicit-def: $vgpr24_vgpr25
	v_cmpx_ne_u32_e32 0, v99
	s_xor_b32 s10, exec_lo, s10
; %bb.4254:                             ;   in Loop: Header=BB4_4196 Depth=2
	s_delay_alu instid0(VALU_DEP_2) | instskip(SKIP_1) | instid1(VALU_DEP_1)
	v_cmp_lt_u64_e64 s7, 0xffffff, v[54:55]
	v_add_nc_u32_e32 v24, 15, v97
	v_cndmask_b32_e64 v96, v99, v24, s7
	v_cndmask_b32_e64 v24, 0, 1, s7
	s_delay_alu instid0(VALU_DEP_1)
	v_lshrrev_b64 v[24:25], v24, v[54:55]
; %bb.4255:                             ;   in Loop: Header=BB4_4196 Depth=2
	s_and_not1_saveexec_b32 s7, s10
; %bb.4256:                             ;   in Loop: Header=BB4_4196 Depth=2
	v_mov_b64_e32 v[24:25], v[54:55]
	v_bfe_u32 v96, v54, 23, 1
; %bb.4257:                             ;   in Loop: Header=BB4_4196 Depth=2
	s_or_b32 exec_lo, exec_lo, s7
	s_delay_alu instid0(VALU_DEP_2) | instskip(NEXT) | instid1(VALU_DEP_2)
	v_lshrrev_b64 v[24:25], 21, v[24:25]
	v_cmp_gt_i32_e64 s7, 32, v96
	v_min_i32_e32 v54, 31, v96
	v_cmp_eq_u32_e64 s10, 0, v96
	s_delay_alu instid0(VALU_DEP_2) | instskip(SKIP_1) | instid1(VALU_DEP_2)
	v_dual_cndmask_b32 v25, 0, v25, s7 :: v_dual_lshlrev_b32 v54, 2, v54
	v_cndmask_b32_e64 v24, 3, v24, s7
	v_and_b32_e32 v54, 0xfc, v54
	s_delay_alu instid0(VALU_DEP_2) | instskip(NEXT) | instid1(VALU_DEP_2)
	v_cmp_eq_u64_e64 s7, 0, v[24:25]
	v_and_or_b32 v24, v24, 3, v54
	s_and_b32 s7, s10, s7
	s_delay_alu instid0(VALU_DEP_1) | instid1(SALU_CYCLE_1)
	v_cndmask_b32_e64 v24, v24, 0, s7
	s_delay_alu instid0(VALU_DEP_1)
	v_or_b32_e32 v102, v24, v98
.LBB4_4258:                             ;   in Loop: Header=BB4_4196 Depth=2
	s_or_b32 exec_lo, exec_lo, s28
                                        ; implicit-def: $vgpr98
.LBB4_4259:                             ;   in Loop: Header=BB4_4196 Depth=2
	s_and_not1_saveexec_b32 s7, s27
; %bb.4260:                             ;   in Loop: Header=BB4_4196 Depth=2
	v_or_b32_e32 v102, 0x7b, v98
; %bb.4261:                             ;   in Loop: Header=BB4_4196 Depth=2
	s_or_b32 exec_lo, exec_lo, s7
                                        ; implicit-def: $vgpr24
                                        ; implicit-def: $vgpr25
.LBB4_4262:                             ;   in Loop: Header=BB4_4196 Depth=2
	s_and_not1_saveexec_b32 s10, s26
	s_cbranch_execz .LBB4_4268
; %bb.4263:                             ;   in Loop: Header=BB4_4196 Depth=2
	v_cmp_ne_u64_e64 s7, 0, v[54:55]
                                        ; implicit-def: $vgpr102
	s_and_saveexec_b32 s26, s7
	s_delay_alu instid0(SALU_CYCLE_1)
	s_xor_b32 s7, exec_lo, s26
; %bb.4264:                             ;   in Loop: Header=BB4_4196 Depth=2
	v_or_b32_e32 v102, 0x7f, v25
                                        ; implicit-def: $vgpr24
; %bb.4265:                             ;   in Loop: Header=BB4_4196 Depth=2
	s_and_not1_saveexec_b32 s26, s7
; %bb.4266:                             ;   in Loop: Header=BB4_4196 Depth=2
	v_cmp_lt_i32_e64 s7, -1, v24
	s_delay_alu instid0(VALU_DEP_1)
	v_cndmask_b32_e64 v102, 0xfc, v110, s7
; %bb.4267:                             ;   in Loop: Header=BB4_4196 Depth=2
	s_or_b32 exec_lo, exec_lo, s26
.LBB4_4268:                             ;   in Loop: Header=BB4_4196 Depth=2
	s_delay_alu instid0(SALU_CYCLE_1) | instskip(SKIP_2) | instid1(VALU_DEP_1)
	s_or_b32 exec_lo, exec_lo, s10
	v_dual_mov_b32 v25, 0 :: v_dual_lshrrev_b32 v24, 16, v14
	s_mov_b32 s10, exec_lo
	v_and_b32_e32 v54, 0xff, v24
	s_delay_alu instid0(VALU_DEP_1)
	v_cmpx_ne_u16_e32 0, v54
	s_cbranch_execz .LBB4_4278
; %bb.4269:                             ;   in Loop: Header=BB4_4196 Depth=2
	v_bfrev_b32_e32 v25, 1
	s_mov_b32 s26, exec_lo
	v_cmpx_ne_u16_e32 0x80, v54
	s_cbranch_execz .LBB4_4277
; %bb.4270:                             ;   in Loop: Header=BB4_4196 Depth=2
	v_and_b32_e32 v25, 0x7c0000, v14
	v_bfe_u32 v54, v14, 16, 2
	s_delay_alu instid0(VALU_DEP_2) | instskip(SKIP_1) | instid1(SALU_CYCLE_1)
	v_cmp_ne_u32_e64 s7, 0x7c0000, v25
                                        ; implicit-def: $vgpr25
	s_and_saveexec_b32 s27, s7
	s_xor_b32 s27, exec_lo, s27
	s_cbranch_execz .LBB4_4274
; %bb.4271:                             ;   in Loop: Header=BB4_4196 Depth=2
	v_bfe_u32 v25, v14, 18, 5
	s_mov_b32 s28, exec_lo
	s_delay_alu instid0(VALU_DEP_1)
	v_cmpx_eq_u32_e32 0, v25
; %bb.4272:                             ;   in Loop: Header=BB4_4196 Depth=2
	v_clz_i32_u32_e32 v25, v54
	s_delay_alu instid0(VALU_DEP_1) | instskip(NEXT) | instid1(VALU_DEP_1)
	v_min_u32_e32 v25, 32, v25
	v_subrev_nc_u32_e32 v54, 29, v25
	s_delay_alu instid0(VALU_DEP_1) | instskip(NEXT) | instid1(VALU_DEP_1)
	v_lshlrev_b64_e32 v[96:97], v54, v[24:25]
	v_dual_sub_nc_u32 v25, 30, v25 :: v_dual_bitop2_b32 v54, 3, v96 bitop3:0x40
; %bb.4273:                             ;   in Loop: Header=BB4_4196 Depth=2
	s_or_b32 exec_lo, exec_lo, s28
	v_lshlrev_b32_e32 v24, 24, v24
	s_delay_alu instid0(VALU_DEP_1) | instskip(NEXT) | instid1(VALU_DEP_1)
	v_and_b32_e32 v24, 0x80000000, v24
	v_lshl_add_u32 v24, v25, 23, v24
	s_delay_alu instid0(VALU_DEP_1) | instskip(NEXT) | instid1(VALU_DEP_1)
	v_lshl_or_b32 v24, v54, 21, v24
                                        ; implicit-def: $vgpr54
	v_add_nc_u32_e32 v25, 0x38000000, v24
                                        ; implicit-def: $vgpr24
.LBB4_4274:                             ;   in Loop: Header=BB4_4196 Depth=2
	s_and_not1_saveexec_b32 s27, s27
; %bb.4275:                             ;   in Loop: Header=BB4_4196 Depth=2
	v_bfe_i32 v24, v24, 0, 8
	s_delay_alu instid0(VALU_DEP_1) | instskip(NEXT) | instid1(VALU_DEP_1)
	v_cmp_lt_i16_e64 s7, -1, v24
	v_cndmask_b32_e64 v24, 0xff800000, v109, s7
	v_cmp_eq_u32_e64 s7, 0, v54
	s_delay_alu instid0(VALU_DEP_1)
	v_cndmask_b32_e64 v25, 0x7f800001, v24, s7
; %bb.4276:                             ;   in Loop: Header=BB4_4196 Depth=2
	s_or_b32 exec_lo, exec_lo, s27
.LBB4_4277:                             ;   in Loop: Header=BB4_4196 Depth=2
	s_delay_alu instid0(SALU_CYCLE_1)
	s_or_b32 exec_lo, exec_lo, s26
.LBB4_4278:                             ;   in Loop: Header=BB4_4196 Depth=2
	s_delay_alu instid0(SALU_CYCLE_1) | instskip(SKIP_3) | instid1(VALU_DEP_1)
	s_or_b32 exec_lo, exec_lo, s10
	v_lshrrev_b32_e32 v24, 16, v10
	s_mov_b32 s26, 0
	s_mov_b32 s10, exec_lo
	v_and_b32_e32 v96, 0xff, v24
	s_delay_alu instid0(VALU_DEP_1)
	v_cmpx_lt_i16_e32 0x7f, v96
	s_xor_b32 s10, exec_lo, s10
	s_cbranch_execz .LBB4_4751
; %bb.4279:                             ;   in Loop: Header=BB4_4196 Depth=2
	s_mov_b32 s26, -1
	s_mov_b32 s27, exec_lo
	v_cmpx_eq_u16_e32 0x80, v96
; %bb.4280:                             ;   in Loop: Header=BB4_4196 Depth=2
	s_xor_b32 s26, exec_lo, -1
; %bb.4281:                             ;   in Loop: Header=BB4_4196 Depth=2
	s_or_b32 exec_lo, exec_lo, s27
	s_delay_alu instid0(SALU_CYCLE_1)
	s_and_b32 s26, s26, exec_lo
                                        ; implicit-def: $vgpr96
	s_or_saveexec_b32 s10, s10
	v_bfrev_b32_e32 v54, 1
	s_xor_b32 exec_lo, exec_lo, s10
	s_cbranch_execnz .LBB4_4752
.LBB4_4282:                             ;   in Loop: Header=BB4_4196 Depth=2
	s_or_b32 exec_lo, exec_lo, s10
	s_and_saveexec_b32 s10, s26
	s_cbranch_execz .LBB4_4284
.LBB4_4283:                             ;   in Loop: Header=BB4_4196 Depth=2
	v_and_b32_e32 v54, 3, v24
	v_bfe_u32 v99, v10, 18, 5
	s_delay_alu instid0(VALU_DEP_2) | instskip(NEXT) | instid1(VALU_DEP_2)
	v_clz_i32_u32_e32 v96, v54
	v_cmp_eq_u32_e64 s7, 0, v99
	s_delay_alu instid0(VALU_DEP_2) | instskip(NEXT) | instid1(VALU_DEP_1)
	v_min_u32_e32 v98, 32, v96
	v_subrev_nc_u32_e32 v96, 29, v98
	s_delay_alu instid0(VALU_DEP_1) | instskip(SKIP_2) | instid1(VALU_DEP_2)
	v_lshlrev_b64_e32 v[96:97], v96, v[24:25]
	v_dual_lshlrev_b32 v97, 24, v24 :: v_dual_sub_nc_u32 v98, 30, v98
	v_bfe_i32 v24, v24, 0, 8
	v_and_b32_e32 v97, 0x80000000, v97
	s_delay_alu instid0(VALU_DEP_3) | instskip(NEXT) | instid1(VALU_DEP_1)
	v_dual_cndmask_b32 v98, v99, v98, s7 :: v_dual_bitop2_b32 v96, 3, v96 bitop3:0x40
	v_cndmask_b32_e64 v96, v54, v96, s7
	s_delay_alu instid0(VALU_DEP_2) | instskip(SKIP_1) | instid1(VALU_DEP_2)
	v_lshl_add_u32 v97, v98, 23, v97
	v_cmp_lt_i16_e64 s7, -1, v24
	v_lshl_or_b32 v96, v96, 21, v97
	s_delay_alu instid0(VALU_DEP_2) | instskip(SKIP_2) | instid1(VALU_DEP_4)
	v_cndmask_b32_e64 v24, 0xff800000, v109, s7
	v_and_b32_e32 v97, 0x7c0000, v10
	v_cmp_eq_u32_e64 s7, 0, v54
	v_add_nc_u32_e32 v54, 0x38000000, v96
	s_delay_alu instid0(VALU_DEP_2) | instskip(NEXT) | instid1(VALU_DEP_4)
	v_cndmask_b32_e64 v24, 0x7f800001, v24, s7
	v_cmp_eq_u32_e64 s7, 0x7c0000, v97
	s_delay_alu instid0(VALU_DEP_1)
	v_cndmask_b32_e64 v54, v54, v24, s7
.LBB4_4284:                             ;   in Loop: Header=BB4_4196 Depth=2
	s_or_b32 exec_lo, exec_lo, s10
	s_delay_alu instid0(VALU_DEP_1) | instskip(SKIP_1) | instid1(VALU_DEP_1)
	v_dual_mul_f32 v24, v25, v54 :: v_dual_mov_b32 v97, v55
                                        ; implicit-def: $vgpr103
	s_mov_b32 s10, exec_lo
	v_and_b32_e32 v96, 0x7f800000, v24
	v_and_b32_e32 v54, 0x7fffff, v24
	v_lshrrev_b32_e32 v25, 24, v24
	s_delay_alu instid0(VALU_DEP_3)
	v_cmpx_ne_u64_e32 0x7f800000, v[96:97]
	s_xor_b32 s26, exec_lo, s10
	s_cbranch_execz .LBB4_4298
; %bb.4285:                             ;   in Loop: Header=BB4_4196 Depth=2
	v_and_b32_e32 v96, 0x7fffffff, v24
	v_mov_b32_e32 v97, v55
	v_and_b32_e32 v98, 0x80, v25
                                        ; implicit-def: $vgpr103
	s_mov_b32 s10, exec_lo
	s_delay_alu instid0(VALU_DEP_2)
	v_cmpx_gt_u64_e32 0x47600001, v[96:97]
	s_xor_b32 s27, exec_lo, s10
	s_cbranch_execz .LBB4_4295
; %bb.4286:                             ;   in Loop: Header=BB4_4196 Depth=2
	v_mov_b32_e32 v103, 0
	s_mov_b32 s28, exec_lo
	v_cmpx_ne_u32_e32 0, v24
	s_cbranch_execz .LBB4_4294
; %bb.4287:                             ;   in Loop: Header=BB4_4196 Depth=2
	v_bfe_u32 v99, v24, 23, 8
	v_or_b32_e32 v96, 0x800000, v54
	s_delay_alu instid0(VALU_DEP_2) | instskip(SKIP_1) | instid1(VALU_DEP_1)
	v_sub_nc_u32_e32 v24, 0x71, v99
	v_cmp_gt_u32_e64 s7, 0x72, v99
	v_cndmask_b32_e64 v24, 0, v24, s7
	v_cmp_eq_u32_e64 s7, 0, v99
	s_delay_alu instid0(VALU_DEP_1) | instskip(NEXT) | instid1(VALU_DEP_1)
	v_cndmask_b32_e64 v103, v24, 0x70, s7
	v_dual_cndmask_b32 v54, v96, v54, s7 :: v_dual_add_nc_u32 v24, 21, v103
	v_add_nc_u32_e32 v97, 20, v103
	s_delay_alu instid0(VALU_DEP_2) | instskip(NEXT) | instid1(VALU_DEP_2)
	v_lshlrev_b64_e64 v[24:25], v24, -1
	v_lshlrev_b64_e64 v[96:97], v97, 1
	s_delay_alu instid0(VALU_DEP_2) | instskip(NEXT) | instid1(VALU_DEP_3)
	v_bfi_b32 v113, v25, 0, 0
	v_bfi_b32 v112, v24, 0, v54
	v_lshrrev_b64 v[24:25], v103, v[54:55]
	s_delay_alu instid0(VALU_DEP_2) | instskip(NEXT) | instid1(VALU_DEP_2)
	v_cmp_eq_u64_e64 s10, v[112:113], v[96:97]
	v_mov_b64_e32 v[96:97], v[24:25]
	s_and_saveexec_b32 s29, s10
; %bb.4288:                             ;   in Loop: Header=BB4_4196 Depth=2
	v_bfe_u32 v54, v24, 21, 1
	s_delay_alu instid0(VALU_DEP_1) | instskip(NEXT) | instid1(VALU_DEP_1)
	v_add_nc_u64_e32 v[96:97], v[24:25], v[54:55]
	v_add_nc_u64_e32 v[96:97], -1, v[96:97]
; %bb.4289:                             ;   in Loop: Header=BB4_4196 Depth=2
	s_or_b32 exec_lo, exec_lo, s29
	v_add_nc_u32_e32 v25, 0xffffff81, v99
	v_lshrrev_b32_e32 v54, 23, v24
	s_mov_b32 s10, exec_lo
	s_delay_alu instid0(VALU_DEP_2) | instskip(NEXT) | instid1(VALU_DEP_1)
	v_cndmask_b32_e64 v25, v25, 0xffffff82, s7
	v_add3_u32 v97, v103, v25, v54
	v_and_b32_e32 v25, 0x1fffff, v96
                                        ; implicit-def: $vgpr96
	s_delay_alu instid0(VALU_DEP_1) | instskip(NEXT) | instid1(VALU_DEP_1)
	v_dual_add_nc_u32 v99, 14, v97 :: v_dual_add_nc_u32 v54, v25, v24
                                        ; implicit-def: $vgpr24_vgpr25
	v_cmpx_ne_u32_e32 0, v99
	s_xor_b32 s10, exec_lo, s10
; %bb.4290:                             ;   in Loop: Header=BB4_4196 Depth=2
	s_delay_alu instid0(VALU_DEP_2) | instskip(SKIP_1) | instid1(VALU_DEP_1)
	v_cmp_lt_u64_e64 s7, 0xffffff, v[54:55]
	v_add_nc_u32_e32 v24, 15, v97
	v_cndmask_b32_e64 v96, v99, v24, s7
	v_cndmask_b32_e64 v24, 0, 1, s7
	s_delay_alu instid0(VALU_DEP_1)
	v_lshrrev_b64 v[24:25], v24, v[54:55]
; %bb.4291:                             ;   in Loop: Header=BB4_4196 Depth=2
	s_and_not1_saveexec_b32 s7, s10
; %bb.4292:                             ;   in Loop: Header=BB4_4196 Depth=2
	v_mov_b64_e32 v[24:25], v[54:55]
	v_bfe_u32 v96, v54, 23, 1
; %bb.4293:                             ;   in Loop: Header=BB4_4196 Depth=2
	s_or_b32 exec_lo, exec_lo, s7
	s_delay_alu instid0(VALU_DEP_2) | instskip(NEXT) | instid1(VALU_DEP_2)
	v_lshrrev_b64 v[24:25], 21, v[24:25]
	v_cmp_gt_i32_e64 s7, 32, v96
	v_min_i32_e32 v54, 31, v96
	v_cmp_eq_u32_e64 s10, 0, v96
	s_delay_alu instid0(VALU_DEP_2) | instskip(SKIP_1) | instid1(VALU_DEP_2)
	v_dual_cndmask_b32 v25, 0, v25, s7 :: v_dual_lshlrev_b32 v54, 2, v54
	v_cndmask_b32_e64 v24, 3, v24, s7
	v_and_b32_e32 v54, 0xfc, v54
	s_delay_alu instid0(VALU_DEP_2) | instskip(NEXT) | instid1(VALU_DEP_2)
	v_cmp_eq_u64_e64 s7, 0, v[24:25]
	v_and_or_b32 v24, v24, 3, v54
	s_and_b32 s7, s10, s7
	s_delay_alu instid0(VALU_DEP_1) | instid1(SALU_CYCLE_1)
	v_cndmask_b32_e64 v24, v24, 0, s7
	s_delay_alu instid0(VALU_DEP_1)
	v_or_b32_e32 v103, v24, v98
.LBB4_4294:                             ;   in Loop: Header=BB4_4196 Depth=2
	s_or_b32 exec_lo, exec_lo, s28
                                        ; implicit-def: $vgpr98
.LBB4_4295:                             ;   in Loop: Header=BB4_4196 Depth=2
	s_and_not1_saveexec_b32 s7, s27
; %bb.4296:                             ;   in Loop: Header=BB4_4196 Depth=2
	v_or_b32_e32 v103, 0x7b, v98
; %bb.4297:                             ;   in Loop: Header=BB4_4196 Depth=2
	s_or_b32 exec_lo, exec_lo, s7
                                        ; implicit-def: $vgpr24
                                        ; implicit-def: $vgpr25
.LBB4_4298:                             ;   in Loop: Header=BB4_4196 Depth=2
	s_and_not1_saveexec_b32 s10, s26
	s_cbranch_execz .LBB4_4304
; %bb.4299:                             ;   in Loop: Header=BB4_4196 Depth=2
	v_cmp_ne_u64_e64 s7, 0, v[54:55]
                                        ; implicit-def: $vgpr103
	s_and_saveexec_b32 s26, s7
	s_delay_alu instid0(SALU_CYCLE_1)
	s_xor_b32 s7, exec_lo, s26
; %bb.4300:                             ;   in Loop: Header=BB4_4196 Depth=2
	v_or_b32_e32 v103, 0x7f, v25
                                        ; implicit-def: $vgpr24
; %bb.4301:                             ;   in Loop: Header=BB4_4196 Depth=2
	s_and_not1_saveexec_b32 s26, s7
; %bb.4302:                             ;   in Loop: Header=BB4_4196 Depth=2
	v_cmp_lt_i32_e64 s7, -1, v24
	s_delay_alu instid0(VALU_DEP_1)
	v_cndmask_b32_e64 v103, 0xfc, v110, s7
; %bb.4303:                             ;   in Loop: Header=BB4_4196 Depth=2
	s_or_b32 exec_lo, exec_lo, s26
.LBB4_4304:                             ;   in Loop: Header=BB4_4196 Depth=2
	s_delay_alu instid0(SALU_CYCLE_1)
	s_or_b32 exec_lo, exec_lo, s10
	v_mov_b32_e32 v25, 0
	s_mov_b32 s10, exec_lo
	v_cmpx_lt_u32_e32 0xffffff, v14
	s_cbranch_execz .LBB4_4314
; %bb.4305:                             ;   in Loop: Header=BB4_4196 Depth=2
	v_lshrrev_b32_e32 v24, 24, v14
	v_bfrev_b32_e32 v25, 1
	s_mov_b32 s26, exec_lo
	s_delay_alu instid0(VALU_DEP_2)
	v_cmpx_ne_u32_e32 0x80, v24
	s_cbranch_execz .LBB4_4313
; %bb.4306:                             ;   in Loop: Header=BB4_4196 Depth=2
	v_and_b32_e32 v25, 0x7c000000, v14
	v_bfe_u32 v54, v14, 24, 2
	s_delay_alu instid0(VALU_DEP_2) | instskip(SKIP_1) | instid1(SALU_CYCLE_1)
	v_cmp_ne_u32_e64 s7, 0x7c000000, v25
                                        ; implicit-def: $vgpr25
	s_and_saveexec_b32 s27, s7
	s_xor_b32 s27, exec_lo, s27
	s_cbranch_execz .LBB4_4310
; %bb.4307:                             ;   in Loop: Header=BB4_4196 Depth=2
	v_bfe_u32 v25, v14, 26, 5
	s_mov_b32 s28, exec_lo
	s_delay_alu instid0(VALU_DEP_1)
	v_cmpx_eq_u32_e32 0, v25
; %bb.4308:                             ;   in Loop: Header=BB4_4196 Depth=2
	v_clz_i32_u32_e32 v25, v54
	s_delay_alu instid0(VALU_DEP_1) | instskip(NEXT) | instid1(VALU_DEP_1)
	v_min_u32_e32 v54, 32, v25
	v_subrev_nc_u32_e32 v25, 29, v54
	s_delay_alu instid0(VALU_DEP_1) | instskip(NEXT) | instid1(VALU_DEP_1)
	v_lshlrev_b64_e32 v[24:25], v25, v[24:25]
	v_dual_sub_nc_u32 v25, 30, v54 :: v_dual_bitop2_b32 v54, 3, v24 bitop3:0x40
; %bb.4309:                             ;   in Loop: Header=BB4_4196 Depth=2
	s_or_b32 exec_lo, exec_lo, s28
	v_and_b32_e32 v24, 0x80000000, v14
	s_delay_alu instid0(VALU_DEP_1) | instskip(NEXT) | instid1(VALU_DEP_1)
	v_lshl_add_u32 v24, v25, 23, v24
	v_lshl_or_b32 v24, v54, 21, v24
                                        ; implicit-def: $vgpr54
	s_delay_alu instid0(VALU_DEP_1)
	v_add_nc_u32_e32 v25, 0x38000000, v24
.LBB4_4310:                             ;   in Loop: Header=BB4_4196 Depth=2
	s_and_not1_saveexec_b32 s27, s27
; %bb.4311:                             ;   in Loop: Header=BB4_4196 Depth=2
	v_cmp_lt_i32_e64 s7, -1, v14
	s_delay_alu instid0(VALU_DEP_1) | instskip(SKIP_1) | instid1(VALU_DEP_1)
	v_cndmask_b32_e64 v24, 0xff800000, v109, s7
	v_cmp_eq_u32_e64 s7, 0, v54
	v_cndmask_b32_e64 v25, 0x7f800001, v24, s7
; %bb.4312:                             ;   in Loop: Header=BB4_4196 Depth=2
	s_or_b32 exec_lo, exec_lo, s27
.LBB4_4313:                             ;   in Loop: Header=BB4_4196 Depth=2
	s_delay_alu instid0(SALU_CYCLE_1)
	s_or_b32 exec_lo, exec_lo, s26
.LBB4_4314:                             ;   in Loop: Header=BB4_4196 Depth=2
	s_delay_alu instid0(SALU_CYCLE_1) | instskip(SKIP_3) | instid1(VALU_DEP_2)
	s_or_b32 exec_lo, exec_lo, s10
	v_bfe_u32 v54, v10, 24, 2
	v_bfe_u32 v99, v10, 26, 5
                                        ; implicit-def: $vgpr112
	s_mov_b32 s10, exec_lo
	v_clz_i32_u32_e32 v24, v54
	s_delay_alu instid0(VALU_DEP_2) | instskip(NEXT) | instid1(VALU_DEP_2)
	v_cmp_eq_u32_e64 s7, 0, v99
	v_min_u32_e32 v98, 32, v24
	v_lshrrev_b32_e32 v24, 24, v10
	s_delay_alu instid0(VALU_DEP_2) | instskip(NEXT) | instid1(VALU_DEP_1)
	v_subrev_nc_u32_e32 v96, 29, v98
	v_lshlrev_b64_e32 v[96:97], v96, v[24:25]
	v_sub_nc_u32_e32 v97, 30, v98
	v_and_b32_e32 v98, 0x80000000, v10
	s_delay_alu instid0(VALU_DEP_2) | instskip(NEXT) | instid1(VALU_DEP_1)
	v_dual_cndmask_b32 v97, v99, v97, s7 :: v_dual_bitop2_b32 v96, 3, v96 bitop3:0x40
	v_cndmask_b32_e64 v96, v54, v96, s7
	s_delay_alu instid0(VALU_DEP_2) | instskip(SKIP_1) | instid1(VALU_DEP_2)
	v_lshl_add_u32 v97, v97, 23, v98
	v_cmp_lt_i32_e64 s7, -1, v10
	v_lshl_or_b32 v96, v96, 21, v97
	s_delay_alu instid0(VALU_DEP_2) | instskip(SKIP_2) | instid1(VALU_DEP_4)
	v_cndmask_b32_e64 v98, 0xff800000, v109, s7
	v_and_b32_e32 v97, 0x7c000000, v10
	v_cmp_eq_u32_e64 s7, 0, v54
	v_add_nc_u32_e32 v96, 0x38000000, v96
	s_delay_alu instid0(VALU_DEP_2) | instskip(NEXT) | instid1(VALU_DEP_4)
	v_cndmask_b32_e64 v54, 0x7f800001, v98, s7
	v_cmp_eq_u32_e64 s7, 0x7c000000, v97
	s_delay_alu instid0(VALU_DEP_1) | instskip(SKIP_1) | instid1(VALU_DEP_1)
	v_dual_mov_b32 v97, v55 :: v_dual_cndmask_b32 v54, v96, v54, s7
	v_cmp_ne_u32_e64 s7, 0x80, v24
	v_cndmask_b32_e64 v24, 0x80000000, v54, s7
	v_cmp_lt_u32_e64 s7, 0xffffff, v10
	s_delay_alu instid0(VALU_DEP_1) | instskip(NEXT) | instid1(VALU_DEP_1)
	v_cndmask_b32_e64 v24, 0, v24, s7
	v_mul_f32_e32 v24, v24, v25
	s_delay_alu instid0(VALU_DEP_1) | instskip(SKIP_2) | instid1(VALU_DEP_3)
	v_and_b32_e32 v96, 0x7f800000, v24
	v_and_b32_e32 v54, 0x7fffff, v24
	v_lshrrev_b32_e32 v25, 24, v24
	v_cmpx_ne_u64_e32 0x7f800000, v[96:97]
	s_xor_b32 s26, exec_lo, s10
	s_cbranch_execz .LBB4_4328
; %bb.4315:                             ;   in Loop: Header=BB4_4196 Depth=2
	v_and_b32_e32 v96, 0x7fffffff, v24
	v_mov_b32_e32 v97, v55
	v_and_b32_e32 v98, 0x80, v25
                                        ; implicit-def: $vgpr112
	s_mov_b32 s10, exec_lo
	s_delay_alu instid0(VALU_DEP_2)
	v_cmpx_gt_u64_e32 0x47600001, v[96:97]
	s_xor_b32 s27, exec_lo, s10
	s_cbranch_execz .LBB4_4325
; %bb.4316:                             ;   in Loop: Header=BB4_4196 Depth=2
	v_mov_b32_e32 v112, 0
	s_mov_b32 s28, exec_lo
	v_cmpx_ne_u32_e32 0, v24
	s_cbranch_execz .LBB4_4324
; %bb.4317:                             ;   in Loop: Header=BB4_4196 Depth=2
	v_bfe_u32 v99, v24, 23, 8
	v_or_b32_e32 v96, 0x800000, v54
	s_delay_alu instid0(VALU_DEP_2) | instskip(SKIP_1) | instid1(VALU_DEP_1)
	v_sub_nc_u32_e32 v24, 0x71, v99
	v_cmp_gt_u32_e64 s7, 0x72, v99
	v_cndmask_b32_e64 v24, 0, v24, s7
	v_cmp_eq_u32_e64 s7, 0, v99
	s_delay_alu instid0(VALU_DEP_1) | instskip(NEXT) | instid1(VALU_DEP_3)
	v_cndmask_b32_e64 v54, v96, v54, s7
	v_cndmask_b32_e64 v112, v24, 0x70, s7
	s_delay_alu instid0(VALU_DEP_1) | instskip(NEXT) | instid1(VALU_DEP_1)
	v_dual_add_nc_u32 v24, 21, v112 :: v_dual_add_nc_u32 v97, 20, v112
	v_lshlrev_b64_e64 v[24:25], v24, -1
	s_delay_alu instid0(VALU_DEP_2) | instskip(NEXT) | instid1(VALU_DEP_2)
	v_lshlrev_b64_e64 v[96:97], v97, 1
	v_bfi_b32 v115, v25, 0, 0
	s_delay_alu instid0(VALU_DEP_3) | instskip(SKIP_1) | instid1(VALU_DEP_2)
	v_bfi_b32 v114, v24, 0, v54
	v_lshrrev_b64 v[24:25], v112, v[54:55]
	v_cmp_eq_u64_e64 s10, v[114:115], v[96:97]
	s_delay_alu instid0(VALU_DEP_2)
	v_mov_b64_e32 v[96:97], v[24:25]
	s_and_saveexec_b32 s29, s10
; %bb.4318:                             ;   in Loop: Header=BB4_4196 Depth=2
	v_bfe_u32 v54, v24, 21, 1
	s_delay_alu instid0(VALU_DEP_1) | instskip(NEXT) | instid1(VALU_DEP_1)
	v_add_nc_u64_e32 v[96:97], v[24:25], v[54:55]
	v_add_nc_u64_e32 v[96:97], -1, v[96:97]
; %bb.4319:                             ;   in Loop: Header=BB4_4196 Depth=2
	s_or_b32 exec_lo, exec_lo, s29
	v_add_nc_u32_e32 v25, 0xffffff81, v99
	v_lshrrev_b32_e32 v54, 23, v24
	s_mov_b32 s10, exec_lo
	s_delay_alu instid0(VALU_DEP_2) | instskip(NEXT) | instid1(VALU_DEP_1)
	v_cndmask_b32_e64 v25, v25, 0xffffff82, s7
	v_add3_u32 v97, v112, v25, v54
	v_and_b32_e32 v25, 0x1fffff, v96
                                        ; implicit-def: $vgpr96
	s_delay_alu instid0(VALU_DEP_1) | instskip(NEXT) | instid1(VALU_DEP_1)
	v_dual_add_nc_u32 v99, 14, v97 :: v_dual_add_nc_u32 v54, v25, v24
                                        ; implicit-def: $vgpr24_vgpr25
	v_cmpx_ne_u32_e32 0, v99
	s_xor_b32 s10, exec_lo, s10
; %bb.4320:                             ;   in Loop: Header=BB4_4196 Depth=2
	s_delay_alu instid0(VALU_DEP_2) | instskip(SKIP_1) | instid1(VALU_DEP_1)
	v_cmp_lt_u64_e64 s7, 0xffffff, v[54:55]
	v_add_nc_u32_e32 v24, 15, v97
	v_cndmask_b32_e64 v96, v99, v24, s7
	v_cndmask_b32_e64 v24, 0, 1, s7
	s_delay_alu instid0(VALU_DEP_1)
	v_lshrrev_b64 v[24:25], v24, v[54:55]
; %bb.4321:                             ;   in Loop: Header=BB4_4196 Depth=2
	s_and_not1_saveexec_b32 s7, s10
; %bb.4322:                             ;   in Loop: Header=BB4_4196 Depth=2
	v_mov_b64_e32 v[24:25], v[54:55]
	v_bfe_u32 v96, v54, 23, 1
; %bb.4323:                             ;   in Loop: Header=BB4_4196 Depth=2
	s_or_b32 exec_lo, exec_lo, s7
	s_delay_alu instid0(VALU_DEP_2) | instskip(NEXT) | instid1(VALU_DEP_2)
	v_lshrrev_b64 v[24:25], 21, v[24:25]
	v_cmp_gt_i32_e64 s7, 32, v96
	v_min_i32_e32 v54, 31, v96
	v_cmp_eq_u32_e64 s10, 0, v96
	s_delay_alu instid0(VALU_DEP_2) | instskip(SKIP_1) | instid1(VALU_DEP_2)
	v_dual_cndmask_b32 v25, 0, v25, s7 :: v_dual_lshlrev_b32 v54, 2, v54
	v_cndmask_b32_e64 v24, 3, v24, s7
	v_and_b32_e32 v54, 0xfc, v54
	s_delay_alu instid0(VALU_DEP_2) | instskip(NEXT) | instid1(VALU_DEP_2)
	v_cmp_eq_u64_e64 s7, 0, v[24:25]
	v_and_or_b32 v24, v24, 3, v54
	s_and_b32 s7, s10, s7
	s_delay_alu instid0(VALU_DEP_1) | instid1(SALU_CYCLE_1)
	v_cndmask_b32_e64 v24, v24, 0, s7
	s_delay_alu instid0(VALU_DEP_1)
	v_or_b32_e32 v112, v24, v98
.LBB4_4324:                             ;   in Loop: Header=BB4_4196 Depth=2
	s_or_b32 exec_lo, exec_lo, s28
                                        ; implicit-def: $vgpr98
.LBB4_4325:                             ;   in Loop: Header=BB4_4196 Depth=2
	s_and_not1_saveexec_b32 s7, s27
; %bb.4326:                             ;   in Loop: Header=BB4_4196 Depth=2
	v_or_b32_e32 v112, 0x7b, v98
; %bb.4327:                             ;   in Loop: Header=BB4_4196 Depth=2
	s_or_b32 exec_lo, exec_lo, s7
                                        ; implicit-def: $vgpr24
                                        ; implicit-def: $vgpr25
.LBB4_4328:                             ;   in Loop: Header=BB4_4196 Depth=2
	s_and_not1_saveexec_b32 s10, s26
	s_cbranch_execz .LBB4_4334
; %bb.4329:                             ;   in Loop: Header=BB4_4196 Depth=2
	v_cmp_ne_u64_e64 s7, 0, v[54:55]
                                        ; implicit-def: $vgpr112
	s_and_saveexec_b32 s26, s7
	s_delay_alu instid0(SALU_CYCLE_1)
	s_xor_b32 s7, exec_lo, s26
; %bb.4330:                             ;   in Loop: Header=BB4_4196 Depth=2
	v_or_b32_e32 v112, 0x7f, v25
                                        ; implicit-def: $vgpr24
; %bb.4331:                             ;   in Loop: Header=BB4_4196 Depth=2
	s_and_not1_saveexec_b32 s26, s7
; %bb.4332:                             ;   in Loop: Header=BB4_4196 Depth=2
	v_cmp_lt_i32_e64 s7, -1, v24
	s_delay_alu instid0(VALU_DEP_1)
	v_cndmask_b32_e64 v112, 0xfc, v110, s7
; %bb.4333:                             ;   in Loop: Header=BB4_4196 Depth=2
	s_or_b32 exec_lo, exec_lo, s26
.LBB4_4334:                             ;   in Loop: Header=BB4_4196 Depth=2
	s_delay_alu instid0(SALU_CYCLE_1) | instskip(SKIP_3) | instid1(VALU_DEP_2)
	s_or_b32 exec_lo, exec_lo, s10
	v_and_b32_e32 v24, 0xff, v15
	v_dual_mov_b32 v54, v15 :: v_dual_mov_b32 v96, 0
	s_mov_b32 s10, exec_lo
	v_cmpx_ne_u16_e32 0, v24
	s_cbranch_execz .LBB4_4344
; %bb.4335:                             ;   in Loop: Header=BB4_4196 Depth=2
	v_bfrev_b32_e32 v96, 1
	s_mov_b32 s26, exec_lo
	v_cmpx_ne_u16_e32 0x80, v24
	s_cbranch_execz .LBB4_4343
; %bb.4336:                             ;   in Loop: Header=BB4_4196 Depth=2
	v_and_b32_e32 v25, 0x7c, v15
	v_and_b32_e32 v24, 3, v15
	s_mov_b32 s27, exec_lo
                                        ; implicit-def: $vgpr96
	s_delay_alu instid0(VALU_DEP_2)
	v_cmpx_ne_u32_e32 0x7c, v25
	s_xor_b32 s27, exec_lo, s27
	s_cbranch_execz .LBB4_4340
; %bb.4337:                             ;   in Loop: Header=BB4_4196 Depth=2
	v_bfe_u32 v25, v15, 2, 5
	s_mov_b32 s28, exec_lo
	s_delay_alu instid0(VALU_DEP_1)
	v_cmpx_eq_u32_e32 0, v25
; %bb.4338:                             ;   in Loop: Header=BB4_4196 Depth=2
	v_clz_i32_u32_e32 v24, v24
	s_delay_alu instid0(VALU_DEP_1) | instskip(NEXT) | instid1(VALU_DEP_1)
	v_min_u32_e32 v96, 32, v24
	v_subrev_nc_u32_e32 v24, 29, v96
	s_delay_alu instid0(VALU_DEP_1) | instskip(SKIP_1) | instid1(VALU_DEP_2)
	v_lshlrev_b64_e32 v[24:25], v24, v[54:55]
	v_sub_nc_u32_e32 v25, 30, v96
	v_and_b32_e32 v24, 3, v24
; %bb.4339:                             ;   in Loop: Header=BB4_4196 Depth=2
	s_or_b32 exec_lo, exec_lo, s28
	v_lshlrev_b32_e32 v96, 24, v15
	s_delay_alu instid0(VALU_DEP_1) | instskip(NEXT) | instid1(VALU_DEP_1)
	v_and_b32_e32 v96, 0x80000000, v96
	v_lshl_add_u32 v25, v25, 23, v96
	s_delay_alu instid0(VALU_DEP_1) | instskip(NEXT) | instid1(VALU_DEP_1)
	v_lshl_or_b32 v24, v24, 21, v25
	v_add_nc_u32_e32 v96, 0x38000000, v24
                                        ; implicit-def: $vgpr24
.LBB4_4340:                             ;   in Loop: Header=BB4_4196 Depth=2
	s_and_not1_saveexec_b32 s27, s27
; %bb.4341:                             ;   in Loop: Header=BB4_4196 Depth=2
	v_bfe_i32 v25, v15, 0, 8
	s_delay_alu instid0(VALU_DEP_1) | instskip(NEXT) | instid1(VALU_DEP_1)
	v_cmp_lt_i16_e64 s7, -1, v25
	v_cndmask_b32_e64 v25, 0xff800000, v109, s7
	v_cmp_eq_u32_e64 s7, 0, v24
	s_delay_alu instid0(VALU_DEP_1)
	v_cndmask_b32_e64 v96, 0x7f800001, v25, s7
; %bb.4342:                             ;   in Loop: Header=BB4_4196 Depth=2
	s_or_b32 exec_lo, exec_lo, s27
.LBB4_4343:                             ;   in Loop: Header=BB4_4196 Depth=2
	s_delay_alu instid0(SALU_CYCLE_1)
	s_or_b32 exec_lo, exec_lo, s26
.LBB4_4344:                             ;   in Loop: Header=BB4_4196 Depth=2
	s_delay_alu instid0(SALU_CYCLE_1) | instskip(SKIP_4) | instid1(VALU_DEP_2)
	s_or_b32 exec_lo, exec_lo, s10
	v_and_b32_e32 v25, 0xff, v11
	v_mov_b32_e32 v24, v11
	s_mov_b32 s26, 0
	s_mov_b32 s10, exec_lo
	v_cmpx_lt_i16_e32 0x7f, v25
	s_xor_b32 s10, exec_lo, s10
	s_cbranch_execz .LBB4_4753
; %bb.4345:                             ;   in Loop: Header=BB4_4196 Depth=2
	s_mov_b32 s26, -1
	s_mov_b32 s27, exec_lo
	v_cmpx_eq_u16_e32 0x80, v25
; %bb.4346:                             ;   in Loop: Header=BB4_4196 Depth=2
	s_xor_b32 s26, exec_lo, -1
; %bb.4347:                             ;   in Loop: Header=BB4_4196 Depth=2
	s_or_b32 exec_lo, exec_lo, s27
	s_delay_alu instid0(SALU_CYCLE_1)
	s_and_b32 s26, s26, exec_lo
                                        ; implicit-def: $vgpr25
	s_or_saveexec_b32 s10, s10
	v_bfrev_b32_e32 v97, 1
	s_xor_b32 exec_lo, exec_lo, s10
	s_cbranch_execnz .LBB4_4754
.LBB4_4348:                             ;   in Loop: Header=BB4_4196 Depth=2
	s_or_b32 exec_lo, exec_lo, s10
	v_mov_b32_e32 v25, v55
	s_and_saveexec_b32 s10, s26
	s_cbranch_execz .LBB4_4350
.LBB4_4349:                             ;   in Loop: Header=BB4_4196 Depth=2
	v_and_b32_e32 v97, 3, v11
	s_delay_alu instid0(VALU_DEP_1) | instskip(NEXT) | instid1(VALU_DEP_1)
	v_clz_i32_u32_e32 v98, v97
	v_min_u32_e32 v113, 32, v98
	s_delay_alu instid0(VALU_DEP_1) | instskip(NEXT) | instid1(VALU_DEP_1)
	v_subrev_nc_u32_e32 v98, 29, v113
	v_lshlrev_b64_e32 v[98:99], v98, v[24:25]
	v_bfe_u32 v99, v11, 2, 5
	v_dual_lshlrev_b32 v25, 24, v11 :: v_dual_sub_nc_u32 v113, 30, v113
	s_delay_alu instid0(VALU_DEP_2) | instskip(NEXT) | instid1(VALU_DEP_2)
	v_cmp_eq_u32_e64 s7, 0, v99
	v_and_b32_e32 v25, 0x80000000, v25
	s_delay_alu instid0(VALU_DEP_2) | instskip(SKIP_1) | instid1(VALU_DEP_2)
	v_dual_cndmask_b32 v99, v99, v113, s7 :: v_dual_bitop2_b32 v98, 3, v98 bitop3:0x40
	v_bfe_i32 v113, v11, 0, 8
	v_cndmask_b32_e64 v98, v97, v98, s7
	s_delay_alu instid0(VALU_DEP_3) | instskip(NEXT) | instid1(VALU_DEP_3)
	v_lshl_add_u32 v25, v99, 23, v25
	v_cmp_lt_i16_e64 s7, -1, v113
	s_delay_alu instid0(VALU_DEP_2) | instskip(NEXT) | instid1(VALU_DEP_2)
	v_lshl_or_b32 v25, v98, 21, v25
	v_cndmask_b32_e64 v99, 0xff800000, v109, s7
	v_and_b32_e32 v98, 0x7c, v11
	v_cmp_eq_u32_e64 s7, 0, v97
	s_delay_alu instid0(VALU_DEP_4) | instskip(NEXT) | instid1(VALU_DEP_2)
	v_add_nc_u32_e32 v25, 0x38000000, v25
	v_cndmask_b32_e64 v97, 0x7f800001, v99, s7
	s_delay_alu instid0(VALU_DEP_4) | instskip(NEXT) | instid1(VALU_DEP_1)
	v_cmp_eq_u32_e64 s7, 0x7c, v98
	v_cndmask_b32_e64 v97, v25, v97, s7
.LBB4_4350:                             ;   in Loop: Header=BB4_4196 Depth=2
	s_or_b32 exec_lo, exec_lo, s10
	s_delay_alu instid0(VALU_DEP_1) | instskip(SKIP_2) | instid1(VALU_DEP_2)
	v_dual_mul_f32 v99, v96, v97 :: v_dual_mov_b32 v115, v55
	v_mov_b32_e32 v97, v55
                                        ; implicit-def: $vgpr98
	s_mov_b32 s10, exec_lo
	v_and_b32_e32 v114, 0x7f800000, v99
	v_and_b32_e32 v96, 0x7fffff, v99
	v_lshrrev_b32_e32 v25, 24, v99
	s_delay_alu instid0(VALU_DEP_3)
	v_cmpx_ne_u64_e32 0x7f800000, v[114:115]
	s_xor_b32 s26, exec_lo, s10
	s_cbranch_execz .LBB4_4364
; %bb.4351:                             ;   in Loop: Header=BB4_4196 Depth=2
	v_and_b32_e32 v114, 0x7fffffff, v99
	v_mov_b32_e32 v115, v55
	v_and_b32_e32 v25, 0x80, v25
                                        ; implicit-def: $vgpr98
	s_mov_b32 s10, exec_lo
	s_delay_alu instid0(VALU_DEP_2)
	v_cmpx_gt_u64_e32 0x47600001, v[114:115]
	s_xor_b32 s27, exec_lo, s10
	s_cbranch_execz .LBB4_4361
; %bb.4352:                             ;   in Loop: Header=BB4_4196 Depth=2
	v_mov_b32_e32 v98, 0
	s_mov_b32 s28, exec_lo
	v_cmpx_ne_u32_e32 0, v99
	s_cbranch_execz .LBB4_4360
; %bb.4353:                             ;   in Loop: Header=BB4_4196 Depth=2
	v_bfe_u32 v113, v99, 23, 8
	v_or_b32_e32 v115, 0x800000, v96
	s_delay_alu instid0(VALU_DEP_2) | instskip(SKIP_1) | instid1(VALU_DEP_1)
	v_sub_nc_u32_e32 v98, 0x71, v113
	v_cmp_gt_u32_e64 s7, 0x72, v113
	v_cndmask_b32_e64 v98, 0, v98, s7
	v_cmp_eq_u32_e64 s7, 0, v113
	s_delay_alu instid0(VALU_DEP_1) | instskip(NEXT) | instid1(VALU_DEP_3)
	v_cndmask_b32_e64 v96, v115, v96, s7
	v_cndmask_b32_e64 v114, v98, 0x70, s7
	s_delay_alu instid0(VALU_DEP_1) | instskip(NEXT) | instid1(VALU_DEP_1)
	v_dual_add_nc_u32 v98, 21, v114 :: v_dual_add_nc_u32 v116, 20, v114
	v_lshlrev_b64_e64 v[98:99], v98, -1
	s_delay_alu instid0(VALU_DEP_2) | instskip(NEXT) | instid1(VALU_DEP_2)
	v_lshlrev_b64_e64 v[116:117], v116, 1
	v_bfi_b32 v98, v98, 0, v96
	v_lshrrev_b64 v[96:97], v114, v[96:97]
	s_delay_alu instid0(VALU_DEP_4) | instskip(NEXT) | instid1(VALU_DEP_1)
	v_bfi_b32 v99, v99, 0, 0
	v_cmp_eq_u64_e64 s10, v[98:99], v[116:117]
	s_delay_alu instid0(VALU_DEP_3)
	v_mov_b64_e32 v[98:99], v[96:97]
	s_and_saveexec_b32 s29, s10
; %bb.4354:                             ;   in Loop: Header=BB4_4196 Depth=2
	v_bfe_u32 v98, v96, 21, 1
	v_mov_b32_e32 v99, v55
	s_delay_alu instid0(VALU_DEP_1) | instskip(NEXT) | instid1(VALU_DEP_1)
	v_add_nc_u64_e32 v[98:99], v[96:97], v[98:99]
	v_add_nc_u64_e32 v[98:99], -1, v[98:99]
; %bb.4355:                             ;   in Loop: Header=BB4_4196 Depth=2
	s_or_b32 exec_lo, exec_lo, s29
	v_add_nc_u32_e32 v97, 0xffffff81, v113
	v_lshrrev_b32_e32 v99, 23, v96
	s_mov_b32 s10, exec_lo
	s_delay_alu instid0(VALU_DEP_2) | instskip(NEXT) | instid1(VALU_DEP_1)
	v_cndmask_b32_e64 v97, v97, 0xffffff82, s7
	v_add3_u32 v99, v114, v97, v99
	v_and_b32_e32 v97, 0x1fffff, v98
                                        ; implicit-def: $vgpr98
	s_delay_alu instid0(VALU_DEP_1) | instskip(SKIP_1) | instid1(VALU_DEP_2)
	v_dual_add_nc_u32 v113, 14, v99 :: v_dual_add_nc_u32 v96, v97, v96
	v_mov_b32_e32 v97, v55
	v_cmpx_ne_u32_e32 0, v113
	s_xor_b32 s10, exec_lo, s10
; %bb.4356:                             ;   in Loop: Header=BB4_4196 Depth=2
	s_delay_alu instid0(VALU_DEP_2) | instskip(SKIP_1) | instid1(VALU_DEP_2)
	v_cmp_lt_u64_e64 s7, 0xffffff, v[96:97]
	v_add_nc_u32_e32 v98, 15, v99
	v_cndmask_b32_e64 v99, 0, 1, s7
	s_delay_alu instid0(VALU_DEP_2) | instskip(NEXT) | instid1(VALU_DEP_2)
	v_cndmask_b32_e64 v98, v113, v98, s7
	v_lshrrev_b64 v[96:97], v99, v[96:97]
; %bb.4357:                             ;   in Loop: Header=BB4_4196 Depth=2
	s_and_not1_saveexec_b32 s7, s10
; %bb.4358:                             ;   in Loop: Header=BB4_4196 Depth=2
	s_delay_alu instid0(VALU_DEP_1)
	v_bfe_u32 v98, v96, 23, 1
; %bb.4359:                             ;   in Loop: Header=BB4_4196 Depth=2
	s_or_b32 exec_lo, exec_lo, s7
	s_delay_alu instid0(VALU_DEP_2) | instskip(NEXT) | instid1(VALU_DEP_2)
	v_lshrrev_b64 v[96:97], 21, v[96:97]
	v_cmp_gt_i32_e64 s7, 32, v98
	v_min_i32_e32 v99, 31, v98
	v_cmp_eq_u32_e64 s10, 0, v98
	s_delay_alu instid0(VALU_DEP_2) | instskip(SKIP_1) | instid1(VALU_DEP_2)
	v_dual_cndmask_b32 v97, 0, v97, s7 :: v_dual_lshlrev_b32 v99, 2, v99
	v_cndmask_b32_e64 v96, 3, v96, s7
	v_and_b32_e32 v99, 0xfc, v99
	s_delay_alu instid0(VALU_DEP_2) | instskip(NEXT) | instid1(VALU_DEP_2)
	v_cmp_eq_u64_e64 s7, 0, v[96:97]
	v_and_or_b32 v96, v96, 3, v99
	s_and_b32 s7, s10, s7
	s_delay_alu instid0(VALU_DEP_1) | instid1(SALU_CYCLE_1)
	v_cndmask_b32_e64 v96, v96, 0, s7
	s_delay_alu instid0(VALU_DEP_1)
	v_or_b32_e32 v98, v96, v25
.LBB4_4360:                             ;   in Loop: Header=BB4_4196 Depth=2
	s_or_b32 exec_lo, exec_lo, s28
                                        ; implicit-def: $vgpr25
.LBB4_4361:                             ;   in Loop: Header=BB4_4196 Depth=2
	s_and_not1_saveexec_b32 s7, s27
; %bb.4362:                             ;   in Loop: Header=BB4_4196 Depth=2
	v_or_b32_e32 v98, 0x7b, v25
; %bb.4363:                             ;   in Loop: Header=BB4_4196 Depth=2
	s_or_b32 exec_lo, exec_lo, s7
                                        ; implicit-def: $vgpr99
                                        ; implicit-def: $vgpr96_vgpr97
                                        ; implicit-def: $vgpr25
.LBB4_4364:                             ;   in Loop: Header=BB4_4196 Depth=2
	s_and_not1_saveexec_b32 s10, s26
	s_cbranch_execz .LBB4_4370
; %bb.4365:                             ;   in Loop: Header=BB4_4196 Depth=2
	v_cmp_ne_u64_e64 s7, 0, v[96:97]
                                        ; implicit-def: $vgpr98
	s_and_saveexec_b32 s26, s7
	s_delay_alu instid0(SALU_CYCLE_1)
	s_xor_b32 s7, exec_lo, s26
; %bb.4366:                             ;   in Loop: Header=BB4_4196 Depth=2
	v_or_b32_e32 v98, 0x7f, v25
                                        ; implicit-def: $vgpr99
; %bb.4367:                             ;   in Loop: Header=BB4_4196 Depth=2
	s_and_not1_saveexec_b32 s26, s7
; %bb.4368:                             ;   in Loop: Header=BB4_4196 Depth=2
	v_cmp_lt_i32_e64 s7, -1, v99
	s_delay_alu instid0(VALU_DEP_1)
	v_cndmask_b32_e64 v98, 0xfc, v110, s7
; %bb.4369:                             ;   in Loop: Header=BB4_4196 Depth=2
	s_or_b32 exec_lo, exec_lo, s26
.LBB4_4370:                             ;   in Loop: Header=BB4_4196 Depth=2
	s_delay_alu instid0(SALU_CYCLE_1) | instskip(SKIP_3) | instid1(VALU_DEP_2)
	s_or_b32 exec_lo, exec_lo, s10
	v_lshrrev_b16 v96, 8, v54
	v_mov_b32_e32 v25, 0
	s_mov_b32 s10, exec_lo
	v_cmpx_ne_u16_e32 0, v96
	s_cbranch_execz .LBB4_4380
; %bb.4371:                             ;   in Loop: Header=BB4_4196 Depth=2
	v_bfrev_b32_e32 v25, 1
	s_mov_b32 s26, exec_lo
	v_cmpx_ne_u16_e32 0x80, v96
	s_cbranch_execz .LBB4_4379
; %bb.4372:                             ;   in Loop: Header=BB4_4196 Depth=2
	v_and_b32_e32 v99, 0xffff, v96
	s_delay_alu instid0(VALU_DEP_1) | instskip(SKIP_1) | instid1(VALU_DEP_2)
	v_and_b32_e32 v25, 0x7c, v99
	v_and_b32_e32 v97, 3, v99
	v_cmp_ne_u32_e64 s7, 0x7c, v25
                                        ; implicit-def: $vgpr25
	s_and_saveexec_b32 s27, s7
	s_delay_alu instid0(SALU_CYCLE_1)
	s_xor_b32 s27, exec_lo, s27
	s_cbranch_execz .LBB4_4376
; %bb.4373:                             ;   in Loop: Header=BB4_4196 Depth=2
	v_bfe_u32 v25, v99, 2, 5
	s_mov_b32 s28, exec_lo
	s_delay_alu instid0(VALU_DEP_1)
	v_cmpx_eq_u32_e32 0, v25
	s_cbranch_execz .LBB4_4375
; %bb.4374:                             ;   in Loop: Header=BB4_4196 Depth=2
	v_clz_i32_u32_e32 v25, v97
	s_delay_alu instid0(VALU_DEP_1) | instskip(SKIP_1) | instid1(VALU_DEP_2)
	v_min_u32_e32 v25, 32, v25
	v_mov_b32_e32 v97, v55
	v_subrev_nc_u32_e32 v99, 29, v25
	v_sub_nc_u32_e32 v25, 30, v25
	s_delay_alu instid0(VALU_DEP_2) | instskip(NEXT) | instid1(VALU_DEP_1)
	v_lshlrev_b64_e32 v[96:97], v99, v[96:97]
	v_and_b32_e32 v97, 3, v96
.LBB4_4375:                             ;   in Loop: Header=BB4_4196 Depth=2
	s_or_b32 exec_lo, exec_lo, s28
	v_lshlrev_b32_e32 v54, 16, v54
	s_delay_alu instid0(VALU_DEP_1) | instskip(NEXT) | instid1(VALU_DEP_1)
	v_and_b32_e32 v54, 0x80000000, v54
	v_lshl_add_u32 v25, v25, 23, v54
	s_delay_alu instid0(VALU_DEP_1) | instskip(NEXT) | instid1(VALU_DEP_1)
	v_lshl_or_b32 v25, v97, 21, v25
                                        ; implicit-def: $vgpr97
	v_add_nc_u32_e32 v25, 0x38000000, v25
.LBB4_4376:                             ;   in Loop: Header=BB4_4196 Depth=2
	s_and_not1_saveexec_b32 s27, s27
; %bb.4377:                             ;   in Loop: Header=BB4_4196 Depth=2
	v_cmp_lt_i16_e64 s7, -1, v54
	s_delay_alu instid0(VALU_DEP_1) | instskip(SKIP_1) | instid1(VALU_DEP_1)
	v_cndmask_b32_e64 v25, 0xff800000, v109, s7
	v_cmp_eq_u32_e64 s7, 0, v97
	v_cndmask_b32_e64 v25, 0x7f800001, v25, s7
; %bb.4378:                             ;   in Loop: Header=BB4_4196 Depth=2
	s_or_b32 exec_lo, exec_lo, s27
.LBB4_4379:                             ;   in Loop: Header=BB4_4196 Depth=2
	s_delay_alu instid0(SALU_CYCLE_1)
	s_or_b32 exec_lo, exec_lo, s26
.LBB4_4380:                             ;   in Loop: Header=BB4_4196 Depth=2
	s_delay_alu instid0(SALU_CYCLE_1) | instskip(SKIP_3) | instid1(VALU_DEP_1)
	s_or_b32 exec_lo, exec_lo, s10
	v_lshrrev_b16 v54, 8, v24
	s_mov_b32 s26, 0
	s_mov_b32 s10, exec_lo
	v_cmpx_lt_i16_e32 0x7f, v54
	s_xor_b32 s10, exec_lo, s10
	s_cbranch_execz .LBB4_4755
; %bb.4381:                             ;   in Loop: Header=BB4_4196 Depth=2
	s_mov_b32 s26, -1
	s_mov_b32 s27, exec_lo
	v_cmpx_eq_u16_e32 0x80, v54
; %bb.4382:                             ;   in Loop: Header=BB4_4196 Depth=2
	s_xor_b32 s26, exec_lo, -1
; %bb.4383:                             ;   in Loop: Header=BB4_4196 Depth=2
	s_or_b32 exec_lo, exec_lo, s27
	s_delay_alu instid0(SALU_CYCLE_1)
	s_and_b32 s26, s26, exec_lo
	s_or_saveexec_b32 s10, s10
	v_bfrev_b32_e32 v96, 1
	s_xor_b32 exec_lo, exec_lo, s10
	s_cbranch_execnz .LBB4_4756
.LBB4_4384:                             ;   in Loop: Header=BB4_4196 Depth=2
	s_or_b32 exec_lo, exec_lo, s10
	s_and_saveexec_b32 s10, s26
	s_cbranch_execz .LBB4_4386
.LBB4_4385:                             ;   in Loop: Header=BB4_4196 Depth=2
	v_and_b32_e32 v99, 0xffff, v54
	s_delay_alu instid0(VALU_DEP_1) | instskip(NEXT) | instid1(VALU_DEP_1)
	v_and_b32_e32 v113, 3, v99
	v_clz_i32_u32_e32 v96, v113
	s_delay_alu instid0(VALU_DEP_1) | instskip(NEXT) | instid1(VALU_DEP_1)
	v_min_u32_e32 v114, 32, v96
	v_subrev_nc_u32_e32 v96, 29, v114
	s_delay_alu instid0(VALU_DEP_1) | instskip(SKIP_3) | instid1(VALU_DEP_3)
	v_lshlrev_b64_e32 v[96:97], v96, v[54:55]
	v_bfe_u32 v97, v99, 2, 5
	v_lshlrev_b32_e32 v54, 24, v54
	v_sub_nc_u32_e32 v114, 30, v114
	v_cmp_eq_u32_e64 s7, 0, v97
	s_delay_alu instid0(VALU_DEP_3) | instskip(NEXT) | instid1(VALU_DEP_2)
	v_and_b32_e32 v54, 0x80000000, v54
	v_dual_cndmask_b32 v97, v97, v114, s7 :: v_dual_bitop2_b32 v96, 3, v96 bitop3:0x40
	s_delay_alu instid0(VALU_DEP_1) | instskip(SKIP_1) | instid1(VALU_DEP_3)
	v_cndmask_b32_e64 v96, v113, v96, s7
	v_cmp_lt_i16_e64 s7, -1, v24
	v_lshl_add_u32 v54, v97, 23, v54
	s_delay_alu instid0(VALU_DEP_2) | instskip(SKIP_1) | instid1(VALU_DEP_3)
	v_cndmask_b32_e64 v24, 0xff800000, v109, s7
	v_cmp_eq_u32_e64 s7, 0, v113
	v_lshl_or_b32 v54, v96, 21, v54
	v_and_b32_e32 v96, 0x7c, v99
	s_delay_alu instid0(VALU_DEP_3) | instskip(NEXT) | instid1(VALU_DEP_3)
	v_cndmask_b32_e64 v24, 0x7f800001, v24, s7
	v_add_nc_u32_e32 v54, 0x38000000, v54
	s_delay_alu instid0(VALU_DEP_3) | instskip(NEXT) | instid1(VALU_DEP_1)
	v_cmp_eq_u32_e64 s7, 0x7c, v96
	v_cndmask_b32_e64 v96, v54, v24, s7
.LBB4_4386:                             ;   in Loop: Header=BB4_4196 Depth=2
	s_or_b32 exec_lo, exec_lo, s10
	s_delay_alu instid0(VALU_DEP_1) | instskip(SKIP_1) | instid1(VALU_DEP_1)
	v_dual_mul_f32 v24, v25, v96 :: v_dual_mov_b32 v97, v55
                                        ; implicit-def: $vgpr99
	s_mov_b32 s10, exec_lo
	v_and_b32_e32 v96, 0x7f800000, v24
	v_and_b32_e32 v54, 0x7fffff, v24
	v_lshrrev_b32_e32 v25, 24, v24
	s_delay_alu instid0(VALU_DEP_3)
	v_cmpx_ne_u64_e32 0x7f800000, v[96:97]
	s_xor_b32 s26, exec_lo, s10
	s_cbranch_execz .LBB4_4400
; %bb.4387:                             ;   in Loop: Header=BB4_4196 Depth=2
	v_and_b32_e32 v96, 0x7fffffff, v24
	v_mov_b32_e32 v97, v55
	v_and_b32_e32 v113, 0x80, v25
                                        ; implicit-def: $vgpr99
	s_mov_b32 s10, exec_lo
	s_delay_alu instid0(VALU_DEP_2)
	v_cmpx_gt_u64_e32 0x47600001, v[96:97]
	s_xor_b32 s27, exec_lo, s10
	s_cbranch_execz .LBB4_4397
; %bb.4388:                             ;   in Loop: Header=BB4_4196 Depth=2
	v_mov_b32_e32 v99, 0
	s_mov_b32 s28, exec_lo
	v_cmpx_ne_u32_e32 0, v24
	s_cbranch_execz .LBB4_4396
; %bb.4389:                             ;   in Loop: Header=BB4_4196 Depth=2
	v_bfe_u32 v99, v24, 23, 8
	v_or_b32_e32 v96, 0x800000, v54
	s_delay_alu instid0(VALU_DEP_2) | instskip(SKIP_1) | instid1(VALU_DEP_1)
	v_sub_nc_u32_e32 v24, 0x71, v99
	v_cmp_gt_u32_e64 s7, 0x72, v99
	v_cndmask_b32_e64 v24, 0, v24, s7
	v_cmp_eq_u32_e64 s7, 0, v99
	s_delay_alu instid0(VALU_DEP_1) | instskip(SKIP_1) | instid1(VALU_DEP_2)
	v_cndmask_b32_e64 v114, v24, 0x70, s7
	v_cndmask_b32_e64 v54, v96, v54, s7
	v_dual_add_nc_u32 v24, 21, v114 :: v_dual_add_nc_u32 v97, 20, v114
	s_delay_alu instid0(VALU_DEP_1) | instskip(NEXT) | instid1(VALU_DEP_2)
	v_lshlrev_b64_e64 v[24:25], v24, -1
	v_lshlrev_b64_e64 v[96:97], v97, 1
	s_delay_alu instid0(VALU_DEP_2) | instskip(NEXT) | instid1(VALU_DEP_3)
	v_bfi_b32 v117, v25, 0, 0
	v_bfi_b32 v116, v24, 0, v54
	v_lshrrev_b64 v[24:25], v114, v[54:55]
	s_delay_alu instid0(VALU_DEP_2) | instskip(NEXT) | instid1(VALU_DEP_2)
	v_cmp_eq_u64_e64 s10, v[116:117], v[96:97]
	v_mov_b64_e32 v[96:97], v[24:25]
	s_and_saveexec_b32 s29, s10
; %bb.4390:                             ;   in Loop: Header=BB4_4196 Depth=2
	v_bfe_u32 v54, v24, 21, 1
	s_delay_alu instid0(VALU_DEP_1) | instskip(NEXT) | instid1(VALU_DEP_1)
	v_add_nc_u64_e32 v[96:97], v[24:25], v[54:55]
	v_add_nc_u64_e32 v[96:97], -1, v[96:97]
; %bb.4391:                             ;   in Loop: Header=BB4_4196 Depth=2
	s_or_b32 exec_lo, exec_lo, s29
	v_add_nc_u32_e32 v25, 0xffffff81, v99
	v_lshrrev_b32_e32 v54, 23, v24
	s_mov_b32 s10, exec_lo
	s_delay_alu instid0(VALU_DEP_2) | instskip(NEXT) | instid1(VALU_DEP_1)
	v_cndmask_b32_e64 v25, v25, 0xffffff82, s7
	v_add3_u32 v97, v114, v25, v54
	v_and_b32_e32 v25, 0x1fffff, v96
                                        ; implicit-def: $vgpr96
	s_delay_alu instid0(VALU_DEP_1) | instskip(NEXT) | instid1(VALU_DEP_1)
	v_dual_add_nc_u32 v99, 14, v97 :: v_dual_add_nc_u32 v54, v25, v24
                                        ; implicit-def: $vgpr24_vgpr25
	v_cmpx_ne_u32_e32 0, v99
	s_xor_b32 s10, exec_lo, s10
; %bb.4392:                             ;   in Loop: Header=BB4_4196 Depth=2
	s_delay_alu instid0(VALU_DEP_2) | instskip(SKIP_1) | instid1(VALU_DEP_1)
	v_cmp_lt_u64_e64 s7, 0xffffff, v[54:55]
	v_add_nc_u32_e32 v24, 15, v97
	v_cndmask_b32_e64 v96, v99, v24, s7
	v_cndmask_b32_e64 v24, 0, 1, s7
	s_delay_alu instid0(VALU_DEP_1)
	v_lshrrev_b64 v[24:25], v24, v[54:55]
; %bb.4393:                             ;   in Loop: Header=BB4_4196 Depth=2
	s_and_not1_saveexec_b32 s7, s10
; %bb.4394:                             ;   in Loop: Header=BB4_4196 Depth=2
	v_mov_b64_e32 v[24:25], v[54:55]
	v_bfe_u32 v96, v54, 23, 1
; %bb.4395:                             ;   in Loop: Header=BB4_4196 Depth=2
	s_or_b32 exec_lo, exec_lo, s7
	s_delay_alu instid0(VALU_DEP_2) | instskip(NEXT) | instid1(VALU_DEP_2)
	v_lshrrev_b64 v[24:25], 21, v[24:25]
	v_cmp_gt_i32_e64 s7, 32, v96
	v_min_i32_e32 v54, 31, v96
	v_cmp_eq_u32_e64 s10, 0, v96
	s_delay_alu instid0(VALU_DEP_2) | instskip(SKIP_1) | instid1(VALU_DEP_2)
	v_dual_cndmask_b32 v25, 0, v25, s7 :: v_dual_lshlrev_b32 v54, 2, v54
	v_cndmask_b32_e64 v24, 3, v24, s7
	v_and_b32_e32 v54, 0xfc, v54
	s_delay_alu instid0(VALU_DEP_2) | instskip(NEXT) | instid1(VALU_DEP_2)
	v_cmp_eq_u64_e64 s7, 0, v[24:25]
	v_and_or_b32 v24, v24, 3, v54
	s_and_b32 s7, s10, s7
	s_delay_alu instid0(VALU_DEP_1) | instid1(SALU_CYCLE_1)
	v_cndmask_b32_e64 v24, v24, 0, s7
	s_delay_alu instid0(VALU_DEP_1)
	v_or_b32_e32 v99, v24, v113
.LBB4_4396:                             ;   in Loop: Header=BB4_4196 Depth=2
	s_or_b32 exec_lo, exec_lo, s28
                                        ; implicit-def: $vgpr113
.LBB4_4397:                             ;   in Loop: Header=BB4_4196 Depth=2
	s_and_not1_saveexec_b32 s7, s27
; %bb.4398:                             ;   in Loop: Header=BB4_4196 Depth=2
	v_or_b32_e32 v99, 0x7b, v113
; %bb.4399:                             ;   in Loop: Header=BB4_4196 Depth=2
	s_or_b32 exec_lo, exec_lo, s7
                                        ; implicit-def: $vgpr24
                                        ; implicit-def: $vgpr25
.LBB4_4400:                             ;   in Loop: Header=BB4_4196 Depth=2
	s_and_not1_saveexec_b32 s10, s26
	s_cbranch_execz .LBB4_4406
; %bb.4401:                             ;   in Loop: Header=BB4_4196 Depth=2
	v_cmp_ne_u64_e64 s7, 0, v[54:55]
                                        ; implicit-def: $vgpr99
	s_and_saveexec_b32 s26, s7
	s_delay_alu instid0(SALU_CYCLE_1)
	s_xor_b32 s7, exec_lo, s26
; %bb.4402:                             ;   in Loop: Header=BB4_4196 Depth=2
	v_or_b32_e32 v99, 0x7f, v25
                                        ; implicit-def: $vgpr24
; %bb.4403:                             ;   in Loop: Header=BB4_4196 Depth=2
	s_and_not1_saveexec_b32 s26, s7
; %bb.4404:                             ;   in Loop: Header=BB4_4196 Depth=2
	v_cmp_lt_i32_e64 s7, -1, v24
	s_delay_alu instid0(VALU_DEP_1)
	v_cndmask_b32_e64 v99, 0xfc, v110, s7
; %bb.4405:                             ;   in Loop: Header=BB4_4196 Depth=2
	s_or_b32 exec_lo, exec_lo, s26
.LBB4_4406:                             ;   in Loop: Header=BB4_4196 Depth=2
	s_delay_alu instid0(SALU_CYCLE_1) | instskip(SKIP_2) | instid1(VALU_DEP_1)
	s_or_b32 exec_lo, exec_lo, s10
	v_dual_mov_b32 v25, 0 :: v_dual_lshrrev_b32 v24, 16, v15
	s_mov_b32 s10, exec_lo
	v_and_b32_e32 v54, 0xff, v24
	s_delay_alu instid0(VALU_DEP_1)
	v_cmpx_ne_u16_e32 0, v54
	s_cbranch_execz .LBB4_4416
; %bb.4407:                             ;   in Loop: Header=BB4_4196 Depth=2
	v_bfrev_b32_e32 v25, 1
	s_mov_b32 s26, exec_lo
	v_cmpx_ne_u16_e32 0x80, v54
	s_cbranch_execz .LBB4_4415
; %bb.4408:                             ;   in Loop: Header=BB4_4196 Depth=2
	v_and_b32_e32 v25, 0x7c0000, v15
	v_bfe_u32 v54, v15, 16, 2
	s_delay_alu instid0(VALU_DEP_2) | instskip(SKIP_1) | instid1(SALU_CYCLE_1)
	v_cmp_ne_u32_e64 s7, 0x7c0000, v25
                                        ; implicit-def: $vgpr25
	s_and_saveexec_b32 s27, s7
	s_xor_b32 s27, exec_lo, s27
	s_cbranch_execz .LBB4_4412
; %bb.4409:                             ;   in Loop: Header=BB4_4196 Depth=2
	v_bfe_u32 v25, v15, 18, 5
	s_mov_b32 s28, exec_lo
	s_delay_alu instid0(VALU_DEP_1)
	v_cmpx_eq_u32_e32 0, v25
; %bb.4410:                             ;   in Loop: Header=BB4_4196 Depth=2
	v_clz_i32_u32_e32 v25, v54
	s_delay_alu instid0(VALU_DEP_1) | instskip(NEXT) | instid1(VALU_DEP_1)
	v_min_u32_e32 v25, 32, v25
	v_subrev_nc_u32_e32 v54, 29, v25
	s_delay_alu instid0(VALU_DEP_1) | instskip(NEXT) | instid1(VALU_DEP_1)
	v_lshlrev_b64_e32 v[96:97], v54, v[24:25]
	v_dual_sub_nc_u32 v25, 30, v25 :: v_dual_bitop2_b32 v54, 3, v96 bitop3:0x40
; %bb.4411:                             ;   in Loop: Header=BB4_4196 Depth=2
	s_or_b32 exec_lo, exec_lo, s28
	v_lshlrev_b32_e32 v24, 24, v24
	s_delay_alu instid0(VALU_DEP_1) | instskip(NEXT) | instid1(VALU_DEP_1)
	v_and_b32_e32 v24, 0x80000000, v24
	v_lshl_add_u32 v24, v25, 23, v24
	s_delay_alu instid0(VALU_DEP_1) | instskip(NEXT) | instid1(VALU_DEP_1)
	v_lshl_or_b32 v24, v54, 21, v24
                                        ; implicit-def: $vgpr54
	v_add_nc_u32_e32 v25, 0x38000000, v24
                                        ; implicit-def: $vgpr24
.LBB4_4412:                             ;   in Loop: Header=BB4_4196 Depth=2
	s_and_not1_saveexec_b32 s27, s27
; %bb.4413:                             ;   in Loop: Header=BB4_4196 Depth=2
	v_bfe_i32 v24, v24, 0, 8
	s_delay_alu instid0(VALU_DEP_1) | instskip(NEXT) | instid1(VALU_DEP_1)
	v_cmp_lt_i16_e64 s7, -1, v24
	v_cndmask_b32_e64 v24, 0xff800000, v109, s7
	v_cmp_eq_u32_e64 s7, 0, v54
	s_delay_alu instid0(VALU_DEP_1)
	v_cndmask_b32_e64 v25, 0x7f800001, v24, s7
; %bb.4414:                             ;   in Loop: Header=BB4_4196 Depth=2
	s_or_b32 exec_lo, exec_lo, s27
.LBB4_4415:                             ;   in Loop: Header=BB4_4196 Depth=2
	s_delay_alu instid0(SALU_CYCLE_1)
	s_or_b32 exec_lo, exec_lo, s26
.LBB4_4416:                             ;   in Loop: Header=BB4_4196 Depth=2
	s_delay_alu instid0(SALU_CYCLE_1) | instskip(SKIP_3) | instid1(VALU_DEP_1)
	s_or_b32 exec_lo, exec_lo, s10
	v_lshrrev_b32_e32 v24, 16, v11
	s_mov_b32 s26, 0
	s_mov_b32 s10, exec_lo
	v_and_b32_e32 v96, 0xff, v24
	s_delay_alu instid0(VALU_DEP_1)
	v_cmpx_lt_i16_e32 0x7f, v96
	s_xor_b32 s10, exec_lo, s10
	s_cbranch_execz .LBB4_4757
; %bb.4417:                             ;   in Loop: Header=BB4_4196 Depth=2
	s_mov_b32 s26, -1
	s_mov_b32 s27, exec_lo
	v_cmpx_eq_u16_e32 0x80, v96
; %bb.4418:                             ;   in Loop: Header=BB4_4196 Depth=2
	s_xor_b32 s26, exec_lo, -1
; %bb.4419:                             ;   in Loop: Header=BB4_4196 Depth=2
	s_or_b32 exec_lo, exec_lo, s27
	s_delay_alu instid0(SALU_CYCLE_1)
	s_and_b32 s26, s26, exec_lo
                                        ; implicit-def: $vgpr96
	s_or_saveexec_b32 s10, s10
	v_bfrev_b32_e32 v54, 1
	s_xor_b32 exec_lo, exec_lo, s10
	s_cbranch_execnz .LBB4_4758
.LBB4_4420:                             ;   in Loop: Header=BB4_4196 Depth=2
	s_or_b32 exec_lo, exec_lo, s10
	s_and_saveexec_b32 s10, s26
	s_cbranch_execz .LBB4_4422
.LBB4_4421:                             ;   in Loop: Header=BB4_4196 Depth=2
	v_and_b32_e32 v54, 3, v24
	v_bfe_u32 v114, v11, 18, 5
	s_delay_alu instid0(VALU_DEP_2) | instskip(NEXT) | instid1(VALU_DEP_2)
	v_clz_i32_u32_e32 v96, v54
	v_cmp_eq_u32_e64 s7, 0, v114
	s_delay_alu instid0(VALU_DEP_2) | instskip(NEXT) | instid1(VALU_DEP_1)
	v_min_u32_e32 v113, 32, v96
	v_subrev_nc_u32_e32 v96, 29, v113
	s_delay_alu instid0(VALU_DEP_1) | instskip(SKIP_2) | instid1(VALU_DEP_2)
	v_lshlrev_b64_e32 v[96:97], v96, v[24:25]
	v_dual_lshlrev_b32 v97, 24, v24 :: v_dual_sub_nc_u32 v113, 30, v113
	v_bfe_i32 v24, v24, 0, 8
	v_and_b32_e32 v97, 0x80000000, v97
	s_delay_alu instid0(VALU_DEP_3) | instskip(NEXT) | instid1(VALU_DEP_1)
	v_dual_cndmask_b32 v113, v114, v113, s7 :: v_dual_bitop2_b32 v96, 3, v96 bitop3:0x40
	v_cndmask_b32_e64 v96, v54, v96, s7
	s_delay_alu instid0(VALU_DEP_2) | instskip(SKIP_1) | instid1(VALU_DEP_2)
	v_lshl_add_u32 v97, v113, 23, v97
	v_cmp_lt_i16_e64 s7, -1, v24
	v_lshl_or_b32 v96, v96, 21, v97
	s_delay_alu instid0(VALU_DEP_2) | instskip(SKIP_2) | instid1(VALU_DEP_4)
	v_cndmask_b32_e64 v24, 0xff800000, v109, s7
	v_and_b32_e32 v97, 0x7c0000, v11
	v_cmp_eq_u32_e64 s7, 0, v54
	v_add_nc_u32_e32 v54, 0x38000000, v96
	s_delay_alu instid0(VALU_DEP_2) | instskip(NEXT) | instid1(VALU_DEP_4)
	v_cndmask_b32_e64 v24, 0x7f800001, v24, s7
	v_cmp_eq_u32_e64 s7, 0x7c0000, v97
	s_delay_alu instid0(VALU_DEP_1)
	v_cndmask_b32_e64 v54, v54, v24, s7
.LBB4_4422:                             ;   in Loop: Header=BB4_4196 Depth=2
	s_or_b32 exec_lo, exec_lo, s10
	s_delay_alu instid0(VALU_DEP_1) | instskip(NEXT) | instid1(VALU_DEP_1)
	v_dual_mul_f32 v24, v25, v54 :: v_dual_mov_b32 v97, v55
	v_and_b32_e32 v96, 0x7f800000, v24
	v_and_b32_e32 v54, 0x7fffff, v24
	v_lshrrev_b32_e32 v25, 24, v24
	s_delay_alu instid0(VALU_DEP_3) | instskip(SKIP_1) | instid1(SALU_CYCLE_1)
	v_cmp_ne_u64_e64 s7, 0x7f800000, v[96:97]
                                        ; implicit-def: $vgpr96
	s_and_saveexec_b32 s10, s7
	s_xor_b32 s26, exec_lo, s10
	s_cbranch_execz .LBB4_4436
; %bb.4423:                             ;   in Loop: Header=BB4_4196 Depth=2
	v_and_b32_e32 v96, 0x7fffffff, v24
	v_mov_b32_e32 v97, v55
	v_and_b32_e32 v113, 0x80, v25
	s_delay_alu instid0(VALU_DEP_2) | instskip(SKIP_1) | instid1(SALU_CYCLE_1)
	v_cmp_gt_u64_e64 s7, 0x47600001, v[96:97]
                                        ; implicit-def: $vgpr96
	s_and_saveexec_b32 s10, s7
	s_xor_b32 s27, exec_lo, s10
	s_cbranch_execz .LBB4_4433
; %bb.4424:                             ;   in Loop: Header=BB4_4196 Depth=2
	v_mov_b32_e32 v96, 0
	s_mov_b32 s28, exec_lo
	v_cmpx_ne_u32_e32 0, v24
	s_cbranch_execz .LBB4_4432
; %bb.4425:                             ;   in Loop: Header=BB4_4196 Depth=2
	v_bfe_u32 v114, v24, 23, 8
	v_or_b32_e32 v96, 0x800000, v54
	s_delay_alu instid0(VALU_DEP_2) | instskip(SKIP_1) | instid1(VALU_DEP_1)
	v_sub_nc_u32_e32 v24, 0x71, v114
	v_cmp_gt_u32_e64 s7, 0x72, v114
	v_cndmask_b32_e64 v24, 0, v24, s7
	v_cmp_eq_u32_e64 s7, 0, v114
	s_delay_alu instid0(VALU_DEP_1) | instskip(NEXT) | instid1(VALU_DEP_1)
	v_cndmask_b32_e64 v115, v24, 0x70, s7
	v_dual_cndmask_b32 v54, v96, v54, s7 :: v_dual_add_nc_u32 v24, 21, v115
	v_add_nc_u32_e32 v97, 20, v115
	s_delay_alu instid0(VALU_DEP_2) | instskip(NEXT) | instid1(VALU_DEP_2)
	v_lshlrev_b64_e64 v[24:25], v24, -1
	v_lshlrev_b64_e64 v[96:97], v97, 1
	s_delay_alu instid0(VALU_DEP_2) | instskip(NEXT) | instid1(VALU_DEP_3)
	v_bfi_b32 v117, v25, 0, 0
	v_bfi_b32 v116, v24, 0, v54
	v_lshrrev_b64 v[24:25], v115, v[54:55]
	s_delay_alu instid0(VALU_DEP_2) | instskip(NEXT) | instid1(VALU_DEP_2)
	v_cmp_eq_u64_e64 s10, v[116:117], v[96:97]
	v_mov_b64_e32 v[96:97], v[24:25]
	s_and_saveexec_b32 s29, s10
; %bb.4426:                             ;   in Loop: Header=BB4_4196 Depth=2
	v_bfe_u32 v54, v24, 21, 1
	s_delay_alu instid0(VALU_DEP_1) | instskip(NEXT) | instid1(VALU_DEP_1)
	v_add_nc_u64_e32 v[96:97], v[24:25], v[54:55]
	v_add_nc_u64_e32 v[96:97], -1, v[96:97]
; %bb.4427:                             ;   in Loop: Header=BB4_4196 Depth=2
	s_or_b32 exec_lo, exec_lo, s29
	v_add_nc_u32_e32 v25, 0xffffff81, v114
	v_lshrrev_b32_e32 v54, 23, v24
	s_mov_b32 s10, exec_lo
	s_delay_alu instid0(VALU_DEP_2) | instskip(NEXT) | instid1(VALU_DEP_1)
	v_cndmask_b32_e64 v25, v25, 0xffffff82, s7
	v_add3_u32 v97, v115, v25, v54
	v_and_b32_e32 v25, 0x1fffff, v96
                                        ; implicit-def: $vgpr96
	s_delay_alu instid0(VALU_DEP_1) | instskip(NEXT) | instid1(VALU_DEP_1)
	v_dual_add_nc_u32 v114, 14, v97 :: v_dual_add_nc_u32 v54, v25, v24
                                        ; implicit-def: $vgpr24_vgpr25
	v_cmpx_ne_u32_e32 0, v114
	s_xor_b32 s10, exec_lo, s10
; %bb.4428:                             ;   in Loop: Header=BB4_4196 Depth=2
	s_delay_alu instid0(VALU_DEP_2) | instskip(SKIP_1) | instid1(VALU_DEP_1)
	v_cmp_lt_u64_e64 s7, 0xffffff, v[54:55]
	v_add_nc_u32_e32 v24, 15, v97
	v_cndmask_b32_e64 v96, v114, v24, s7
	v_cndmask_b32_e64 v24, 0, 1, s7
	s_delay_alu instid0(VALU_DEP_1)
	v_lshrrev_b64 v[24:25], v24, v[54:55]
; %bb.4429:                             ;   in Loop: Header=BB4_4196 Depth=2
	s_and_not1_saveexec_b32 s7, s10
; %bb.4430:                             ;   in Loop: Header=BB4_4196 Depth=2
	v_mov_b64_e32 v[24:25], v[54:55]
	v_bfe_u32 v96, v54, 23, 1
; %bb.4431:                             ;   in Loop: Header=BB4_4196 Depth=2
	s_or_b32 exec_lo, exec_lo, s7
	s_delay_alu instid0(VALU_DEP_2) | instskip(NEXT) | instid1(VALU_DEP_2)
	v_lshrrev_b64 v[24:25], 21, v[24:25]
	v_cmp_gt_i32_e64 s7, 32, v96
	v_min_i32_e32 v54, 31, v96
	v_cmp_eq_u32_e64 s10, 0, v96
	s_delay_alu instid0(VALU_DEP_2) | instskip(SKIP_1) | instid1(VALU_DEP_2)
	v_dual_cndmask_b32 v25, 0, v25, s7 :: v_dual_lshlrev_b32 v54, 2, v54
	v_cndmask_b32_e64 v24, 3, v24, s7
	v_and_b32_e32 v54, 0xfc, v54
	s_delay_alu instid0(VALU_DEP_2) | instskip(NEXT) | instid1(VALU_DEP_2)
	v_cmp_eq_u64_e64 s7, 0, v[24:25]
	v_and_or_b32 v24, v24, 3, v54
	s_and_b32 s7, s10, s7
	s_delay_alu instid0(VALU_DEP_1) | instid1(SALU_CYCLE_1)
	v_cndmask_b32_e64 v24, v24, 0, s7
	s_delay_alu instid0(VALU_DEP_1)
	v_or_b32_e32 v96, v24, v113
.LBB4_4432:                             ;   in Loop: Header=BB4_4196 Depth=2
	s_or_b32 exec_lo, exec_lo, s28
                                        ; implicit-def: $vgpr113
.LBB4_4433:                             ;   in Loop: Header=BB4_4196 Depth=2
	s_and_not1_saveexec_b32 s7, s27
; %bb.4434:                             ;   in Loop: Header=BB4_4196 Depth=2
	v_or_b32_e32 v96, 0x7b, v113
; %bb.4435:                             ;   in Loop: Header=BB4_4196 Depth=2
	s_or_b32 exec_lo, exec_lo, s7
                                        ; implicit-def: $vgpr24
                                        ; implicit-def: $vgpr25
.LBB4_4436:                             ;   in Loop: Header=BB4_4196 Depth=2
	s_and_not1_saveexec_b32 s10, s26
	s_cbranch_execz .LBB4_4442
; %bb.4437:                             ;   in Loop: Header=BB4_4196 Depth=2
	v_cmp_ne_u64_e64 s7, 0, v[54:55]
                                        ; implicit-def: $vgpr96
	s_and_saveexec_b32 s26, s7
	s_delay_alu instid0(SALU_CYCLE_1)
	s_xor_b32 s7, exec_lo, s26
; %bb.4438:                             ;   in Loop: Header=BB4_4196 Depth=2
	v_or_b32_e32 v96, 0x7f, v25
                                        ; implicit-def: $vgpr24
; %bb.4439:                             ;   in Loop: Header=BB4_4196 Depth=2
	s_and_not1_saveexec_b32 s26, s7
; %bb.4440:                             ;   in Loop: Header=BB4_4196 Depth=2
	v_cmp_lt_i32_e64 s7, -1, v24
	s_delay_alu instid0(VALU_DEP_1)
	v_cndmask_b32_e64 v96, 0xfc, v110, s7
; %bb.4441:                             ;   in Loop: Header=BB4_4196 Depth=2
	s_or_b32 exec_lo, exec_lo, s26
.LBB4_4442:                             ;   in Loop: Header=BB4_4196 Depth=2
	s_delay_alu instid0(SALU_CYCLE_1)
	s_or_b32 exec_lo, exec_lo, s10
	v_mov_b32_e32 v25, 0
	s_mov_b32 s10, exec_lo
	v_cmpx_lt_u64_e64 s[12:13], v[14:15]
	s_cbranch_execz .LBB4_4452
; %bb.4443:                             ;   in Loop: Header=BB4_4196 Depth=2
	v_lshrrev_b32_e32 v24, 24, v15
	v_bfrev_b32_e32 v25, 1
	s_mov_b32 s26, exec_lo
	s_delay_alu instid0(VALU_DEP_2)
	v_cmpx_ne_u32_e32 0x80, v24
	s_cbranch_execz .LBB4_4451
; %bb.4444:                             ;   in Loop: Header=BB4_4196 Depth=2
	v_and_b32_e32 v25, 0x7c000000, v15
	v_bfe_u32 v54, v15, 24, 2
	s_delay_alu instid0(VALU_DEP_2) | instskip(SKIP_1) | instid1(SALU_CYCLE_1)
	v_cmp_ne_u32_e64 s7, 0x7c000000, v25
                                        ; implicit-def: $vgpr25
	s_and_saveexec_b32 s27, s7
	s_xor_b32 s27, exec_lo, s27
	s_cbranch_execz .LBB4_4448
; %bb.4445:                             ;   in Loop: Header=BB4_4196 Depth=2
	v_bfe_u32 v25, v15, 26, 5
	s_mov_b32 s28, exec_lo
	s_delay_alu instid0(VALU_DEP_1)
	v_cmpx_eq_u32_e32 0, v25
; %bb.4446:                             ;   in Loop: Header=BB4_4196 Depth=2
	v_clz_i32_u32_e32 v25, v54
	s_delay_alu instid0(VALU_DEP_1) | instskip(NEXT) | instid1(VALU_DEP_1)
	v_min_u32_e32 v54, 32, v25
	v_subrev_nc_u32_e32 v25, 29, v54
	s_delay_alu instid0(VALU_DEP_1) | instskip(NEXT) | instid1(VALU_DEP_1)
	v_lshlrev_b64_e32 v[24:25], v25, v[24:25]
	v_dual_sub_nc_u32 v25, 30, v54 :: v_dual_bitop2_b32 v54, 3, v24 bitop3:0x40
; %bb.4447:                             ;   in Loop: Header=BB4_4196 Depth=2
	s_or_b32 exec_lo, exec_lo, s28
	v_and_b32_e32 v24, 0x80000000, v15
	s_delay_alu instid0(VALU_DEP_1) | instskip(NEXT) | instid1(VALU_DEP_1)
	v_lshl_add_u32 v24, v25, 23, v24
	v_lshl_or_b32 v24, v54, 21, v24
                                        ; implicit-def: $vgpr54
	s_delay_alu instid0(VALU_DEP_1)
	v_add_nc_u32_e32 v25, 0x38000000, v24
.LBB4_4448:                             ;   in Loop: Header=BB4_4196 Depth=2
	s_and_not1_saveexec_b32 s27, s27
; %bb.4449:                             ;   in Loop: Header=BB4_4196 Depth=2
	v_cmp_lt_i64_e64 s7, -1, v[14:15]
	s_delay_alu instid0(VALU_DEP_1) | instskip(SKIP_1) | instid1(VALU_DEP_1)
	v_cndmask_b32_e64 v14, 0xff800000, v109, s7
	v_cmp_eq_u32_e64 s7, 0, v54
	v_cndmask_b32_e64 v25, 0x7f800001, v14, s7
; %bb.4450:                             ;   in Loop: Header=BB4_4196 Depth=2
	s_or_b32 exec_lo, exec_lo, s27
.LBB4_4451:                             ;   in Loop: Header=BB4_4196 Depth=2
	s_delay_alu instid0(SALU_CYCLE_1)
	s_or_b32 exec_lo, exec_lo, s26
.LBB4_4452:                             ;   in Loop: Header=BB4_4196 Depth=2
	s_delay_alu instid0(SALU_CYCLE_1) | instskip(SKIP_3) | instid1(VALU_DEP_2)
	s_or_b32 exec_lo, exec_lo, s10
	v_bfe_u32 v15, v11, 24, 2
	v_bfe_u32 v97, v11, 26, 5
	s_mov_b32 s10, exec_lo
	v_clz_i32_u32_e32 v14, v15
	s_delay_alu instid0(VALU_DEP_2) | instskip(NEXT) | instid1(VALU_DEP_2)
	v_cmp_eq_u32_e64 s7, 0, v97
	v_min_u32_e32 v24, 32, v14
	v_lshrrev_b32_e32 v14, 24, v11
	s_delay_alu instid0(VALU_DEP_2) | instskip(SKIP_1) | instid1(VALU_DEP_2)
	v_subrev_nc_u32_e32 v54, 29, v24
	v_sub_nc_u32_e32 v24, 30, v24
	v_lshlrev_b64_e32 v[114:115], v54, v[14:15]
	v_and_b32_e32 v54, 0x80000000, v11
	s_delay_alu instid0(VALU_DEP_2) | instskip(NEXT) | instid1(VALU_DEP_1)
	v_dual_cndmask_b32 v24, v97, v24, s7 :: v_dual_bitop2_b32 v97, 3, v114 bitop3:0x40
	v_lshl_add_u32 v24, v24, 23, v54
	s_delay_alu instid0(VALU_DEP_2) | instskip(SKIP_1) | instid1(VALU_DEP_2)
	v_cndmask_b32_e64 v54, v15, v97, s7
	v_cmp_lt_i64_e64 s7, -1, v[10:11]
	v_lshl_or_b32 v24, v54, 21, v24
	v_and_b32_e32 v54, 0x7c000000, v11
	s_delay_alu instid0(VALU_DEP_3) | instskip(SKIP_1) | instid1(VALU_DEP_4)
	v_cndmask_b32_e64 v97, 0xff800000, v109, s7
	v_cmp_eq_u32_e64 s7, 0, v15
	v_add_nc_u32_e32 v24, 0x38000000, v24
	s_delay_alu instid0(VALU_DEP_2) | instskip(SKIP_1) | instid1(VALU_DEP_1)
	v_cndmask_b32_e64 v15, 0x7f800001, v97, s7
	v_cmp_eq_u32_e64 s7, 0x7c000000, v54
                                        ; implicit-def: $vgpr97
	v_cndmask_b32_e64 v15, v24, v15, s7
	v_cmp_ne_u32_e64 s7, 0x80, v14
	s_delay_alu instid0(VALU_DEP_1) | instskip(SKIP_1) | instid1(VALU_DEP_1)
	v_cndmask_b32_e64 v14, 0x80000000, v15, s7
	v_cmp_lt_u64_e64 s7, s[12:13], v[10:11]
	v_dual_mov_b32 v15, v55 :: v_dual_cndmask_b32 v10, 0, v14, s7
	s_delay_alu instid0(VALU_DEP_1) | instskip(NEXT) | instid1(VALU_DEP_1)
	v_mul_f32_e32 v10, v10, v25
	v_and_b32_e32 v14, 0x7f800000, v10
	v_and_b32_e32 v54, 0x7fffff, v10
	v_lshrrev_b32_e32 v11, 24, v10
	s_delay_alu instid0(VALU_DEP_3)
	v_cmpx_ne_u64_e32 0x7f800000, v[14:15]
	s_xor_b32 s26, exec_lo, s10
	s_cbranch_execz .LBB4_4466
; %bb.4453:                             ;   in Loop: Header=BB4_4196 Depth=2
	v_and_b32_e32 v14, 0x7fffffff, v10
	v_mov_b32_e32 v15, v55
	v_and_b32_e32 v24, 0x80, v11
                                        ; implicit-def: $vgpr97
	s_mov_b32 s10, exec_lo
	s_delay_alu instid0(VALU_DEP_2)
	v_cmpx_gt_u64_e32 0x47600001, v[14:15]
	s_xor_b32 s27, exec_lo, s10
	s_cbranch_execz .LBB4_4463
; %bb.4454:                             ;   in Loop: Header=BB4_4196 Depth=2
	v_mov_b32_e32 v97, 0
	s_mov_b32 s28, exec_lo
	v_cmpx_ne_u32_e32 0, v10
	s_cbranch_execz .LBB4_4462
; %bb.4455:                             ;   in Loop: Header=BB4_4196 Depth=2
	v_bfe_u32 v25, v10, 23, 8
	v_or_b32_e32 v14, 0x800000, v54
	s_delay_alu instid0(VALU_DEP_2) | instskip(SKIP_1) | instid1(VALU_DEP_1)
	v_sub_nc_u32_e32 v10, 0x71, v25
	v_cmp_gt_u32_e64 s7, 0x72, v25
	v_cndmask_b32_e64 v10, 0, v10, s7
	v_cmp_eq_u32_e64 s7, 0, v25
	s_delay_alu instid0(VALU_DEP_1) | instskip(NEXT) | instid1(VALU_DEP_1)
	v_cndmask_b32_e64 v97, v10, 0x70, s7
	v_dual_cndmask_b32 v54, v14, v54, s7 :: v_dual_add_nc_u32 v10, 21, v97
	v_add_nc_u32_e32 v15, 20, v97
	s_delay_alu instid0(VALU_DEP_2) | instskip(NEXT) | instid1(VALU_DEP_2)
	v_lshlrev_b64_e64 v[10:11], v10, -1
	v_lshlrev_b64_e64 v[14:15], v15, 1
	s_delay_alu instid0(VALU_DEP_2) | instskip(NEXT) | instid1(VALU_DEP_3)
	v_bfi_b32 v115, v11, 0, 0
	v_bfi_b32 v114, v10, 0, v54
	v_lshrrev_b64 v[10:11], v97, v[54:55]
	s_delay_alu instid0(VALU_DEP_2) | instskip(NEXT) | instid1(VALU_DEP_2)
	v_cmp_eq_u64_e64 s10, v[114:115], v[14:15]
	v_mov_b64_e32 v[14:15], v[10:11]
	s_and_saveexec_b32 s29, s10
; %bb.4456:                             ;   in Loop: Header=BB4_4196 Depth=2
	v_bfe_u32 v54, v10, 21, 1
	s_delay_alu instid0(VALU_DEP_1) | instskip(NEXT) | instid1(VALU_DEP_1)
	v_add_nc_u64_e32 v[14:15], v[10:11], v[54:55]
	v_add_nc_u64_e32 v[14:15], -1, v[14:15]
; %bb.4457:                             ;   in Loop: Header=BB4_4196 Depth=2
	s_or_b32 exec_lo, exec_lo, s29
	v_add_nc_u32_e32 v11, 0xffffff81, v25
	v_lshrrev_b32_e32 v15, 23, v10
	s_mov_b32 s10, exec_lo
	s_delay_alu instid0(VALU_DEP_2) | instskip(NEXT) | instid1(VALU_DEP_1)
	v_cndmask_b32_e64 v11, v11, 0xffffff82, s7
	v_add3_u32 v15, v97, v11, v15
	v_and_b32_e32 v11, 0x1fffff, v14
                                        ; implicit-def: $vgpr14
	s_delay_alu instid0(VALU_DEP_1) | instskip(NEXT) | instid1(VALU_DEP_1)
	v_dual_add_nc_u32 v25, 14, v15 :: v_dual_add_nc_u32 v54, v11, v10
                                        ; implicit-def: $vgpr10_vgpr11
	v_cmpx_ne_u32_e32 0, v25
	s_xor_b32 s10, exec_lo, s10
; %bb.4458:                             ;   in Loop: Header=BB4_4196 Depth=2
	s_delay_alu instid0(VALU_DEP_2) | instskip(SKIP_1) | instid1(VALU_DEP_1)
	v_cmp_lt_u64_e64 s7, 0xffffff, v[54:55]
	v_add_nc_u32_e32 v10, 15, v15
	v_cndmask_b32_e64 v14, v25, v10, s7
	v_cndmask_b32_e64 v10, 0, 1, s7
	s_delay_alu instid0(VALU_DEP_1)
	v_lshrrev_b64 v[10:11], v10, v[54:55]
; %bb.4459:                             ;   in Loop: Header=BB4_4196 Depth=2
	s_and_not1_saveexec_b32 s7, s10
; %bb.4460:                             ;   in Loop: Header=BB4_4196 Depth=2
	v_mov_b64_e32 v[10:11], v[54:55]
	v_bfe_u32 v14, v54, 23, 1
; %bb.4461:                             ;   in Loop: Header=BB4_4196 Depth=2
	s_or_b32 exec_lo, exec_lo, s7
	s_delay_alu instid0(VALU_DEP_2) | instskip(NEXT) | instid1(VALU_DEP_2)
	v_lshrrev_b64 v[10:11], 21, v[10:11]
	v_cmp_gt_i32_e64 s7, 32, v14
	v_min_i32_e32 v15, 31, v14
	v_cmp_eq_u32_e64 s10, 0, v14
	s_delay_alu instid0(VALU_DEP_3) | instskip(NEXT) | instid1(VALU_DEP_3)
	v_cndmask_b32_e64 v11, 0, v11, s7
	v_dual_lshlrev_b32 v15, 2, v15 :: v_dual_cndmask_b32 v10, 3, v10, s7
	s_delay_alu instid0(VALU_DEP_1) | instskip(NEXT) | instid1(VALU_DEP_2)
	v_and_b32_e32 v15, 0xfc, v15
	v_cmp_eq_u64_e64 s7, 0, v[10:11]
	s_delay_alu instid0(VALU_DEP_2)
	v_and_or_b32 v10, v10, 3, v15
	s_and_b32 s7, s10, s7
	s_delay_alu instid0(VALU_DEP_1) | instid1(SALU_CYCLE_1)
	v_cndmask_b32_e64 v10, v10, 0, s7
	s_delay_alu instid0(VALU_DEP_1)
	v_or_b32_e32 v97, v10, v24
.LBB4_4462:                             ;   in Loop: Header=BB4_4196 Depth=2
	s_or_b32 exec_lo, exec_lo, s28
                                        ; implicit-def: $vgpr24
.LBB4_4463:                             ;   in Loop: Header=BB4_4196 Depth=2
	s_and_not1_saveexec_b32 s7, s27
; %bb.4464:                             ;   in Loop: Header=BB4_4196 Depth=2
	v_or_b32_e32 v97, 0x7b, v24
; %bb.4465:                             ;   in Loop: Header=BB4_4196 Depth=2
	s_or_b32 exec_lo, exec_lo, s7
                                        ; implicit-def: $vgpr10
                                        ; implicit-def: $vgpr11
.LBB4_4466:                             ;   in Loop: Header=BB4_4196 Depth=2
	s_and_not1_saveexec_b32 s10, s26
	s_cbranch_execz .LBB4_4472
; %bb.4467:                             ;   in Loop: Header=BB4_4196 Depth=2
	v_cmp_ne_u64_e64 s7, 0, v[54:55]
                                        ; implicit-def: $vgpr97
	s_and_saveexec_b32 s26, s7
	s_delay_alu instid0(SALU_CYCLE_1)
	s_xor_b32 s7, exec_lo, s26
; %bb.4468:                             ;   in Loop: Header=BB4_4196 Depth=2
	v_or_b32_e32 v97, 0x7f, v11
                                        ; implicit-def: $vgpr10
; %bb.4469:                             ;   in Loop: Header=BB4_4196 Depth=2
	s_and_not1_saveexec_b32 s26, s7
; %bb.4470:                             ;   in Loop: Header=BB4_4196 Depth=2
	v_cmp_lt_i32_e64 s7, -1, v10
	s_delay_alu instid0(VALU_DEP_1)
	v_cndmask_b32_e64 v97, 0xfc, v110, s7
; %bb.4471:                             ;   in Loop: Header=BB4_4196 Depth=2
	s_or_b32 exec_lo, exec_lo, s26
.LBB4_4472:                             ;   in Loop: Header=BB4_4196 Depth=2
	s_delay_alu instid0(SALU_CYCLE_1) | instskip(SKIP_1) | instid1(VALU_DEP_1)
	s_or_b32 exec_lo, exec_lo, s10
	v_and_b32_e32 v10, 0xff, v16
	v_cmp_ne_u16_e64 s7, 0, v10
	v_mov_b32_e32 v10, 0
	s_and_saveexec_b32 s10, s7
	s_cbranch_execz .LBB4_4482
; %bb.4473:                             ;   in Loop: Header=BB4_4196 Depth=2
	v_bfe_i32 v14, v16, 0, 8
	v_bfrev_b32_e32 v10, 1
	s_mov_b32 s26, exec_lo
	s_delay_alu instid0(VALU_DEP_2)
	v_cmpx_ne_u16_e32 0xff80, v14
	s_cbranch_execz .LBB4_4481
; %bb.4474:                             ;   in Loop: Header=BB4_4196 Depth=2
	v_and_b32_e32 v10, 0x7c, v16
	v_and_b32_e32 v11, 3, v16
	s_delay_alu instid0(VALU_DEP_2) | instskip(SKIP_1) | instid1(SALU_CYCLE_1)
	v_cmp_ne_u32_e64 s7, 0x7c, v10
                                        ; implicit-def: $vgpr10
	s_and_saveexec_b32 s27, s7
	s_xor_b32 s27, exec_lo, s27
	s_cbranch_execz .LBB4_4478
; %bb.4475:                             ;   in Loop: Header=BB4_4196 Depth=2
	v_bfe_u32 v10, v16, 2, 5
	s_mov_b32 s28, exec_lo
	s_delay_alu instid0(VALU_DEP_1)
	v_cmpx_eq_u32_e32 0, v10
; %bb.4476:                             ;   in Loop: Header=BB4_4196 Depth=2
	v_clz_i32_u32_e32 v10, v11
	s_delay_alu instid0(VALU_DEP_1) | instskip(NEXT) | instid1(VALU_DEP_1)
	v_min_u32_e32 v10, 32, v10
	v_subrev_nc_u32_e32 v11, 29, v10
	v_sub_nc_u32_e32 v10, 30, v10
	s_delay_alu instid0(VALU_DEP_2) | instskip(NEXT) | instid1(VALU_DEP_1)
	v_lshlrev_b64_e32 v[14:15], v11, v[16:17]
	v_and_b32_e32 v11, 3, v14
; %bb.4477:                             ;   in Loop: Header=BB4_4196 Depth=2
	s_or_b32 exec_lo, exec_lo, s28
	v_lshlrev_b32_e32 v14, 24, v16
	s_delay_alu instid0(VALU_DEP_1) | instskip(NEXT) | instid1(VALU_DEP_1)
	v_and_b32_e32 v14, 0x80000000, v14
	v_lshl_add_u32 v10, v10, 23, v14
                                        ; implicit-def: $vgpr14
	s_delay_alu instid0(VALU_DEP_1) | instskip(NEXT) | instid1(VALU_DEP_1)
	v_lshl_or_b32 v10, v11, 21, v10
                                        ; implicit-def: $vgpr11
	v_add_nc_u32_e32 v10, 0x38000000, v10
.LBB4_4478:                             ;   in Loop: Header=BB4_4196 Depth=2
	s_and_not1_saveexec_b32 s27, s27
; %bb.4479:                             ;   in Loop: Header=BB4_4196 Depth=2
	v_cmp_lt_i16_e64 s7, -1, v14
	s_delay_alu instid0(VALU_DEP_1) | instskip(SKIP_1) | instid1(VALU_DEP_1)
	v_cndmask_b32_e64 v10, 0xff800000, v109, s7
	v_cmp_eq_u32_e64 s7, 0, v11
	v_cndmask_b32_e64 v10, 0x7f800001, v10, s7
; %bb.4480:                             ;   in Loop: Header=BB4_4196 Depth=2
	s_or_b32 exec_lo, exec_lo, s27
.LBB4_4481:                             ;   in Loop: Header=BB4_4196 Depth=2
	s_delay_alu instid0(SALU_CYCLE_1)
	s_or_b32 exec_lo, exec_lo, s26
.LBB4_4482:                             ;   in Loop: Header=BB4_4196 Depth=2
	s_delay_alu instid0(SALU_CYCLE_1) | instskip(SKIP_3) | instid1(VALU_DEP_1)
	s_or_b32 exec_lo, exec_lo, s10
	v_and_b32_e32 v14, 0xff, v12
	s_mov_b32 s26, 0
	s_mov_b32 s10, exec_lo
	v_cmpx_lt_i16_e32 0x7f, v14
	s_xor_b32 s10, exec_lo, s10
	s_cbranch_execz .LBB4_4759
; %bb.4483:                             ;   in Loop: Header=BB4_4196 Depth=2
	s_mov_b32 s26, -1
	s_mov_b32 s27, exec_lo
	v_cmpx_eq_u16_e32 0x80, v14
; %bb.4484:                             ;   in Loop: Header=BB4_4196 Depth=2
	s_xor_b32 s26, exec_lo, -1
; %bb.4485:                             ;   in Loop: Header=BB4_4196 Depth=2
	s_or_b32 exec_lo, exec_lo, s27
	s_delay_alu instid0(SALU_CYCLE_1)
	s_and_b32 s26, s26, exec_lo
                                        ; implicit-def: $vgpr14
	s_or_saveexec_b32 s10, s10
	v_bfrev_b32_e32 v11, 1
	s_xor_b32 exec_lo, exec_lo, s10
	s_cbranch_execnz .LBB4_4760
.LBB4_4486:                             ;   in Loop: Header=BB4_4196 Depth=2
	s_or_b32 exec_lo, exec_lo, s10
	s_and_saveexec_b32 s10, s26
	s_cbranch_execz .LBB4_4488
.LBB4_4487:                             ;   in Loop: Header=BB4_4196 Depth=2
	v_and_b32_e32 v11, 3, v12
	v_bfe_u32 v25, v12, 2, 5
	s_delay_alu instid0(VALU_DEP_2) | instskip(NEXT) | instid1(VALU_DEP_2)
	v_clz_i32_u32_e32 v14, v11
	v_cmp_eq_u32_e64 s7, 0, v25
	s_delay_alu instid0(VALU_DEP_2) | instskip(NEXT) | instid1(VALU_DEP_1)
	v_min_u32_e32 v24, 32, v14
	v_subrev_nc_u32_e32 v14, 29, v24
	s_delay_alu instid0(VALU_DEP_1) | instskip(SKIP_2) | instid1(VALU_DEP_2)
	v_lshlrev_b64_e32 v[14:15], v14, v[12:13]
	v_lshlrev_b32_e32 v15, 24, v12
	v_sub_nc_u32_e32 v24, 30, v24
	v_and_b32_e32 v15, 0x80000000, v15
	s_delay_alu instid0(VALU_DEP_2) | instskip(SKIP_1) | instid1(VALU_DEP_2)
	v_dual_cndmask_b32 v24, v25, v24, s7 :: v_dual_bitop2_b32 v14, 3, v14 bitop3:0x40
	v_bfe_i32 v25, v12, 0, 8
	v_cndmask_b32_e64 v14, v11, v14, s7
	s_delay_alu instid0(VALU_DEP_3) | instskip(NEXT) | instid1(VALU_DEP_3)
	v_lshl_add_u32 v15, v24, 23, v15
	v_cmp_lt_i16_e64 s7, -1, v25
	s_delay_alu instid0(VALU_DEP_2) | instskip(NEXT) | instid1(VALU_DEP_2)
	v_lshl_or_b32 v14, v14, 21, v15
	v_cndmask_b32_e64 v24, 0xff800000, v109, s7
	v_and_b32_e32 v15, 0x7c, v12
	v_cmp_eq_u32_e64 s7, 0, v11
	s_delay_alu instid0(VALU_DEP_4) | instskip(NEXT) | instid1(VALU_DEP_2)
	v_add_nc_u32_e32 v14, 0x38000000, v14
	v_cndmask_b32_e64 v11, 0x7f800001, v24, s7
	s_delay_alu instid0(VALU_DEP_4) | instskip(NEXT) | instid1(VALU_DEP_1)
	v_cmp_eq_u32_e64 s7, 0x7c, v15
	v_cndmask_b32_e64 v11, v14, v11, s7
.LBB4_4488:                             ;   in Loop: Header=BB4_4196 Depth=2
	s_or_b32 exec_lo, exec_lo, s10
	s_delay_alu instid0(VALU_DEP_1) | instskip(SKIP_1) | instid1(VALU_DEP_1)
	v_dual_mul_f32 v10, v10, v11 :: v_dual_mov_b32 v15, v55
                                        ; implicit-def: $vgpr113
	s_mov_b32 s10, exec_lo
	v_and_b32_e32 v14, 0x7f800000, v10
	v_and_b32_e32 v54, 0x7fffff, v10
	v_lshrrev_b32_e32 v11, 24, v10
	s_delay_alu instid0(VALU_DEP_3)
	v_cmpx_ne_u64_e32 0x7f800000, v[14:15]
	s_xor_b32 s26, exec_lo, s10
	s_cbranch_execz .LBB4_4502
; %bb.4489:                             ;   in Loop: Header=BB4_4196 Depth=2
	v_and_b32_e32 v14, 0x7fffffff, v10
	v_mov_b32_e32 v15, v55
	v_and_b32_e32 v24, 0x80, v11
                                        ; implicit-def: $vgpr113
	s_mov_b32 s10, exec_lo
	s_delay_alu instid0(VALU_DEP_2)
	v_cmpx_gt_u64_e32 0x47600001, v[14:15]
	s_xor_b32 s27, exec_lo, s10
	s_cbranch_execz .LBB4_4499
; %bb.4490:                             ;   in Loop: Header=BB4_4196 Depth=2
	v_mov_b32_e32 v113, 0
	s_mov_b32 s28, exec_lo
	v_cmpx_ne_u32_e32 0, v10
	s_cbranch_execz .LBB4_4498
; %bb.4491:                             ;   in Loop: Header=BB4_4196 Depth=2
	v_bfe_u32 v25, v10, 23, 8
	v_or_b32_e32 v14, 0x800000, v54
	s_delay_alu instid0(VALU_DEP_2) | instskip(SKIP_1) | instid1(VALU_DEP_1)
	v_sub_nc_u32_e32 v10, 0x71, v25
	v_cmp_gt_u32_e64 s7, 0x72, v25
	v_cndmask_b32_e64 v10, 0, v10, s7
	v_cmp_eq_u32_e64 s7, 0, v25
	s_delay_alu instid0(VALU_DEP_1) | instskip(NEXT) | instid1(VALU_DEP_1)
	v_cndmask_b32_e64 v113, v10, 0x70, s7
	v_dual_cndmask_b32 v54, v14, v54, s7 :: v_dual_add_nc_u32 v10, 21, v113
	v_add_nc_u32_e32 v15, 20, v113
	s_delay_alu instid0(VALU_DEP_2) | instskip(NEXT) | instid1(VALU_DEP_2)
	v_lshlrev_b64_e64 v[10:11], v10, -1
	v_lshlrev_b64_e64 v[14:15], v15, 1
	s_delay_alu instid0(VALU_DEP_2) | instskip(NEXT) | instid1(VALU_DEP_3)
	v_bfi_b32 v115, v11, 0, 0
	v_bfi_b32 v114, v10, 0, v54
	v_lshrrev_b64 v[10:11], v113, v[54:55]
	s_delay_alu instid0(VALU_DEP_2) | instskip(NEXT) | instid1(VALU_DEP_2)
	v_cmp_eq_u64_e64 s10, v[114:115], v[14:15]
	v_mov_b64_e32 v[14:15], v[10:11]
	s_and_saveexec_b32 s29, s10
; %bb.4492:                             ;   in Loop: Header=BB4_4196 Depth=2
	v_bfe_u32 v54, v10, 21, 1
	s_delay_alu instid0(VALU_DEP_1) | instskip(NEXT) | instid1(VALU_DEP_1)
	v_add_nc_u64_e32 v[14:15], v[10:11], v[54:55]
	v_add_nc_u64_e32 v[14:15], -1, v[14:15]
; %bb.4493:                             ;   in Loop: Header=BB4_4196 Depth=2
	s_or_b32 exec_lo, exec_lo, s29
	v_add_nc_u32_e32 v11, 0xffffff81, v25
	v_lshrrev_b32_e32 v15, 23, v10
	s_mov_b32 s10, exec_lo
	s_delay_alu instid0(VALU_DEP_2) | instskip(NEXT) | instid1(VALU_DEP_1)
	v_cndmask_b32_e64 v11, v11, 0xffffff82, s7
	v_add3_u32 v15, v113, v11, v15
	v_and_b32_e32 v11, 0x1fffff, v14
                                        ; implicit-def: $vgpr14
	s_delay_alu instid0(VALU_DEP_1) | instskip(NEXT) | instid1(VALU_DEP_1)
	v_dual_add_nc_u32 v25, 14, v15 :: v_dual_add_nc_u32 v54, v11, v10
                                        ; implicit-def: $vgpr10_vgpr11
	v_cmpx_ne_u32_e32 0, v25
	s_xor_b32 s10, exec_lo, s10
; %bb.4494:                             ;   in Loop: Header=BB4_4196 Depth=2
	s_delay_alu instid0(VALU_DEP_2) | instskip(SKIP_1) | instid1(VALU_DEP_1)
	v_cmp_lt_u64_e64 s7, 0xffffff, v[54:55]
	v_add_nc_u32_e32 v10, 15, v15
	v_cndmask_b32_e64 v14, v25, v10, s7
	v_cndmask_b32_e64 v10, 0, 1, s7
	s_delay_alu instid0(VALU_DEP_1)
	v_lshrrev_b64 v[10:11], v10, v[54:55]
; %bb.4495:                             ;   in Loop: Header=BB4_4196 Depth=2
	s_and_not1_saveexec_b32 s7, s10
; %bb.4496:                             ;   in Loop: Header=BB4_4196 Depth=2
	v_mov_b64_e32 v[10:11], v[54:55]
	v_bfe_u32 v14, v54, 23, 1
; %bb.4497:                             ;   in Loop: Header=BB4_4196 Depth=2
	s_or_b32 exec_lo, exec_lo, s7
	s_delay_alu instid0(VALU_DEP_2) | instskip(NEXT) | instid1(VALU_DEP_2)
	v_lshrrev_b64 v[10:11], 21, v[10:11]
	v_cmp_gt_i32_e64 s7, 32, v14
	v_min_i32_e32 v15, 31, v14
	v_cmp_eq_u32_e64 s10, 0, v14
	s_delay_alu instid0(VALU_DEP_3) | instskip(NEXT) | instid1(VALU_DEP_3)
	v_cndmask_b32_e64 v11, 0, v11, s7
	v_dual_lshlrev_b32 v15, 2, v15 :: v_dual_cndmask_b32 v10, 3, v10, s7
	s_delay_alu instid0(VALU_DEP_1) | instskip(NEXT) | instid1(VALU_DEP_2)
	v_and_b32_e32 v15, 0xfc, v15
	v_cmp_eq_u64_e64 s7, 0, v[10:11]
	s_delay_alu instid0(VALU_DEP_2)
	v_and_or_b32 v10, v10, 3, v15
	s_and_b32 s7, s10, s7
	s_delay_alu instid0(VALU_DEP_1) | instid1(SALU_CYCLE_1)
	v_cndmask_b32_e64 v10, v10, 0, s7
	s_delay_alu instid0(VALU_DEP_1)
	v_or_b32_e32 v113, v10, v24
.LBB4_4498:                             ;   in Loop: Header=BB4_4196 Depth=2
	s_or_b32 exec_lo, exec_lo, s28
                                        ; implicit-def: $vgpr24
.LBB4_4499:                             ;   in Loop: Header=BB4_4196 Depth=2
	s_and_not1_saveexec_b32 s7, s27
; %bb.4500:                             ;   in Loop: Header=BB4_4196 Depth=2
	v_or_b32_e32 v113, 0x7b, v24
; %bb.4501:                             ;   in Loop: Header=BB4_4196 Depth=2
	s_or_b32 exec_lo, exec_lo, s7
                                        ; implicit-def: $vgpr10
                                        ; implicit-def: $vgpr11
.LBB4_4502:                             ;   in Loop: Header=BB4_4196 Depth=2
	s_and_not1_saveexec_b32 s10, s26
	s_cbranch_execz .LBB4_4508
; %bb.4503:                             ;   in Loop: Header=BB4_4196 Depth=2
	v_cmp_ne_u64_e64 s7, 0, v[54:55]
                                        ; implicit-def: $vgpr113
	s_and_saveexec_b32 s26, s7
	s_delay_alu instid0(SALU_CYCLE_1)
	s_xor_b32 s7, exec_lo, s26
; %bb.4504:                             ;   in Loop: Header=BB4_4196 Depth=2
	v_or_b32_e32 v113, 0x7f, v11
                                        ; implicit-def: $vgpr10
; %bb.4505:                             ;   in Loop: Header=BB4_4196 Depth=2
	s_and_not1_saveexec_b32 s26, s7
; %bb.4506:                             ;   in Loop: Header=BB4_4196 Depth=2
	v_cmp_lt_i32_e64 s7, -1, v10
	s_delay_alu instid0(VALU_DEP_1)
	v_cndmask_b32_e64 v113, 0xfc, v110, s7
; %bb.4507:                             ;   in Loop: Header=BB4_4196 Depth=2
	s_or_b32 exec_lo, exec_lo, s26
.LBB4_4508:                             ;   in Loop: Header=BB4_4196 Depth=2
	s_delay_alu instid0(SALU_CYCLE_1) | instskip(SKIP_3) | instid1(VALU_DEP_2)
	s_or_b32 exec_lo, exec_lo, s10
	v_lshrrev_b16 v54, 8, v16
	v_mov_b32_e32 v10, 0
	s_mov_b32 s10, exec_lo
	v_cmpx_ne_u16_e32 0, v54
	s_cbranch_execz .LBB4_4518
; %bb.4509:                             ;   in Loop: Header=BB4_4196 Depth=2
	v_bfrev_b32_e32 v10, 1
	s_mov_b32 s26, exec_lo
	v_cmpx_ne_u16_e32 0x80, v54
	s_cbranch_execz .LBB4_4517
; %bb.4510:                             ;   in Loop: Header=BB4_4196 Depth=2
	v_and_b32_e32 v14, 0xffff, v54
	s_delay_alu instid0(VALU_DEP_1) | instskip(SKIP_1) | instid1(VALU_DEP_2)
	v_and_b32_e32 v10, 0x7c, v14
	v_and_b32_e32 v11, 3, v14
	v_cmp_ne_u32_e64 s7, 0x7c, v10
                                        ; implicit-def: $vgpr10
	s_and_saveexec_b32 s27, s7
	s_delay_alu instid0(SALU_CYCLE_1)
	s_xor_b32 s27, exec_lo, s27
	s_cbranch_execz .LBB4_4514
; %bb.4511:                             ;   in Loop: Header=BB4_4196 Depth=2
	v_bfe_u32 v10, v14, 2, 5
	s_mov_b32 s28, exec_lo
	s_delay_alu instid0(VALU_DEP_1)
	v_cmpx_eq_u32_e32 0, v10
; %bb.4512:                             ;   in Loop: Header=BB4_4196 Depth=2
	v_clz_i32_u32_e32 v10, v11
	s_delay_alu instid0(VALU_DEP_1) | instskip(NEXT) | instid1(VALU_DEP_1)
	v_min_u32_e32 v10, 32, v10
	v_subrev_nc_u32_e32 v11, 29, v10
	v_sub_nc_u32_e32 v10, 30, v10
	s_delay_alu instid0(VALU_DEP_2) | instskip(NEXT) | instid1(VALU_DEP_1)
	v_lshlrev_b64_e32 v[14:15], v11, v[54:55]
	v_and_b32_e32 v11, 3, v14
; %bb.4513:                             ;   in Loop: Header=BB4_4196 Depth=2
	s_or_b32 exec_lo, exec_lo, s28
	v_lshlrev_b32_e32 v14, 16, v16
	s_delay_alu instid0(VALU_DEP_1) | instskip(NEXT) | instid1(VALU_DEP_1)
	v_and_b32_e32 v14, 0x80000000, v14
	v_lshl_add_u32 v10, v10, 23, v14
	s_delay_alu instid0(VALU_DEP_1) | instskip(NEXT) | instid1(VALU_DEP_1)
	v_lshl_or_b32 v10, v11, 21, v10
                                        ; implicit-def: $vgpr11
	v_add_nc_u32_e32 v10, 0x38000000, v10
.LBB4_4514:                             ;   in Loop: Header=BB4_4196 Depth=2
	s_and_not1_saveexec_b32 s27, s27
; %bb.4515:                             ;   in Loop: Header=BB4_4196 Depth=2
	v_cmp_lt_i16_e64 s7, -1, v16
	s_delay_alu instid0(VALU_DEP_1) | instskip(SKIP_1) | instid1(VALU_DEP_1)
	v_cndmask_b32_e64 v10, 0xff800000, v109, s7
	v_cmp_eq_u32_e64 s7, 0, v11
	v_cndmask_b32_e64 v10, 0x7f800001, v10, s7
; %bb.4516:                             ;   in Loop: Header=BB4_4196 Depth=2
	s_or_b32 exec_lo, exec_lo, s27
.LBB4_4517:                             ;   in Loop: Header=BB4_4196 Depth=2
	s_delay_alu instid0(SALU_CYCLE_1)
	s_or_b32 exec_lo, exec_lo, s26
.LBB4_4518:                             ;   in Loop: Header=BB4_4196 Depth=2
	s_delay_alu instid0(SALU_CYCLE_1) | instskip(SKIP_3) | instid1(VALU_DEP_1)
	s_or_b32 exec_lo, exec_lo, s10
	v_lshrrev_b16 v54, 8, v12
	s_mov_b32 s26, 0
	s_mov_b32 s10, exec_lo
	v_cmpx_lt_i16_e32 0x7f, v54
	s_xor_b32 s10, exec_lo, s10
	s_cbranch_execz .LBB4_4761
; %bb.4519:                             ;   in Loop: Header=BB4_4196 Depth=2
	s_mov_b32 s26, -1
	s_mov_b32 s27, exec_lo
	v_cmpx_eq_u16_e32 0x80, v54
; %bb.4520:                             ;   in Loop: Header=BB4_4196 Depth=2
	s_xor_b32 s26, exec_lo, -1
; %bb.4521:                             ;   in Loop: Header=BB4_4196 Depth=2
	s_or_b32 exec_lo, exec_lo, s27
	s_delay_alu instid0(SALU_CYCLE_1)
	s_and_b32 s26, s26, exec_lo
	s_or_saveexec_b32 s10, s10
	v_bfrev_b32_e32 v11, 1
	s_xor_b32 exec_lo, exec_lo, s10
	s_cbranch_execnz .LBB4_4762
.LBB4_4522:                             ;   in Loop: Header=BB4_4196 Depth=2
	s_or_b32 exec_lo, exec_lo, s10
	s_and_saveexec_b32 s10, s26
	s_cbranch_execz .LBB4_4524
.LBB4_4523:                             ;   in Loop: Header=BB4_4196 Depth=2
	v_and_b32_e32 v11, 0xffff, v54
	s_delay_alu instid0(VALU_DEP_1) | instskip(NEXT) | instid1(VALU_DEP_1)
	v_and_b32_e32 v24, 3, v11
	v_clz_i32_u32_e32 v14, v24
	s_delay_alu instid0(VALU_DEP_1) | instskip(NEXT) | instid1(VALU_DEP_1)
	v_min_u32_e32 v25, 32, v14
	v_subrev_nc_u32_e32 v14, 29, v25
	s_delay_alu instid0(VALU_DEP_1) | instskip(SKIP_4) | instid1(VALU_DEP_4)
	v_lshlrev_b64_e32 v[14:15], v14, v[54:55]
	v_lshlrev_b32_e32 v15, 24, v54
	v_bfe_u32 v54, v11, 2, 5
	v_sub_nc_u32_e32 v25, 30, v25
	v_and_b32_e32 v11, 0x7c, v11
	v_and_b32_e32 v15, 0x80000000, v15
	s_delay_alu instid0(VALU_DEP_4) | instskip(NEXT) | instid1(VALU_DEP_1)
	v_cmp_eq_u32_e64 s7, 0, v54
	v_dual_cndmask_b32 v25, v54, v25, s7 :: v_dual_bitop2_b32 v14, 3, v14 bitop3:0x40
	s_delay_alu instid0(VALU_DEP_1) | instskip(SKIP_1) | instid1(VALU_DEP_3)
	v_cndmask_b32_e64 v14, v24, v14, s7
	v_cmp_lt_i16_e64 s7, -1, v12
	v_lshl_add_u32 v15, v25, 23, v15
	s_delay_alu instid0(VALU_DEP_2) | instskip(SKIP_1) | instid1(VALU_DEP_3)
	v_cndmask_b32_e64 v25, 0xff800000, v109, s7
	v_cmp_eq_u32_e64 s7, 0, v24
	v_lshl_or_b32 v14, v14, 21, v15
	s_delay_alu instid0(VALU_DEP_2) | instskip(SKIP_1) | instid1(VALU_DEP_3)
	v_cndmask_b32_e64 v15, 0x7f800001, v25, s7
	v_cmp_eq_u32_e64 s7, 0x7c, v11
	v_add_nc_u32_e32 v14, 0x38000000, v14
	s_delay_alu instid0(VALU_DEP_1)
	v_cndmask_b32_e64 v11, v14, v15, s7
.LBB4_4524:                             ;   in Loop: Header=BB4_4196 Depth=2
	s_or_b32 exec_lo, exec_lo, s10
	s_delay_alu instid0(VALU_DEP_1) | instskip(SKIP_1) | instid1(VALU_DEP_1)
	v_dual_mul_f32 v10, v10, v11 :: v_dual_mov_b32 v15, v55
                                        ; implicit-def: $vgpr114
	s_mov_b32 s10, exec_lo
	v_and_b32_e32 v14, 0x7f800000, v10
	v_and_b32_e32 v54, 0x7fffff, v10
	v_lshrrev_b32_e32 v11, 24, v10
	s_delay_alu instid0(VALU_DEP_3)
	v_cmpx_ne_u64_e32 0x7f800000, v[14:15]
	s_xor_b32 s26, exec_lo, s10
	s_cbranch_execz .LBB4_4538
; %bb.4525:                             ;   in Loop: Header=BB4_4196 Depth=2
	v_and_b32_e32 v14, 0x7fffffff, v10
	v_mov_b32_e32 v15, v55
	v_and_b32_e32 v24, 0x80, v11
                                        ; implicit-def: $vgpr114
	s_mov_b32 s10, exec_lo
	s_delay_alu instid0(VALU_DEP_2)
	v_cmpx_gt_u64_e32 0x47600001, v[14:15]
	s_xor_b32 s27, exec_lo, s10
	s_cbranch_execz .LBB4_4535
; %bb.4526:                             ;   in Loop: Header=BB4_4196 Depth=2
	v_mov_b32_e32 v114, 0
	s_mov_b32 s28, exec_lo
	v_cmpx_ne_u32_e32 0, v10
	s_cbranch_execz .LBB4_4534
; %bb.4527:                             ;   in Loop: Header=BB4_4196 Depth=2
	v_bfe_u32 v25, v10, 23, 8
	v_or_b32_e32 v14, 0x800000, v54
	s_delay_alu instid0(VALU_DEP_2) | instskip(SKIP_1) | instid1(VALU_DEP_1)
	v_sub_nc_u32_e32 v10, 0x71, v25
	v_cmp_gt_u32_e64 s7, 0x72, v25
	v_cndmask_b32_e64 v10, 0, v10, s7
	v_cmp_eq_u32_e64 s7, 0, v25
	s_delay_alu instid0(VALU_DEP_1) | instskip(SKIP_1) | instid1(VALU_DEP_2)
	v_cndmask_b32_e64 v114, v10, 0x70, s7
	v_cndmask_b32_e64 v54, v14, v54, s7
	v_dual_add_nc_u32 v10, 21, v114 :: v_dual_add_nc_u32 v15, 20, v114
	s_delay_alu instid0(VALU_DEP_1) | instskip(NEXT) | instid1(VALU_DEP_2)
	v_lshlrev_b64_e64 v[10:11], v10, -1
	v_lshlrev_b64_e64 v[14:15], v15, 1
	s_delay_alu instid0(VALU_DEP_2) | instskip(NEXT) | instid1(VALU_DEP_3)
	v_bfi_b32 v117, v11, 0, 0
	v_bfi_b32 v116, v10, 0, v54
	v_lshrrev_b64 v[10:11], v114, v[54:55]
	s_delay_alu instid0(VALU_DEP_2) | instskip(NEXT) | instid1(VALU_DEP_2)
	v_cmp_eq_u64_e64 s10, v[116:117], v[14:15]
	v_mov_b64_e32 v[14:15], v[10:11]
	s_and_saveexec_b32 s29, s10
; %bb.4528:                             ;   in Loop: Header=BB4_4196 Depth=2
	v_bfe_u32 v54, v10, 21, 1
	s_delay_alu instid0(VALU_DEP_1) | instskip(NEXT) | instid1(VALU_DEP_1)
	v_add_nc_u64_e32 v[14:15], v[10:11], v[54:55]
	v_add_nc_u64_e32 v[14:15], -1, v[14:15]
; %bb.4529:                             ;   in Loop: Header=BB4_4196 Depth=2
	s_or_b32 exec_lo, exec_lo, s29
	v_add_nc_u32_e32 v11, 0xffffff81, v25
	v_lshrrev_b32_e32 v15, 23, v10
	s_mov_b32 s10, exec_lo
	s_delay_alu instid0(VALU_DEP_2) | instskip(NEXT) | instid1(VALU_DEP_1)
	v_cndmask_b32_e64 v11, v11, 0xffffff82, s7
	v_add3_u32 v15, v114, v11, v15
	v_and_b32_e32 v11, 0x1fffff, v14
                                        ; implicit-def: $vgpr14
	s_delay_alu instid0(VALU_DEP_1) | instskip(NEXT) | instid1(VALU_DEP_1)
	v_dual_add_nc_u32 v25, 14, v15 :: v_dual_add_nc_u32 v54, v11, v10
                                        ; implicit-def: $vgpr10_vgpr11
	v_cmpx_ne_u32_e32 0, v25
	s_xor_b32 s10, exec_lo, s10
; %bb.4530:                             ;   in Loop: Header=BB4_4196 Depth=2
	s_delay_alu instid0(VALU_DEP_2) | instskip(SKIP_1) | instid1(VALU_DEP_1)
	v_cmp_lt_u64_e64 s7, 0xffffff, v[54:55]
	v_add_nc_u32_e32 v10, 15, v15
	v_cndmask_b32_e64 v14, v25, v10, s7
	v_cndmask_b32_e64 v10, 0, 1, s7
	s_delay_alu instid0(VALU_DEP_1)
	v_lshrrev_b64 v[10:11], v10, v[54:55]
; %bb.4531:                             ;   in Loop: Header=BB4_4196 Depth=2
	s_and_not1_saveexec_b32 s7, s10
; %bb.4532:                             ;   in Loop: Header=BB4_4196 Depth=2
	v_mov_b64_e32 v[10:11], v[54:55]
	v_bfe_u32 v14, v54, 23, 1
; %bb.4533:                             ;   in Loop: Header=BB4_4196 Depth=2
	s_or_b32 exec_lo, exec_lo, s7
	s_delay_alu instid0(VALU_DEP_2) | instskip(NEXT) | instid1(VALU_DEP_2)
	v_lshrrev_b64 v[10:11], 21, v[10:11]
	v_cmp_gt_i32_e64 s7, 32, v14
	v_min_i32_e32 v15, 31, v14
	v_cmp_eq_u32_e64 s10, 0, v14
	s_delay_alu instid0(VALU_DEP_3) | instskip(NEXT) | instid1(VALU_DEP_3)
	v_cndmask_b32_e64 v11, 0, v11, s7
	v_dual_lshlrev_b32 v15, 2, v15 :: v_dual_cndmask_b32 v10, 3, v10, s7
	s_delay_alu instid0(VALU_DEP_1) | instskip(NEXT) | instid1(VALU_DEP_2)
	v_and_b32_e32 v15, 0xfc, v15
	v_cmp_eq_u64_e64 s7, 0, v[10:11]
	s_delay_alu instid0(VALU_DEP_2)
	v_and_or_b32 v10, v10, 3, v15
	s_and_b32 s7, s10, s7
	s_delay_alu instid0(VALU_DEP_1) | instid1(SALU_CYCLE_1)
	v_cndmask_b32_e64 v10, v10, 0, s7
	s_delay_alu instid0(VALU_DEP_1)
	v_or_b32_e32 v114, v10, v24
.LBB4_4534:                             ;   in Loop: Header=BB4_4196 Depth=2
	s_or_b32 exec_lo, exec_lo, s28
                                        ; implicit-def: $vgpr24
.LBB4_4535:                             ;   in Loop: Header=BB4_4196 Depth=2
	s_and_not1_saveexec_b32 s7, s27
; %bb.4536:                             ;   in Loop: Header=BB4_4196 Depth=2
	v_or_b32_e32 v114, 0x7b, v24
; %bb.4537:                             ;   in Loop: Header=BB4_4196 Depth=2
	s_or_b32 exec_lo, exec_lo, s7
                                        ; implicit-def: $vgpr10
                                        ; implicit-def: $vgpr11
.LBB4_4538:                             ;   in Loop: Header=BB4_4196 Depth=2
	s_and_not1_saveexec_b32 s10, s26
	s_cbranch_execz .LBB4_4544
; %bb.4539:                             ;   in Loop: Header=BB4_4196 Depth=2
	v_cmp_ne_u64_e64 s7, 0, v[54:55]
                                        ; implicit-def: $vgpr114
	s_and_saveexec_b32 s26, s7
	s_delay_alu instid0(SALU_CYCLE_1)
	s_xor_b32 s7, exec_lo, s26
; %bb.4540:                             ;   in Loop: Header=BB4_4196 Depth=2
	v_or_b32_e32 v114, 0x7f, v11
                                        ; implicit-def: $vgpr10
; %bb.4541:                             ;   in Loop: Header=BB4_4196 Depth=2
	s_and_not1_saveexec_b32 s26, s7
; %bb.4542:                             ;   in Loop: Header=BB4_4196 Depth=2
	v_cmp_lt_i32_e64 s7, -1, v10
	s_delay_alu instid0(VALU_DEP_1)
	v_cndmask_b32_e64 v114, 0xfc, v110, s7
; %bb.4543:                             ;   in Loop: Header=BB4_4196 Depth=2
	s_or_b32 exec_lo, exec_lo, s26
.LBB4_4544:                             ;   in Loop: Header=BB4_4196 Depth=2
	s_delay_alu instid0(SALU_CYCLE_1) | instskip(SKIP_2) | instid1(VALU_DEP_1)
	s_or_b32 exec_lo, exec_lo, s10
	v_dual_mov_b32 v11, 0 :: v_dual_lshrrev_b32 v10, 16, v16
	s_mov_b32 s10, exec_lo
	v_and_b32_e32 v14, 0xff, v10
	s_delay_alu instid0(VALU_DEP_1)
	v_cmpx_ne_u16_e32 0, v14
	s_cbranch_execz .LBB4_4554
; %bb.4545:                             ;   in Loop: Header=BB4_4196 Depth=2
	v_bfrev_b32_e32 v11, 1
	s_mov_b32 s26, exec_lo
	v_cmpx_ne_u16_e32 0x80, v14
	s_cbranch_execz .LBB4_4553
; %bb.4546:                             ;   in Loop: Header=BB4_4196 Depth=2
	v_and_b32_e32 v11, 0x7c0000, v16
	v_bfe_u32 v14, v16, 16, 2
	s_delay_alu instid0(VALU_DEP_2) | instskip(SKIP_1) | instid1(SALU_CYCLE_1)
	v_cmp_ne_u32_e64 s7, 0x7c0000, v11
                                        ; implicit-def: $vgpr11
	s_and_saveexec_b32 s27, s7
	s_xor_b32 s27, exec_lo, s27
	s_cbranch_execz .LBB4_4550
; %bb.4547:                             ;   in Loop: Header=BB4_4196 Depth=2
	v_bfe_u32 v11, v16, 18, 5
	s_mov_b32 s28, exec_lo
	s_delay_alu instid0(VALU_DEP_1)
	v_cmpx_eq_u32_e32 0, v11
; %bb.4548:                             ;   in Loop: Header=BB4_4196 Depth=2
	v_clz_i32_u32_e32 v11, v14
	s_delay_alu instid0(VALU_DEP_1) | instskip(NEXT) | instid1(VALU_DEP_1)
	v_min_u32_e32 v11, 32, v11
	v_subrev_nc_u32_e32 v14, 29, v11
	s_delay_alu instid0(VALU_DEP_1) | instskip(NEXT) | instid1(VALU_DEP_1)
	v_lshlrev_b64_e32 v[14:15], v14, v[10:11]
	v_dual_sub_nc_u32 v11, 30, v11 :: v_dual_bitop2_b32 v14, 3, v14 bitop3:0x40
; %bb.4549:                             ;   in Loop: Header=BB4_4196 Depth=2
	s_or_b32 exec_lo, exec_lo, s28
	v_lshlrev_b32_e32 v10, 24, v10
	s_delay_alu instid0(VALU_DEP_1) | instskip(NEXT) | instid1(VALU_DEP_1)
	v_and_b32_e32 v10, 0x80000000, v10
	v_lshl_add_u32 v10, v11, 23, v10
	s_delay_alu instid0(VALU_DEP_1) | instskip(NEXT) | instid1(VALU_DEP_1)
	v_lshl_or_b32 v10, v14, 21, v10
                                        ; implicit-def: $vgpr14
	v_add_nc_u32_e32 v11, 0x38000000, v10
                                        ; implicit-def: $vgpr10
.LBB4_4550:                             ;   in Loop: Header=BB4_4196 Depth=2
	s_and_not1_saveexec_b32 s27, s27
; %bb.4551:                             ;   in Loop: Header=BB4_4196 Depth=2
	v_bfe_i32 v10, v10, 0, 8
	s_delay_alu instid0(VALU_DEP_1) | instskip(NEXT) | instid1(VALU_DEP_1)
	v_cmp_lt_i16_e64 s7, -1, v10
	v_cndmask_b32_e64 v10, 0xff800000, v109, s7
	v_cmp_eq_u32_e64 s7, 0, v14
	s_delay_alu instid0(VALU_DEP_1)
	v_cndmask_b32_e64 v11, 0x7f800001, v10, s7
; %bb.4552:                             ;   in Loop: Header=BB4_4196 Depth=2
	s_or_b32 exec_lo, exec_lo, s27
.LBB4_4553:                             ;   in Loop: Header=BB4_4196 Depth=2
	s_delay_alu instid0(SALU_CYCLE_1)
	s_or_b32 exec_lo, exec_lo, s26
.LBB4_4554:                             ;   in Loop: Header=BB4_4196 Depth=2
	s_delay_alu instid0(SALU_CYCLE_1) | instskip(SKIP_3) | instid1(VALU_DEP_1)
	s_or_b32 exec_lo, exec_lo, s10
	v_lshrrev_b32_e32 v10, 16, v12
	s_mov_b32 s26, 0
	s_mov_b32 s10, exec_lo
	v_and_b32_e32 v15, 0xff, v10
	s_delay_alu instid0(VALU_DEP_1)
	v_cmpx_lt_i16_e32 0x7f, v15
	s_xor_b32 s10, exec_lo, s10
	s_cbranch_execz .LBB4_4763
; %bb.4555:                             ;   in Loop: Header=BB4_4196 Depth=2
	s_mov_b32 s26, -1
	s_mov_b32 s27, exec_lo
	v_cmpx_eq_u16_e32 0x80, v15
; %bb.4556:                             ;   in Loop: Header=BB4_4196 Depth=2
	s_xor_b32 s26, exec_lo, -1
; %bb.4557:                             ;   in Loop: Header=BB4_4196 Depth=2
	s_or_b32 exec_lo, exec_lo, s27
	s_delay_alu instid0(SALU_CYCLE_1)
	s_and_b32 s26, s26, exec_lo
                                        ; implicit-def: $vgpr15
	s_or_saveexec_b32 s10, s10
	v_bfrev_b32_e32 v14, 1
	s_xor_b32 exec_lo, exec_lo, s10
	s_cbranch_execnz .LBB4_4764
.LBB4_4558:                             ;   in Loop: Header=BB4_4196 Depth=2
	s_or_b32 exec_lo, exec_lo, s10
	s_and_saveexec_b32 s10, s26
	s_cbranch_execz .LBB4_4560
.LBB4_4559:                             ;   in Loop: Header=BB4_4196 Depth=2
	v_and_b32_e32 v24, 3, v10
	v_bfe_u32 v54, v12, 18, 5
	s_delay_alu instid0(VALU_DEP_2) | instskip(NEXT) | instid1(VALU_DEP_2)
	v_clz_i32_u32_e32 v14, v24
	v_cmp_eq_u32_e64 s7, 0, v54
	s_delay_alu instid0(VALU_DEP_2) | instskip(NEXT) | instid1(VALU_DEP_1)
	v_min_u32_e32 v25, 32, v14
	v_subrev_nc_u32_e32 v14, 29, v25
	s_delay_alu instid0(VALU_DEP_1) | instskip(SKIP_2) | instid1(VALU_DEP_2)
	v_lshlrev_b64_e32 v[14:15], v14, v[10:11]
	v_dual_lshlrev_b32 v15, 24, v10 :: v_dual_sub_nc_u32 v25, 30, v25
	v_bfe_i32 v10, v10, 0, 8
	v_and_b32_e32 v15, 0x80000000, v15
	s_delay_alu instid0(VALU_DEP_3) | instskip(NEXT) | instid1(VALU_DEP_1)
	v_dual_cndmask_b32 v25, v54, v25, s7 :: v_dual_bitop2_b32 v14, 3, v14 bitop3:0x40
	v_cndmask_b32_e64 v14, v24, v14, s7
	s_delay_alu instid0(VALU_DEP_2) | instskip(SKIP_1) | instid1(VALU_DEP_2)
	v_lshl_add_u32 v15, v25, 23, v15
	v_cmp_lt_i16_e64 s7, -1, v10
	v_lshl_or_b32 v14, v14, 21, v15
	s_delay_alu instid0(VALU_DEP_2) | instskip(SKIP_2) | instid1(VALU_DEP_4)
	v_cndmask_b32_e64 v10, 0xff800000, v109, s7
	v_and_b32_e32 v15, 0x7c0000, v12
	v_cmp_eq_u32_e64 s7, 0, v24
	v_add_nc_u32_e32 v14, 0x38000000, v14
	s_delay_alu instid0(VALU_DEP_2) | instskip(NEXT) | instid1(VALU_DEP_4)
	v_cndmask_b32_e64 v10, 0x7f800001, v10, s7
	v_cmp_eq_u32_e64 s7, 0x7c0000, v15
	s_delay_alu instid0(VALU_DEP_1)
	v_cndmask_b32_e64 v14, v14, v10, s7
.LBB4_4560:                             ;   in Loop: Header=BB4_4196 Depth=2
	s_or_b32 exec_lo, exec_lo, s10
	s_delay_alu instid0(VALU_DEP_1) | instskip(SKIP_2) | instid1(VALU_DEP_2)
	v_mul_f32_e32 v10, v11, v14
	v_mov_b32_e32 v15, v55
                                        ; implicit-def: $vgpr115
	s_mov_b32 s10, exec_lo
	v_and_b32_e32 v14, 0x7f800000, v10
	v_and_b32_e32 v54, 0x7fffff, v10
	v_lshrrev_b32_e32 v11, 24, v10
	s_delay_alu instid0(VALU_DEP_3)
	v_cmpx_ne_u64_e32 0x7f800000, v[14:15]
	s_xor_b32 s26, exec_lo, s10
	s_cbranch_execz .LBB4_4574
; %bb.4561:                             ;   in Loop: Header=BB4_4196 Depth=2
	v_and_b32_e32 v14, 0x7fffffff, v10
	v_mov_b32_e32 v15, v55
	v_and_b32_e32 v24, 0x80, v11
                                        ; implicit-def: $vgpr115
	s_mov_b32 s10, exec_lo
	s_delay_alu instid0(VALU_DEP_2)
	v_cmpx_gt_u64_e32 0x47600001, v[14:15]
	s_xor_b32 s27, exec_lo, s10
	s_cbranch_execz .LBB4_4571
; %bb.4562:                             ;   in Loop: Header=BB4_4196 Depth=2
	v_mov_b32_e32 v115, 0
	s_mov_b32 s28, exec_lo
	v_cmpx_ne_u32_e32 0, v10
	s_cbranch_execz .LBB4_4570
; %bb.4563:                             ;   in Loop: Header=BB4_4196 Depth=2
	v_bfe_u32 v25, v10, 23, 8
	v_or_b32_e32 v14, 0x800000, v54
	s_delay_alu instid0(VALU_DEP_2) | instskip(SKIP_1) | instid1(VALU_DEP_1)
	v_sub_nc_u32_e32 v10, 0x71, v25
	v_cmp_gt_u32_e64 s7, 0x72, v25
	v_cndmask_b32_e64 v10, 0, v10, s7
	v_cmp_eq_u32_e64 s7, 0, v25
	s_delay_alu instid0(VALU_DEP_1) | instskip(NEXT) | instid1(VALU_DEP_1)
	v_cndmask_b32_e64 v115, v10, 0x70, s7
	v_dual_cndmask_b32 v54, v14, v54, s7 :: v_dual_add_nc_u32 v10, 21, v115
	v_add_nc_u32_e32 v15, 20, v115
	s_delay_alu instid0(VALU_DEP_2) | instskip(NEXT) | instid1(VALU_DEP_2)
	v_lshlrev_b64_e64 v[10:11], v10, -1
	v_lshlrev_b64_e64 v[14:15], v15, 1
	s_delay_alu instid0(VALU_DEP_2) | instskip(NEXT) | instid1(VALU_DEP_3)
	v_bfi_b32 v117, v11, 0, 0
	v_bfi_b32 v116, v10, 0, v54
	v_lshrrev_b64 v[10:11], v115, v[54:55]
	s_delay_alu instid0(VALU_DEP_2) | instskip(NEXT) | instid1(VALU_DEP_2)
	v_cmp_eq_u64_e64 s10, v[116:117], v[14:15]
	v_mov_b64_e32 v[14:15], v[10:11]
	s_and_saveexec_b32 s29, s10
; %bb.4564:                             ;   in Loop: Header=BB4_4196 Depth=2
	v_bfe_u32 v54, v10, 21, 1
	s_delay_alu instid0(VALU_DEP_1) | instskip(NEXT) | instid1(VALU_DEP_1)
	v_add_nc_u64_e32 v[14:15], v[10:11], v[54:55]
	v_add_nc_u64_e32 v[14:15], -1, v[14:15]
; %bb.4565:                             ;   in Loop: Header=BB4_4196 Depth=2
	s_or_b32 exec_lo, exec_lo, s29
	v_add_nc_u32_e32 v11, 0xffffff81, v25
	v_lshrrev_b32_e32 v15, 23, v10
	s_mov_b32 s10, exec_lo
	s_delay_alu instid0(VALU_DEP_2) | instskip(NEXT) | instid1(VALU_DEP_1)
	v_cndmask_b32_e64 v11, v11, 0xffffff82, s7
	v_add3_u32 v15, v115, v11, v15
	v_and_b32_e32 v11, 0x1fffff, v14
                                        ; implicit-def: $vgpr14
	s_delay_alu instid0(VALU_DEP_1) | instskip(NEXT) | instid1(VALU_DEP_1)
	v_dual_add_nc_u32 v25, 14, v15 :: v_dual_add_nc_u32 v54, v11, v10
                                        ; implicit-def: $vgpr10_vgpr11
	v_cmpx_ne_u32_e32 0, v25
	s_xor_b32 s10, exec_lo, s10
; %bb.4566:                             ;   in Loop: Header=BB4_4196 Depth=2
	s_delay_alu instid0(VALU_DEP_2) | instskip(SKIP_1) | instid1(VALU_DEP_1)
	v_cmp_lt_u64_e64 s7, 0xffffff, v[54:55]
	v_add_nc_u32_e32 v10, 15, v15
	v_cndmask_b32_e64 v14, v25, v10, s7
	v_cndmask_b32_e64 v10, 0, 1, s7
	s_delay_alu instid0(VALU_DEP_1)
	v_lshrrev_b64 v[10:11], v10, v[54:55]
; %bb.4567:                             ;   in Loop: Header=BB4_4196 Depth=2
	s_and_not1_saveexec_b32 s7, s10
; %bb.4568:                             ;   in Loop: Header=BB4_4196 Depth=2
	v_mov_b64_e32 v[10:11], v[54:55]
	v_bfe_u32 v14, v54, 23, 1
; %bb.4569:                             ;   in Loop: Header=BB4_4196 Depth=2
	s_or_b32 exec_lo, exec_lo, s7
	s_delay_alu instid0(VALU_DEP_2) | instskip(NEXT) | instid1(VALU_DEP_2)
	v_lshrrev_b64 v[10:11], 21, v[10:11]
	v_cmp_gt_i32_e64 s7, 32, v14
	v_min_i32_e32 v15, 31, v14
	v_cmp_eq_u32_e64 s10, 0, v14
	s_delay_alu instid0(VALU_DEP_3) | instskip(NEXT) | instid1(VALU_DEP_3)
	v_cndmask_b32_e64 v11, 0, v11, s7
	v_dual_lshlrev_b32 v15, 2, v15 :: v_dual_cndmask_b32 v10, 3, v10, s7
	s_delay_alu instid0(VALU_DEP_1) | instskip(NEXT) | instid1(VALU_DEP_2)
	v_and_b32_e32 v15, 0xfc, v15
	v_cmp_eq_u64_e64 s7, 0, v[10:11]
	s_delay_alu instid0(VALU_DEP_2)
	v_and_or_b32 v10, v10, 3, v15
	s_and_b32 s7, s10, s7
	s_delay_alu instid0(VALU_DEP_1) | instid1(SALU_CYCLE_1)
	v_cndmask_b32_e64 v10, v10, 0, s7
	s_delay_alu instid0(VALU_DEP_1)
	v_or_b32_e32 v115, v10, v24
.LBB4_4570:                             ;   in Loop: Header=BB4_4196 Depth=2
	s_or_b32 exec_lo, exec_lo, s28
                                        ; implicit-def: $vgpr24
.LBB4_4571:                             ;   in Loop: Header=BB4_4196 Depth=2
	s_and_not1_saveexec_b32 s7, s27
; %bb.4572:                             ;   in Loop: Header=BB4_4196 Depth=2
	v_or_b32_e32 v115, 0x7b, v24
; %bb.4573:                             ;   in Loop: Header=BB4_4196 Depth=2
	s_or_b32 exec_lo, exec_lo, s7
                                        ; implicit-def: $vgpr10
                                        ; implicit-def: $vgpr11
.LBB4_4574:                             ;   in Loop: Header=BB4_4196 Depth=2
	s_and_not1_saveexec_b32 s10, s26
	s_cbranch_execz .LBB4_4580
; %bb.4575:                             ;   in Loop: Header=BB4_4196 Depth=2
	v_cmp_ne_u64_e64 s7, 0, v[54:55]
                                        ; implicit-def: $vgpr115
	s_and_saveexec_b32 s26, s7
	s_delay_alu instid0(SALU_CYCLE_1)
	s_xor_b32 s7, exec_lo, s26
; %bb.4576:                             ;   in Loop: Header=BB4_4196 Depth=2
	v_or_b32_e32 v115, 0x7f, v11
                                        ; implicit-def: $vgpr10
; %bb.4577:                             ;   in Loop: Header=BB4_4196 Depth=2
	s_and_not1_saveexec_b32 s26, s7
; %bb.4578:                             ;   in Loop: Header=BB4_4196 Depth=2
	v_cmp_lt_i32_e64 s7, -1, v10
	s_delay_alu instid0(VALU_DEP_1)
	v_cndmask_b32_e64 v115, 0xfc, v110, s7
; %bb.4579:                             ;   in Loop: Header=BB4_4196 Depth=2
	s_or_b32 exec_lo, exec_lo, s26
.LBB4_4580:                             ;   in Loop: Header=BB4_4196 Depth=2
	s_delay_alu instid0(SALU_CYCLE_1)
	s_or_b32 exec_lo, exec_lo, s10
	v_mov_b32_e32 v11, 0
	s_mov_b32 s10, exec_lo
	v_cmpx_lt_u32_e32 0xffffff, v16
	s_cbranch_execz .LBB4_4590
; %bb.4581:                             ;   in Loop: Header=BB4_4196 Depth=2
	v_lshrrev_b32_e32 v10, 24, v16
	v_bfrev_b32_e32 v11, 1
	s_mov_b32 s26, exec_lo
	s_delay_alu instid0(VALU_DEP_2)
	v_cmpx_ne_u32_e32 0x80, v10
	s_cbranch_execz .LBB4_4589
; %bb.4582:                             ;   in Loop: Header=BB4_4196 Depth=2
	v_and_b32_e32 v11, 0x7c000000, v16
	v_bfe_u32 v14, v16, 24, 2
	s_delay_alu instid0(VALU_DEP_2) | instskip(SKIP_1) | instid1(SALU_CYCLE_1)
	v_cmp_ne_u32_e64 s7, 0x7c000000, v11
                                        ; implicit-def: $vgpr11
	s_and_saveexec_b32 s27, s7
	s_xor_b32 s27, exec_lo, s27
	s_cbranch_execz .LBB4_4586
; %bb.4583:                             ;   in Loop: Header=BB4_4196 Depth=2
	v_bfe_u32 v11, v16, 26, 5
	s_mov_b32 s28, exec_lo
	s_delay_alu instid0(VALU_DEP_1)
	v_cmpx_eq_u32_e32 0, v11
; %bb.4584:                             ;   in Loop: Header=BB4_4196 Depth=2
	v_clz_i32_u32_e32 v11, v14
	s_delay_alu instid0(VALU_DEP_1) | instskip(NEXT) | instid1(VALU_DEP_1)
	v_min_u32_e32 v14, 32, v11
	v_subrev_nc_u32_e32 v11, 29, v14
	s_delay_alu instid0(VALU_DEP_1) | instskip(SKIP_1) | instid1(VALU_DEP_2)
	v_lshlrev_b64_e32 v[10:11], v11, v[10:11]
	v_sub_nc_u32_e32 v11, 30, v14
	v_and_b32_e32 v14, 3, v10
; %bb.4585:                             ;   in Loop: Header=BB4_4196 Depth=2
	s_or_b32 exec_lo, exec_lo, s28
	v_and_b32_e32 v10, 0x80000000, v16
	s_delay_alu instid0(VALU_DEP_1) | instskip(NEXT) | instid1(VALU_DEP_1)
	v_lshl_add_u32 v10, v11, 23, v10
	v_lshl_or_b32 v10, v14, 21, v10
                                        ; implicit-def: $vgpr14
	s_delay_alu instid0(VALU_DEP_1)
	v_add_nc_u32_e32 v11, 0x38000000, v10
.LBB4_4586:                             ;   in Loop: Header=BB4_4196 Depth=2
	s_and_not1_saveexec_b32 s27, s27
; %bb.4587:                             ;   in Loop: Header=BB4_4196 Depth=2
	v_cmp_lt_i32_e64 s7, -1, v16
	s_delay_alu instid0(VALU_DEP_1) | instskip(SKIP_1) | instid1(VALU_DEP_1)
	v_cndmask_b32_e64 v10, 0xff800000, v109, s7
	v_cmp_eq_u32_e64 s7, 0, v14
	v_cndmask_b32_e64 v11, 0x7f800001, v10, s7
; %bb.4588:                             ;   in Loop: Header=BB4_4196 Depth=2
	s_or_b32 exec_lo, exec_lo, s27
.LBB4_4589:                             ;   in Loop: Header=BB4_4196 Depth=2
	s_delay_alu instid0(SALU_CYCLE_1)
	s_or_b32 exec_lo, exec_lo, s26
.LBB4_4590:                             ;   in Loop: Header=BB4_4196 Depth=2
	s_delay_alu instid0(SALU_CYCLE_1) | instskip(SKIP_3) | instid1(VALU_DEP_2)
	s_or_b32 exec_lo, exec_lo, s10
	v_bfe_u32 v24, v12, 24, 2
	v_bfe_u32 v54, v12, 26, 5
                                        ; implicit-def: $vgpr116
	s_mov_b32 s10, exec_lo
	v_clz_i32_u32_e32 v10, v24
	s_delay_alu instid0(VALU_DEP_2) | instskip(NEXT) | instid1(VALU_DEP_2)
	v_cmp_eq_u32_e64 s7, 0, v54
	v_min_u32_e32 v25, 32, v10
	v_lshrrev_b32_e32 v10, 24, v12
	s_delay_alu instid0(VALU_DEP_2) | instskip(NEXT) | instid1(VALU_DEP_1)
	v_subrev_nc_u32_e32 v14, 29, v25
	v_lshlrev_b64_e32 v[14:15], v14, v[10:11]
	v_sub_nc_u32_e32 v15, 30, v25
	v_and_b32_e32 v25, 0x80000000, v12
	s_delay_alu instid0(VALU_DEP_2) | instskip(NEXT) | instid1(VALU_DEP_1)
	v_dual_cndmask_b32 v15, v54, v15, s7 :: v_dual_bitop2_b32 v14, 3, v14 bitop3:0x40
	v_lshl_add_u32 v15, v15, 23, v25
	s_delay_alu instid0(VALU_DEP_2) | instskip(SKIP_1) | instid1(VALU_DEP_2)
	v_cndmask_b32_e64 v14, v24, v14, s7
	v_cmp_lt_i32_e64 s7, -1, v12
	v_lshl_or_b32 v14, v14, 21, v15
	s_delay_alu instid0(VALU_DEP_2) | instskip(SKIP_2) | instid1(VALU_DEP_4)
	v_cndmask_b32_e64 v25, 0xff800000, v109, s7
	v_and_b32_e32 v15, 0x7c000000, v12
	v_cmp_eq_u32_e64 s7, 0, v24
	v_add_nc_u32_e32 v14, 0x38000000, v14
	s_delay_alu instid0(VALU_DEP_2) | instskip(NEXT) | instid1(VALU_DEP_4)
	v_cndmask_b32_e64 v24, 0x7f800001, v25, s7
	v_cmp_eq_u32_e64 s7, 0x7c000000, v15
	s_delay_alu instid0(VALU_DEP_1) | instskip(SKIP_1) | instid1(VALU_DEP_1)
	v_dual_mov_b32 v15, v55 :: v_dual_cndmask_b32 v14, v14, v24, s7
	v_cmp_ne_u32_e64 s7, 0x80, v10
	v_cndmask_b32_e64 v10, 0x80000000, v14, s7
	v_cmp_lt_u32_e64 s7, 0xffffff, v12
	s_delay_alu instid0(VALU_DEP_1) | instskip(NEXT) | instid1(VALU_DEP_1)
	v_cndmask_b32_e64 v10, 0, v10, s7
	v_mul_f32_e32 v10, v10, v11
	s_delay_alu instid0(VALU_DEP_1) | instskip(SKIP_2) | instid1(VALU_DEP_3)
	v_and_b32_e32 v14, 0x7f800000, v10
	v_and_b32_e32 v54, 0x7fffff, v10
	v_lshrrev_b32_e32 v11, 24, v10
	v_cmpx_ne_u64_e32 0x7f800000, v[14:15]
	s_xor_b32 s26, exec_lo, s10
	s_cbranch_execz .LBB4_4604
; %bb.4591:                             ;   in Loop: Header=BB4_4196 Depth=2
	v_and_b32_e32 v14, 0x7fffffff, v10
	v_mov_b32_e32 v15, v55
	v_and_b32_e32 v24, 0x80, v11
                                        ; implicit-def: $vgpr116
	s_mov_b32 s10, exec_lo
	s_delay_alu instid0(VALU_DEP_2)
	v_cmpx_gt_u64_e32 0x47600001, v[14:15]
	s_xor_b32 s27, exec_lo, s10
	s_cbranch_execz .LBB4_4601
; %bb.4592:                             ;   in Loop: Header=BB4_4196 Depth=2
	v_mov_b32_e32 v116, 0
	s_mov_b32 s28, exec_lo
	v_cmpx_ne_u32_e32 0, v10
	s_cbranch_execz .LBB4_4600
; %bb.4593:                             ;   in Loop: Header=BB4_4196 Depth=2
	v_bfe_u32 v25, v10, 23, 8
	v_or_b32_e32 v14, 0x800000, v54
	s_delay_alu instid0(VALU_DEP_2) | instskip(SKIP_1) | instid1(VALU_DEP_1)
	v_sub_nc_u32_e32 v10, 0x71, v25
	v_cmp_gt_u32_e64 s7, 0x72, v25
	v_cndmask_b32_e64 v10, 0, v10, s7
	v_cmp_eq_u32_e64 s7, 0, v25
	s_delay_alu instid0(VALU_DEP_1) | instskip(NEXT) | instid1(VALU_DEP_1)
	v_cndmask_b32_e64 v116, v10, 0x70, s7
	v_dual_cndmask_b32 v54, v14, v54, s7 :: v_dual_add_nc_u32 v10, 21, v116
	v_add_nc_u32_e32 v15, 20, v116
	s_delay_alu instid0(VALU_DEP_2) | instskip(NEXT) | instid1(VALU_DEP_2)
	v_lshlrev_b64_e64 v[10:11], v10, -1
	v_lshlrev_b64_e64 v[14:15], v15, 1
	s_delay_alu instid0(VALU_DEP_2) | instskip(NEXT) | instid1(VALU_DEP_3)
	v_bfi_b32 v119, v11, 0, 0
	v_bfi_b32 v118, v10, 0, v54
	v_lshrrev_b64 v[10:11], v116, v[54:55]
	s_delay_alu instid0(VALU_DEP_2) | instskip(NEXT) | instid1(VALU_DEP_2)
	v_cmp_eq_u64_e64 s10, v[118:119], v[14:15]
	v_mov_b64_e32 v[14:15], v[10:11]
	s_and_saveexec_b32 s29, s10
; %bb.4594:                             ;   in Loop: Header=BB4_4196 Depth=2
	v_bfe_u32 v54, v10, 21, 1
	s_delay_alu instid0(VALU_DEP_1) | instskip(NEXT) | instid1(VALU_DEP_1)
	v_add_nc_u64_e32 v[14:15], v[10:11], v[54:55]
	v_add_nc_u64_e32 v[14:15], -1, v[14:15]
; %bb.4595:                             ;   in Loop: Header=BB4_4196 Depth=2
	s_or_b32 exec_lo, exec_lo, s29
	v_add_nc_u32_e32 v11, 0xffffff81, v25
	v_lshrrev_b32_e32 v15, 23, v10
	s_mov_b32 s10, exec_lo
	s_delay_alu instid0(VALU_DEP_2) | instskip(NEXT) | instid1(VALU_DEP_1)
	v_cndmask_b32_e64 v11, v11, 0xffffff82, s7
	v_add3_u32 v15, v116, v11, v15
	v_and_b32_e32 v11, 0x1fffff, v14
                                        ; implicit-def: $vgpr14
	s_delay_alu instid0(VALU_DEP_1) | instskip(NEXT) | instid1(VALU_DEP_1)
	v_dual_add_nc_u32 v25, 14, v15 :: v_dual_add_nc_u32 v54, v11, v10
                                        ; implicit-def: $vgpr10_vgpr11
	v_cmpx_ne_u32_e32 0, v25
	s_xor_b32 s10, exec_lo, s10
; %bb.4596:                             ;   in Loop: Header=BB4_4196 Depth=2
	s_delay_alu instid0(VALU_DEP_2) | instskip(SKIP_1) | instid1(VALU_DEP_1)
	v_cmp_lt_u64_e64 s7, 0xffffff, v[54:55]
	v_add_nc_u32_e32 v10, 15, v15
	v_cndmask_b32_e64 v14, v25, v10, s7
	v_cndmask_b32_e64 v10, 0, 1, s7
	s_delay_alu instid0(VALU_DEP_1)
	v_lshrrev_b64 v[10:11], v10, v[54:55]
; %bb.4597:                             ;   in Loop: Header=BB4_4196 Depth=2
	s_and_not1_saveexec_b32 s7, s10
; %bb.4598:                             ;   in Loop: Header=BB4_4196 Depth=2
	v_mov_b64_e32 v[10:11], v[54:55]
	v_bfe_u32 v14, v54, 23, 1
; %bb.4599:                             ;   in Loop: Header=BB4_4196 Depth=2
	s_or_b32 exec_lo, exec_lo, s7
	s_delay_alu instid0(VALU_DEP_2) | instskip(NEXT) | instid1(VALU_DEP_2)
	v_lshrrev_b64 v[10:11], 21, v[10:11]
	v_cmp_gt_i32_e64 s7, 32, v14
	v_min_i32_e32 v15, 31, v14
	v_cmp_eq_u32_e64 s10, 0, v14
	s_delay_alu instid0(VALU_DEP_3) | instskip(NEXT) | instid1(VALU_DEP_3)
	v_cndmask_b32_e64 v11, 0, v11, s7
	v_dual_lshlrev_b32 v15, 2, v15 :: v_dual_cndmask_b32 v10, 3, v10, s7
	s_delay_alu instid0(VALU_DEP_1) | instskip(NEXT) | instid1(VALU_DEP_2)
	v_and_b32_e32 v15, 0xfc, v15
	v_cmp_eq_u64_e64 s7, 0, v[10:11]
	s_delay_alu instid0(VALU_DEP_2)
	v_and_or_b32 v10, v10, 3, v15
	s_and_b32 s7, s10, s7
	s_delay_alu instid0(VALU_DEP_1) | instid1(SALU_CYCLE_1)
	v_cndmask_b32_e64 v10, v10, 0, s7
	s_delay_alu instid0(VALU_DEP_1)
	v_or_b32_e32 v116, v10, v24
.LBB4_4600:                             ;   in Loop: Header=BB4_4196 Depth=2
	s_or_b32 exec_lo, exec_lo, s28
                                        ; implicit-def: $vgpr24
.LBB4_4601:                             ;   in Loop: Header=BB4_4196 Depth=2
	s_and_not1_saveexec_b32 s7, s27
; %bb.4602:                             ;   in Loop: Header=BB4_4196 Depth=2
	v_or_b32_e32 v116, 0x7b, v24
; %bb.4603:                             ;   in Loop: Header=BB4_4196 Depth=2
	s_or_b32 exec_lo, exec_lo, s7
                                        ; implicit-def: $vgpr10
                                        ; implicit-def: $vgpr11
.LBB4_4604:                             ;   in Loop: Header=BB4_4196 Depth=2
	s_and_not1_saveexec_b32 s10, s26
	s_cbranch_execz .LBB4_4610
; %bb.4605:                             ;   in Loop: Header=BB4_4196 Depth=2
	v_cmp_ne_u64_e64 s7, 0, v[54:55]
                                        ; implicit-def: $vgpr116
	s_and_saveexec_b32 s26, s7
	s_delay_alu instid0(SALU_CYCLE_1)
	s_xor_b32 s7, exec_lo, s26
; %bb.4606:                             ;   in Loop: Header=BB4_4196 Depth=2
	v_or_b32_e32 v116, 0x7f, v11
                                        ; implicit-def: $vgpr10
; %bb.4607:                             ;   in Loop: Header=BB4_4196 Depth=2
	s_and_not1_saveexec_b32 s26, s7
; %bb.4608:                             ;   in Loop: Header=BB4_4196 Depth=2
	v_cmp_lt_i32_e64 s7, -1, v10
	s_delay_alu instid0(VALU_DEP_1)
	v_cndmask_b32_e64 v116, 0xfc, v110, s7
; %bb.4609:                             ;   in Loop: Header=BB4_4196 Depth=2
	s_or_b32 exec_lo, exec_lo, s26
.LBB4_4610:                             ;   in Loop: Header=BB4_4196 Depth=2
	s_delay_alu instid0(SALU_CYCLE_1) | instskip(SKIP_3) | instid1(VALU_DEP_2)
	s_or_b32 exec_lo, exec_lo, s10
	v_and_b32_e32 v10, 0xff, v17
	v_dual_mov_b32 v54, v17 :: v_dual_mov_b32 v14, 0
	s_mov_b32 s10, exec_lo
	v_cmpx_ne_u16_e32 0, v10
	s_cbranch_execz .LBB4_4620
; %bb.4611:                             ;   in Loop: Header=BB4_4196 Depth=2
	v_bfrev_b32_e32 v14, 1
	s_mov_b32 s26, exec_lo
	v_cmpx_ne_u16_e32 0x80, v10
	s_cbranch_execz .LBB4_4619
; %bb.4612:                             ;   in Loop: Header=BB4_4196 Depth=2
	v_and_b32_e32 v11, 0x7c, v17
	v_and_b32_e32 v10, 3, v17
	s_mov_b32 s27, exec_lo
                                        ; implicit-def: $vgpr14
	s_delay_alu instid0(VALU_DEP_2)
	v_cmpx_ne_u32_e32 0x7c, v11
	s_xor_b32 s27, exec_lo, s27
	s_cbranch_execz .LBB4_4616
; %bb.4613:                             ;   in Loop: Header=BB4_4196 Depth=2
	v_bfe_u32 v11, v17, 2, 5
	s_mov_b32 s28, exec_lo
	s_delay_alu instid0(VALU_DEP_1)
	v_cmpx_eq_u32_e32 0, v11
; %bb.4614:                             ;   in Loop: Header=BB4_4196 Depth=2
	v_clz_i32_u32_e32 v10, v10
	s_delay_alu instid0(VALU_DEP_1) | instskip(NEXT) | instid1(VALU_DEP_1)
	v_min_u32_e32 v14, 32, v10
	v_subrev_nc_u32_e32 v10, 29, v14
	s_delay_alu instid0(VALU_DEP_1) | instskip(SKIP_1) | instid1(VALU_DEP_2)
	v_lshlrev_b64_e32 v[10:11], v10, v[54:55]
	v_sub_nc_u32_e32 v11, 30, v14
	v_and_b32_e32 v10, 3, v10
; %bb.4615:                             ;   in Loop: Header=BB4_4196 Depth=2
	s_or_b32 exec_lo, exec_lo, s28
	v_lshlrev_b32_e32 v14, 24, v17
	s_delay_alu instid0(VALU_DEP_1) | instskip(NEXT) | instid1(VALU_DEP_1)
	v_and_b32_e32 v14, 0x80000000, v14
	v_lshl_add_u32 v11, v11, 23, v14
	s_delay_alu instid0(VALU_DEP_1) | instskip(NEXT) | instid1(VALU_DEP_1)
	v_lshl_or_b32 v10, v10, 21, v11
	v_add_nc_u32_e32 v14, 0x38000000, v10
                                        ; implicit-def: $vgpr10
.LBB4_4616:                             ;   in Loop: Header=BB4_4196 Depth=2
	s_and_not1_saveexec_b32 s27, s27
; %bb.4617:                             ;   in Loop: Header=BB4_4196 Depth=2
	v_bfe_i32 v11, v17, 0, 8
	s_delay_alu instid0(VALU_DEP_1) | instskip(NEXT) | instid1(VALU_DEP_1)
	v_cmp_lt_i16_e64 s7, -1, v11
	v_cndmask_b32_e64 v11, 0xff800000, v109, s7
	v_cmp_eq_u32_e64 s7, 0, v10
	s_delay_alu instid0(VALU_DEP_1)
	v_cndmask_b32_e64 v14, 0x7f800001, v11, s7
; %bb.4618:                             ;   in Loop: Header=BB4_4196 Depth=2
	s_or_b32 exec_lo, exec_lo, s27
.LBB4_4619:                             ;   in Loop: Header=BB4_4196 Depth=2
	s_delay_alu instid0(SALU_CYCLE_1)
	s_or_b32 exec_lo, exec_lo, s26
.LBB4_4620:                             ;   in Loop: Header=BB4_4196 Depth=2
	s_delay_alu instid0(SALU_CYCLE_1) | instskip(SKIP_4) | instid1(VALU_DEP_2)
	s_or_b32 exec_lo, exec_lo, s10
	v_and_b32_e32 v11, 0xff, v13
	v_mov_b32_e32 v10, v13
	s_mov_b32 s26, 0
	s_mov_b32 s10, exec_lo
	v_cmpx_lt_i16_e32 0x7f, v11
	s_xor_b32 s10, exec_lo, s10
	s_cbranch_execz .LBB4_4765
; %bb.4621:                             ;   in Loop: Header=BB4_4196 Depth=2
	s_mov_b32 s26, -1
	s_mov_b32 s27, exec_lo
	v_cmpx_eq_u16_e32 0x80, v11
; %bb.4622:                             ;   in Loop: Header=BB4_4196 Depth=2
	s_xor_b32 s26, exec_lo, -1
; %bb.4623:                             ;   in Loop: Header=BB4_4196 Depth=2
	s_or_b32 exec_lo, exec_lo, s27
	s_delay_alu instid0(SALU_CYCLE_1)
	s_and_b32 s26, s26, exec_lo
                                        ; implicit-def: $vgpr11
	s_or_saveexec_b32 s10, s10
	v_bfrev_b32_e32 v15, 1
	s_xor_b32 exec_lo, exec_lo, s10
	s_cbranch_execnz .LBB4_4766
.LBB4_4624:                             ;   in Loop: Header=BB4_4196 Depth=2
	s_or_b32 exec_lo, exec_lo, s10
	v_mov_b32_e32 v11, v55
	s_and_saveexec_b32 s10, s26
	s_cbranch_execz .LBB4_4626
.LBB4_4625:                             ;   in Loop: Header=BB4_4196 Depth=2
	v_and_b32_e32 v15, 3, v13
	s_delay_alu instid0(VALU_DEP_1) | instskip(NEXT) | instid1(VALU_DEP_1)
	v_clz_i32_u32_e32 v24, v15
	v_min_u32_e32 v117, 32, v24
	s_delay_alu instid0(VALU_DEP_1) | instskip(NEXT) | instid1(VALU_DEP_1)
	v_subrev_nc_u32_e32 v24, 29, v117
	v_lshlrev_b64_e32 v[24:25], v24, v[10:11]
	v_bfe_u32 v25, v13, 2, 5
	v_lshlrev_b32_e32 v11, 24, v13
	v_sub_nc_u32_e32 v117, 30, v117
	s_delay_alu instid0(VALU_DEP_3) | instskip(NEXT) | instid1(VALU_DEP_3)
	v_cmp_eq_u32_e64 s7, 0, v25
	v_and_b32_e32 v11, 0x80000000, v11
	s_delay_alu instid0(VALU_DEP_2) | instskip(SKIP_1) | instid1(VALU_DEP_2)
	v_dual_cndmask_b32 v25, v25, v117, s7 :: v_dual_bitop2_b32 v24, 3, v24 bitop3:0x40
	v_bfe_i32 v117, v13, 0, 8
	v_cndmask_b32_e64 v24, v15, v24, s7
	s_delay_alu instid0(VALU_DEP_3) | instskip(NEXT) | instid1(VALU_DEP_3)
	v_lshl_add_u32 v11, v25, 23, v11
	v_cmp_lt_i16_e64 s7, -1, v117
	s_delay_alu instid0(VALU_DEP_2) | instskip(NEXT) | instid1(VALU_DEP_2)
	v_lshl_or_b32 v11, v24, 21, v11
	v_cndmask_b32_e64 v25, 0xff800000, v109, s7
	v_and_b32_e32 v24, 0x7c, v13
	v_cmp_eq_u32_e64 s7, 0, v15
	s_delay_alu instid0(VALU_DEP_4) | instskip(NEXT) | instid1(VALU_DEP_2)
	v_add_nc_u32_e32 v11, 0x38000000, v11
	v_cndmask_b32_e64 v15, 0x7f800001, v25, s7
	s_delay_alu instid0(VALU_DEP_4) | instskip(NEXT) | instid1(VALU_DEP_1)
	v_cmp_eq_u32_e64 s7, 0x7c, v24
	v_cndmask_b32_e64 v15, v11, v15, s7
.LBB4_4626:                             ;   in Loop: Header=BB4_4196 Depth=2
	s_or_b32 exec_lo, exec_lo, s10
	s_delay_alu instid0(VALU_DEP_1) | instskip(SKIP_2) | instid1(VALU_DEP_2)
	v_dual_mul_f32 v25, v14, v15 :: v_dual_mov_b32 v119, v55
	v_mov_b32_e32 v15, v55
                                        ; implicit-def: $vgpr24
	s_mov_b32 s10, exec_lo
	v_and_b32_e32 v118, 0x7f800000, v25
	v_and_b32_e32 v14, 0x7fffff, v25
	v_lshrrev_b32_e32 v11, 24, v25
	s_delay_alu instid0(VALU_DEP_3)
	v_cmpx_ne_u64_e32 0x7f800000, v[118:119]
	s_xor_b32 s26, exec_lo, s10
	s_cbranch_execz .LBB4_4640
; %bb.4627:                             ;   in Loop: Header=BB4_4196 Depth=2
	v_and_b32_e32 v118, 0x7fffffff, v25
	v_mov_b32_e32 v119, v55
	v_and_b32_e32 v11, 0x80, v11
                                        ; implicit-def: $vgpr24
	s_mov_b32 s10, exec_lo
	s_delay_alu instid0(VALU_DEP_2)
	v_cmpx_gt_u64_e32 0x47600001, v[118:119]
	s_xor_b32 s27, exec_lo, s10
	s_cbranch_execz .LBB4_4637
; %bb.4628:                             ;   in Loop: Header=BB4_4196 Depth=2
	v_mov_b32_e32 v24, 0
	s_mov_b32 s28, exec_lo
	v_cmpx_ne_u32_e32 0, v25
	s_cbranch_execz .LBB4_4636
; %bb.4629:                             ;   in Loop: Header=BB4_4196 Depth=2
	v_bfe_u32 v117, v25, 23, 8
	v_or_b32_e32 v119, 0x800000, v14
	s_delay_alu instid0(VALU_DEP_2) | instskip(SKIP_1) | instid1(VALU_DEP_1)
	v_sub_nc_u32_e32 v24, 0x71, v117
	v_cmp_gt_u32_e64 s7, 0x72, v117
	v_cndmask_b32_e64 v24, 0, v24, s7
	v_cmp_eq_u32_e64 s7, 0, v117
	s_delay_alu instid0(VALU_DEP_1) | instskip(SKIP_1) | instid1(VALU_DEP_2)
	v_cndmask_b32_e64 v118, v24, 0x70, s7
	v_cndmask_b32_e64 v14, v119, v14, s7
	v_dual_add_nc_u32 v24, 21, v118 :: v_dual_add_nc_u32 v40, 20, v118
	s_delay_alu instid0(VALU_DEP_1) | instskip(NEXT) | instid1(VALU_DEP_2)
	v_lshlrev_b64_e64 v[24:25], v24, -1
	v_lshlrev_b64_e64 v[40:41], v40, 1
	s_delay_alu instid0(VALU_DEP_2) | instskip(SKIP_1) | instid1(VALU_DEP_4)
	v_bfi_b32 v24, v24, 0, v14
	v_lshrrev_b64 v[14:15], v118, v[14:15]
	v_bfi_b32 v25, v25, 0, 0
	s_delay_alu instid0(VALU_DEP_1) | instskip(NEXT) | instid1(VALU_DEP_3)
	v_cmp_eq_u64_e64 s10, v[24:25], v[40:41]
	v_mov_b64_e32 v[24:25], v[14:15]
	s_and_saveexec_b32 s29, s10
; %bb.4630:                             ;   in Loop: Header=BB4_4196 Depth=2
	v_bfe_u32 v24, v14, 21, 1
	v_mov_b32_e32 v25, v55
	s_delay_alu instid0(VALU_DEP_1) | instskip(NEXT) | instid1(VALU_DEP_1)
	v_add_nc_u64_e32 v[24:25], v[14:15], v[24:25]
	v_add_nc_u64_e32 v[24:25], -1, v[24:25]
; %bb.4631:                             ;   in Loop: Header=BB4_4196 Depth=2
	s_or_b32 exec_lo, exec_lo, s29
	v_add_nc_u32_e32 v15, 0xffffff81, v117
	v_lshrrev_b32_e32 v25, 23, v14
	s_mov_b32 s10, exec_lo
	s_delay_alu instid0(VALU_DEP_2) | instskip(NEXT) | instid1(VALU_DEP_1)
	v_cndmask_b32_e64 v15, v15, 0xffffff82, s7
	v_add3_u32 v25, v118, v15, v25
	v_and_b32_e32 v15, 0x1fffff, v24
                                        ; implicit-def: $vgpr24
	s_delay_alu instid0(VALU_DEP_1) | instskip(SKIP_1) | instid1(VALU_DEP_2)
	v_dual_add_nc_u32 v117, 14, v25 :: v_dual_add_nc_u32 v14, v15, v14
	v_mov_b32_e32 v15, v55
	v_cmpx_ne_u32_e32 0, v117
	s_xor_b32 s10, exec_lo, s10
; %bb.4632:                             ;   in Loop: Header=BB4_4196 Depth=2
	s_delay_alu instid0(VALU_DEP_2) | instskip(SKIP_1) | instid1(VALU_DEP_2)
	v_cmp_lt_u64_e64 s7, 0xffffff, v[14:15]
	v_add_nc_u32_e32 v24, 15, v25
	v_cndmask_b32_e64 v25, 0, 1, s7
	s_delay_alu instid0(VALU_DEP_2) | instskip(NEXT) | instid1(VALU_DEP_2)
	v_cndmask_b32_e64 v24, v117, v24, s7
	v_lshrrev_b64 v[14:15], v25, v[14:15]
; %bb.4633:                             ;   in Loop: Header=BB4_4196 Depth=2
	s_and_not1_saveexec_b32 s7, s10
; %bb.4634:                             ;   in Loop: Header=BB4_4196 Depth=2
	s_delay_alu instid0(VALU_DEP_1)
	v_bfe_u32 v24, v14, 23, 1
; %bb.4635:                             ;   in Loop: Header=BB4_4196 Depth=2
	s_or_b32 exec_lo, exec_lo, s7
	s_delay_alu instid0(VALU_DEP_2) | instskip(NEXT) | instid1(VALU_DEP_2)
	v_lshrrev_b64 v[14:15], 21, v[14:15]
	v_cmp_gt_i32_e64 s7, 32, v24
	v_min_i32_e32 v25, 31, v24
	v_cmp_eq_u32_e64 s10, 0, v24
	s_delay_alu instid0(VALU_DEP_2) | instskip(SKIP_1) | instid1(VALU_DEP_2)
	v_dual_cndmask_b32 v15, 0, v15, s7 :: v_dual_lshlrev_b32 v25, 2, v25
	v_cndmask_b32_e64 v14, 3, v14, s7
	v_and_b32_e32 v25, 0xfc, v25
	s_delay_alu instid0(VALU_DEP_2) | instskip(NEXT) | instid1(VALU_DEP_2)
	v_cmp_eq_u64_e64 s7, 0, v[14:15]
	v_and_or_b32 v14, v14, 3, v25
	s_and_b32 s7, s10, s7
	s_delay_alu instid0(VALU_DEP_1) | instid1(SALU_CYCLE_1)
	v_cndmask_b32_e64 v14, v14, 0, s7
	s_delay_alu instid0(VALU_DEP_1)
	v_or_b32_e32 v24, v14, v11
.LBB4_4636:                             ;   in Loop: Header=BB4_4196 Depth=2
	s_or_b32 exec_lo, exec_lo, s28
                                        ; implicit-def: $vgpr11
.LBB4_4637:                             ;   in Loop: Header=BB4_4196 Depth=2
	s_and_not1_saveexec_b32 s7, s27
; %bb.4638:                             ;   in Loop: Header=BB4_4196 Depth=2
	v_or_b32_e32 v24, 0x7b, v11
; %bb.4639:                             ;   in Loop: Header=BB4_4196 Depth=2
	s_or_b32 exec_lo, exec_lo, s7
                                        ; implicit-def: $vgpr25
                                        ; implicit-def: $vgpr14_vgpr15
                                        ; implicit-def: $vgpr11
.LBB4_4640:                             ;   in Loop: Header=BB4_4196 Depth=2
	s_and_not1_saveexec_b32 s10, s26
	s_cbranch_execz .LBB4_4646
; %bb.4641:                             ;   in Loop: Header=BB4_4196 Depth=2
	v_cmp_ne_u64_e64 s7, 0, v[14:15]
                                        ; implicit-def: $vgpr24
	s_and_saveexec_b32 s26, s7
	s_delay_alu instid0(SALU_CYCLE_1)
	s_xor_b32 s7, exec_lo, s26
; %bb.4642:                             ;   in Loop: Header=BB4_4196 Depth=2
	v_or_b32_e32 v24, 0x7f, v11
                                        ; implicit-def: $vgpr25
; %bb.4643:                             ;   in Loop: Header=BB4_4196 Depth=2
	s_and_not1_saveexec_b32 s26, s7
; %bb.4644:                             ;   in Loop: Header=BB4_4196 Depth=2
	v_cmp_lt_i32_e64 s7, -1, v25
	s_delay_alu instid0(VALU_DEP_1)
	v_cndmask_b32_e64 v24, 0xfc, v110, s7
; %bb.4645:                             ;   in Loop: Header=BB4_4196 Depth=2
	s_or_b32 exec_lo, exec_lo, s26
.LBB4_4646:                             ;   in Loop: Header=BB4_4196 Depth=2
	s_delay_alu instid0(SALU_CYCLE_1) | instskip(SKIP_3) | instid1(VALU_DEP_2)
	s_or_b32 exec_lo, exec_lo, s10
	v_lshrrev_b16 v14, 8, v54
	v_mov_b32_e32 v11, 0
	s_mov_b32 s10, exec_lo
	v_cmpx_ne_u16_e32 0, v14
	s_cbranch_execz .LBB4_4656
; %bb.4647:                             ;   in Loop: Header=BB4_4196 Depth=2
	v_bfrev_b32_e32 v11, 1
	s_mov_b32 s26, exec_lo
	v_cmpx_ne_u16_e32 0x80, v14
	s_cbranch_execz .LBB4_4655
; %bb.4648:                             ;   in Loop: Header=BB4_4196 Depth=2
	v_and_b32_e32 v25, 0xffff, v14
	s_delay_alu instid0(VALU_DEP_1) | instskip(SKIP_1) | instid1(VALU_DEP_2)
	v_and_b32_e32 v11, 0x7c, v25
	v_and_b32_e32 v15, 3, v25
	v_cmp_ne_u32_e64 s7, 0x7c, v11
                                        ; implicit-def: $vgpr11
	s_and_saveexec_b32 s27, s7
	s_delay_alu instid0(SALU_CYCLE_1)
	s_xor_b32 s27, exec_lo, s27
	s_cbranch_execz .LBB4_4652
; %bb.4649:                             ;   in Loop: Header=BB4_4196 Depth=2
	v_bfe_u32 v11, v25, 2, 5
	s_mov_b32 s28, exec_lo
	s_delay_alu instid0(VALU_DEP_1)
	v_cmpx_eq_u32_e32 0, v11
	s_cbranch_execz .LBB4_4651
; %bb.4650:                             ;   in Loop: Header=BB4_4196 Depth=2
	v_clz_i32_u32_e32 v11, v15
	s_delay_alu instid0(VALU_DEP_1) | instskip(SKIP_1) | instid1(VALU_DEP_2)
	v_min_u32_e32 v11, 32, v11
	v_mov_b32_e32 v15, v55
	v_subrev_nc_u32_e32 v25, 29, v11
	v_sub_nc_u32_e32 v11, 30, v11
	s_delay_alu instid0(VALU_DEP_2) | instskip(NEXT) | instid1(VALU_DEP_1)
	v_lshlrev_b64_e32 v[14:15], v25, v[14:15]
	v_and_b32_e32 v15, 3, v14
.LBB4_4651:                             ;   in Loop: Header=BB4_4196 Depth=2
	s_or_b32 exec_lo, exec_lo, s28
	v_lshlrev_b32_e32 v14, 16, v54
	s_delay_alu instid0(VALU_DEP_1) | instskip(NEXT) | instid1(VALU_DEP_1)
	v_and_b32_e32 v14, 0x80000000, v14
	v_lshl_add_u32 v11, v11, 23, v14
	s_delay_alu instid0(VALU_DEP_1) | instskip(NEXT) | instid1(VALU_DEP_1)
	v_lshl_or_b32 v11, v15, 21, v11
                                        ; implicit-def: $vgpr15
	v_add_nc_u32_e32 v11, 0x38000000, v11
.LBB4_4652:                             ;   in Loop: Header=BB4_4196 Depth=2
	s_and_not1_saveexec_b32 s27, s27
; %bb.4653:                             ;   in Loop: Header=BB4_4196 Depth=2
	v_cmp_lt_i16_e64 s7, -1, v54
	s_delay_alu instid0(VALU_DEP_1) | instskip(SKIP_1) | instid1(VALU_DEP_1)
	v_cndmask_b32_e64 v11, 0xff800000, v109, s7
	v_cmp_eq_u32_e64 s7, 0, v15
	v_cndmask_b32_e64 v11, 0x7f800001, v11, s7
; %bb.4654:                             ;   in Loop: Header=BB4_4196 Depth=2
	s_or_b32 exec_lo, exec_lo, s27
.LBB4_4655:                             ;   in Loop: Header=BB4_4196 Depth=2
	s_delay_alu instid0(SALU_CYCLE_1)
	s_or_b32 exec_lo, exec_lo, s26
.LBB4_4656:                             ;   in Loop: Header=BB4_4196 Depth=2
	s_delay_alu instid0(SALU_CYCLE_1) | instskip(SKIP_3) | instid1(VALU_DEP_1)
	s_or_b32 exec_lo, exec_lo, s10
	v_lshrrev_b16 v54, 8, v10
	s_mov_b32 s26, 0
	s_mov_b32 s10, exec_lo
	v_cmpx_lt_i16_e32 0x7f, v54
	s_xor_b32 s10, exec_lo, s10
	s_cbranch_execz .LBB4_4767
; %bb.4657:                             ;   in Loop: Header=BB4_4196 Depth=2
	s_mov_b32 s26, -1
	s_mov_b32 s27, exec_lo
	v_cmpx_eq_u16_e32 0x80, v54
; %bb.4658:                             ;   in Loop: Header=BB4_4196 Depth=2
	s_xor_b32 s26, exec_lo, -1
; %bb.4659:                             ;   in Loop: Header=BB4_4196 Depth=2
	s_or_b32 exec_lo, exec_lo, s27
	s_delay_alu instid0(SALU_CYCLE_1)
	s_and_b32 s26, s26, exec_lo
	s_or_saveexec_b32 s10, s10
	v_bfrev_b32_e32 v14, 1
	s_xor_b32 exec_lo, exec_lo, s10
	s_cbranch_execnz .LBB4_4768
.LBB4_4660:                             ;   in Loop: Header=BB4_4196 Depth=2
	s_or_b32 exec_lo, exec_lo, s10
	s_and_saveexec_b32 s10, s26
	s_cbranch_execz .LBB4_4662
.LBB4_4661:                             ;   in Loop: Header=BB4_4196 Depth=2
	v_and_b32_e32 v25, 0xffff, v54
	s_delay_alu instid0(VALU_DEP_1) | instskip(NEXT) | instid1(VALU_DEP_1)
	v_and_b32_e32 v117, 3, v25
	v_clz_i32_u32_e32 v14, v117
	s_delay_alu instid0(VALU_DEP_1) | instskip(NEXT) | instid1(VALU_DEP_1)
	v_min_u32_e32 v118, 32, v14
	v_subrev_nc_u32_e32 v14, 29, v118
	v_sub_nc_u32_e32 v118, 30, v118
	s_delay_alu instid0(VALU_DEP_2) | instskip(SKIP_2) | instid1(VALU_DEP_2)
	v_lshlrev_b64_e32 v[14:15], v14, v[54:55]
	v_lshlrev_b32_e32 v15, 24, v54
	v_bfe_u32 v54, v25, 2, 5
	v_and_b32_e32 v15, 0x80000000, v15
	s_delay_alu instid0(VALU_DEP_2) | instskip(SKIP_1) | instid1(VALU_DEP_2)
	v_cmp_eq_u32_e64 s7, 0, v54
	v_and_b32_e32 v14, 3, v14
	v_cndmask_b32_e64 v54, v54, v118, s7
	s_delay_alu instid0(VALU_DEP_2) | instskip(SKIP_1) | instid1(VALU_DEP_3)
	v_cndmask_b32_e64 v14, v117, v14, s7
	v_cmp_lt_i16_e64 s7, -1, v10
	v_lshl_add_u32 v15, v54, 23, v15
	s_delay_alu instid0(VALU_DEP_2) | instskip(SKIP_1) | instid1(VALU_DEP_3)
	v_cndmask_b32_e64 v10, 0xff800000, v109, s7
	v_cmp_eq_u32_e64 s7, 0, v117
	v_lshl_or_b32 v14, v14, 21, v15
	v_and_b32_e32 v15, 0x7c, v25
	s_delay_alu instid0(VALU_DEP_3) | instskip(NEXT) | instid1(VALU_DEP_3)
	v_cndmask_b32_e64 v10, 0x7f800001, v10, s7
	v_add_nc_u32_e32 v14, 0x38000000, v14
	s_delay_alu instid0(VALU_DEP_3) | instskip(NEXT) | instid1(VALU_DEP_1)
	v_cmp_eq_u32_e64 s7, 0x7c, v15
	v_cndmask_b32_e64 v14, v14, v10, s7
.LBB4_4662:                             ;   in Loop: Header=BB4_4196 Depth=2
	s_or_b32 exec_lo, exec_lo, s10
	s_delay_alu instid0(VALU_DEP_1) | instskip(SKIP_2) | instid1(VALU_DEP_2)
	v_mul_f32_e32 v10, v11, v14
	v_mov_b32_e32 v15, v55
                                        ; implicit-def: $vgpr25
	s_mov_b32 s10, exec_lo
	v_and_b32_e32 v14, 0x7f800000, v10
	v_and_b32_e32 v54, 0x7fffff, v10
	v_lshrrev_b32_e32 v11, 24, v10
	s_delay_alu instid0(VALU_DEP_3)
	v_cmpx_ne_u64_e32 0x7f800000, v[14:15]
	s_xor_b32 s26, exec_lo, s10
	s_cbranch_execz .LBB4_4676
; %bb.4663:                             ;   in Loop: Header=BB4_4196 Depth=2
	v_and_b32_e32 v14, 0x7fffffff, v10
	v_mov_b32_e32 v15, v55
	v_and_b32_e32 v117, 0x80, v11
                                        ; implicit-def: $vgpr25
	s_mov_b32 s10, exec_lo
	s_delay_alu instid0(VALU_DEP_2)
	v_cmpx_gt_u64_e32 0x47600001, v[14:15]
	s_xor_b32 s27, exec_lo, s10
	s_cbranch_execz .LBB4_4673
; %bb.4664:                             ;   in Loop: Header=BB4_4196 Depth=2
	v_mov_b32_e32 v25, 0
	s_mov_b32 s28, exec_lo
	v_cmpx_ne_u32_e32 0, v10
	s_cbranch_execz .LBB4_4672
; %bb.4665:                             ;   in Loop: Header=BB4_4196 Depth=2
	v_bfe_u32 v25, v10, 23, 8
	v_or_b32_e32 v14, 0x800000, v54
	s_delay_alu instid0(VALU_DEP_2) | instskip(SKIP_1) | instid1(VALU_DEP_1)
	v_sub_nc_u32_e32 v10, 0x71, v25
	v_cmp_gt_u32_e64 s7, 0x72, v25
	v_cndmask_b32_e64 v10, 0, v10, s7
	v_cmp_eq_u32_e64 s7, 0, v25
	s_delay_alu instid0(VALU_DEP_1) | instskip(SKIP_1) | instid1(VALU_DEP_2)
	v_cndmask_b32_e64 v118, v10, 0x70, s7
	v_cndmask_b32_e64 v54, v14, v54, s7
	v_dual_add_nc_u32 v10, 21, v118 :: v_dual_add_nc_u32 v15, 20, v118
	s_delay_alu instid0(VALU_DEP_1) | instskip(NEXT) | instid1(VALU_DEP_2)
	v_lshlrev_b64_e64 v[10:11], v10, -1
	v_lshlrev_b64_e64 v[14:15], v15, 1
	s_delay_alu instid0(VALU_DEP_2) | instskip(NEXT) | instid1(VALU_DEP_3)
	v_bfi_b32 v41, v11, 0, 0
	v_bfi_b32 v40, v10, 0, v54
	v_lshrrev_b64 v[10:11], v118, v[54:55]
	s_delay_alu instid0(VALU_DEP_2) | instskip(NEXT) | instid1(VALU_DEP_2)
	v_cmp_eq_u64_e64 s10, v[40:41], v[14:15]
	v_mov_b64_e32 v[14:15], v[10:11]
	s_and_saveexec_b32 s29, s10
; %bb.4666:                             ;   in Loop: Header=BB4_4196 Depth=2
	v_bfe_u32 v54, v10, 21, 1
	s_delay_alu instid0(VALU_DEP_1) | instskip(NEXT) | instid1(VALU_DEP_1)
	v_add_nc_u64_e32 v[14:15], v[10:11], v[54:55]
	v_add_nc_u64_e32 v[14:15], -1, v[14:15]
; %bb.4667:                             ;   in Loop: Header=BB4_4196 Depth=2
	s_or_b32 exec_lo, exec_lo, s29
	v_add_nc_u32_e32 v11, 0xffffff81, v25
	v_lshrrev_b32_e32 v15, 23, v10
	s_mov_b32 s10, exec_lo
	s_delay_alu instid0(VALU_DEP_2) | instskip(NEXT) | instid1(VALU_DEP_1)
	v_cndmask_b32_e64 v11, v11, 0xffffff82, s7
	v_add3_u32 v15, v118, v11, v15
	v_and_b32_e32 v11, 0x1fffff, v14
                                        ; implicit-def: $vgpr14
	s_delay_alu instid0(VALU_DEP_1) | instskip(NEXT) | instid1(VALU_DEP_1)
	v_dual_add_nc_u32 v25, 14, v15 :: v_dual_add_nc_u32 v54, v11, v10
                                        ; implicit-def: $vgpr10_vgpr11
	v_cmpx_ne_u32_e32 0, v25
	s_xor_b32 s10, exec_lo, s10
; %bb.4668:                             ;   in Loop: Header=BB4_4196 Depth=2
	s_delay_alu instid0(VALU_DEP_2) | instskip(SKIP_1) | instid1(VALU_DEP_1)
	v_cmp_lt_u64_e64 s7, 0xffffff, v[54:55]
	v_add_nc_u32_e32 v10, 15, v15
	v_cndmask_b32_e64 v14, v25, v10, s7
	v_cndmask_b32_e64 v10, 0, 1, s7
	s_delay_alu instid0(VALU_DEP_1)
	v_lshrrev_b64 v[10:11], v10, v[54:55]
; %bb.4669:                             ;   in Loop: Header=BB4_4196 Depth=2
	s_and_not1_saveexec_b32 s7, s10
; %bb.4670:                             ;   in Loop: Header=BB4_4196 Depth=2
	v_mov_b64_e32 v[10:11], v[54:55]
	v_bfe_u32 v14, v54, 23, 1
; %bb.4671:                             ;   in Loop: Header=BB4_4196 Depth=2
	s_or_b32 exec_lo, exec_lo, s7
	s_delay_alu instid0(VALU_DEP_2) | instskip(NEXT) | instid1(VALU_DEP_2)
	v_lshrrev_b64 v[10:11], 21, v[10:11]
	v_cmp_gt_i32_e64 s7, 32, v14
	v_min_i32_e32 v15, 31, v14
	v_cmp_eq_u32_e64 s10, 0, v14
	s_delay_alu instid0(VALU_DEP_3) | instskip(NEXT) | instid1(VALU_DEP_3)
	v_cndmask_b32_e64 v11, 0, v11, s7
	v_dual_lshlrev_b32 v15, 2, v15 :: v_dual_cndmask_b32 v10, 3, v10, s7
	s_delay_alu instid0(VALU_DEP_1) | instskip(NEXT) | instid1(VALU_DEP_2)
	v_and_b32_e32 v15, 0xfc, v15
	v_cmp_eq_u64_e64 s7, 0, v[10:11]
	s_delay_alu instid0(VALU_DEP_2)
	v_and_or_b32 v10, v10, 3, v15
	s_and_b32 s7, s10, s7
	s_delay_alu instid0(VALU_DEP_1) | instid1(SALU_CYCLE_1)
	v_cndmask_b32_e64 v10, v10, 0, s7
	s_delay_alu instid0(VALU_DEP_1)
	v_or_b32_e32 v25, v10, v117
.LBB4_4672:                             ;   in Loop: Header=BB4_4196 Depth=2
	s_or_b32 exec_lo, exec_lo, s28
                                        ; implicit-def: $vgpr117
.LBB4_4673:                             ;   in Loop: Header=BB4_4196 Depth=2
	s_and_not1_saveexec_b32 s7, s27
; %bb.4674:                             ;   in Loop: Header=BB4_4196 Depth=2
	v_or_b32_e32 v25, 0x7b, v117
; %bb.4675:                             ;   in Loop: Header=BB4_4196 Depth=2
	s_or_b32 exec_lo, exec_lo, s7
                                        ; implicit-def: $vgpr10
                                        ; implicit-def: $vgpr11
.LBB4_4676:                             ;   in Loop: Header=BB4_4196 Depth=2
	s_and_not1_saveexec_b32 s10, s26
	s_cbranch_execz .LBB4_4682
; %bb.4677:                             ;   in Loop: Header=BB4_4196 Depth=2
	v_cmp_ne_u64_e64 s7, 0, v[54:55]
                                        ; implicit-def: $vgpr25
	s_and_saveexec_b32 s26, s7
	s_delay_alu instid0(SALU_CYCLE_1)
	s_xor_b32 s7, exec_lo, s26
; %bb.4678:                             ;   in Loop: Header=BB4_4196 Depth=2
	v_or_b32_e32 v25, 0x7f, v11
                                        ; implicit-def: $vgpr10
; %bb.4679:                             ;   in Loop: Header=BB4_4196 Depth=2
	s_and_not1_saveexec_b32 s26, s7
; %bb.4680:                             ;   in Loop: Header=BB4_4196 Depth=2
	v_cmp_lt_i32_e64 s7, -1, v10
	s_delay_alu instid0(VALU_DEP_1)
	v_cndmask_b32_e64 v25, 0xfc, v110, s7
; %bb.4681:                             ;   in Loop: Header=BB4_4196 Depth=2
	s_or_b32 exec_lo, exec_lo, s26
.LBB4_4682:                             ;   in Loop: Header=BB4_4196 Depth=2
	s_delay_alu instid0(SALU_CYCLE_1) | instskip(SKIP_2) | instid1(VALU_DEP_1)
	s_or_b32 exec_lo, exec_lo, s10
	v_dual_mov_b32 v11, 0 :: v_dual_lshrrev_b32 v10, 16, v17
	s_mov_b32 s10, exec_lo
	v_and_b32_e32 v14, 0xff, v10
	s_delay_alu instid0(VALU_DEP_1)
	v_cmpx_ne_u16_e32 0, v14
	s_cbranch_execz .LBB4_4692
; %bb.4683:                             ;   in Loop: Header=BB4_4196 Depth=2
	v_bfrev_b32_e32 v11, 1
	s_mov_b32 s26, exec_lo
	v_cmpx_ne_u16_e32 0x80, v14
	s_cbranch_execz .LBB4_4691
; %bb.4684:                             ;   in Loop: Header=BB4_4196 Depth=2
	v_and_b32_e32 v11, 0x7c0000, v17
	v_bfe_u32 v14, v17, 16, 2
	s_delay_alu instid0(VALU_DEP_2) | instskip(SKIP_1) | instid1(SALU_CYCLE_1)
	v_cmp_ne_u32_e64 s7, 0x7c0000, v11
                                        ; implicit-def: $vgpr11
	s_and_saveexec_b32 s27, s7
	s_xor_b32 s27, exec_lo, s27
	s_cbranch_execz .LBB4_4688
; %bb.4685:                             ;   in Loop: Header=BB4_4196 Depth=2
	v_bfe_u32 v11, v17, 18, 5
	s_mov_b32 s28, exec_lo
	s_delay_alu instid0(VALU_DEP_1)
	v_cmpx_eq_u32_e32 0, v11
; %bb.4686:                             ;   in Loop: Header=BB4_4196 Depth=2
	v_clz_i32_u32_e32 v11, v14
	s_delay_alu instid0(VALU_DEP_1) | instskip(NEXT) | instid1(VALU_DEP_1)
	v_min_u32_e32 v11, 32, v11
	v_subrev_nc_u32_e32 v14, 29, v11
	s_delay_alu instid0(VALU_DEP_1) | instskip(NEXT) | instid1(VALU_DEP_1)
	v_lshlrev_b64_e32 v[14:15], v14, v[10:11]
	v_dual_sub_nc_u32 v11, 30, v11 :: v_dual_bitop2_b32 v14, 3, v14 bitop3:0x40
; %bb.4687:                             ;   in Loop: Header=BB4_4196 Depth=2
	s_or_b32 exec_lo, exec_lo, s28
	v_lshlrev_b32_e32 v10, 24, v10
	s_delay_alu instid0(VALU_DEP_1) | instskip(NEXT) | instid1(VALU_DEP_1)
	v_and_b32_e32 v10, 0x80000000, v10
	v_lshl_add_u32 v10, v11, 23, v10
	s_delay_alu instid0(VALU_DEP_1) | instskip(NEXT) | instid1(VALU_DEP_1)
	v_lshl_or_b32 v10, v14, 21, v10
                                        ; implicit-def: $vgpr14
	v_add_nc_u32_e32 v11, 0x38000000, v10
                                        ; implicit-def: $vgpr10
.LBB4_4688:                             ;   in Loop: Header=BB4_4196 Depth=2
	s_and_not1_saveexec_b32 s27, s27
; %bb.4689:                             ;   in Loop: Header=BB4_4196 Depth=2
	v_bfe_i32 v10, v10, 0, 8
	s_delay_alu instid0(VALU_DEP_1) | instskip(NEXT) | instid1(VALU_DEP_1)
	v_cmp_lt_i16_e64 s7, -1, v10
	v_cndmask_b32_e64 v10, 0xff800000, v109, s7
	v_cmp_eq_u32_e64 s7, 0, v14
	s_delay_alu instid0(VALU_DEP_1)
	v_cndmask_b32_e64 v11, 0x7f800001, v10, s7
; %bb.4690:                             ;   in Loop: Header=BB4_4196 Depth=2
	s_or_b32 exec_lo, exec_lo, s27
.LBB4_4691:                             ;   in Loop: Header=BB4_4196 Depth=2
	s_delay_alu instid0(SALU_CYCLE_1)
	s_or_b32 exec_lo, exec_lo, s26
.LBB4_4692:                             ;   in Loop: Header=BB4_4196 Depth=2
	s_delay_alu instid0(SALU_CYCLE_1) | instskip(SKIP_3) | instid1(VALU_DEP_1)
	s_or_b32 exec_lo, exec_lo, s10
	v_lshrrev_b32_e32 v10, 16, v13
	s_mov_b32 s26, 0
	s_mov_b32 s10, exec_lo
	v_and_b32_e32 v15, 0xff, v10
	s_delay_alu instid0(VALU_DEP_1)
	v_cmpx_lt_i16_e32 0x7f, v15
	s_xor_b32 s10, exec_lo, s10
	s_cbranch_execz .LBB4_4769
; %bb.4693:                             ;   in Loop: Header=BB4_4196 Depth=2
	s_mov_b32 s26, -1
	s_mov_b32 s27, exec_lo
	v_cmpx_eq_u16_e32 0x80, v15
; %bb.4694:                             ;   in Loop: Header=BB4_4196 Depth=2
	s_xor_b32 s26, exec_lo, -1
; %bb.4695:                             ;   in Loop: Header=BB4_4196 Depth=2
	s_or_b32 exec_lo, exec_lo, s27
	s_delay_alu instid0(SALU_CYCLE_1)
	s_and_b32 s26, s26, exec_lo
                                        ; implicit-def: $vgpr15
	s_or_saveexec_b32 s10, s10
	v_bfrev_b32_e32 v14, 1
	s_xor_b32 exec_lo, exec_lo, s10
	s_cbranch_execnz .LBB4_4770
.LBB4_4696:                             ;   in Loop: Header=BB4_4196 Depth=2
	s_or_b32 exec_lo, exec_lo, s10
	s_and_saveexec_b32 s10, s26
	s_cbranch_execz .LBB4_4698
.LBB4_4697:                             ;   in Loop: Header=BB4_4196 Depth=2
	v_and_b32_e32 v54, 3, v10
	v_bfe_u32 v118, v13, 18, 5
	s_delay_alu instid0(VALU_DEP_2) | instskip(NEXT) | instid1(VALU_DEP_2)
	v_clz_i32_u32_e32 v14, v54
	v_cmp_eq_u32_e64 s7, 0, v118
	s_delay_alu instid0(VALU_DEP_2) | instskip(NEXT) | instid1(VALU_DEP_1)
	v_min_u32_e32 v117, 32, v14
	v_subrev_nc_u32_e32 v14, 29, v117
	s_delay_alu instid0(VALU_DEP_1) | instskip(SKIP_2) | instid1(VALU_DEP_2)
	v_lshlrev_b64_e32 v[14:15], v14, v[10:11]
	v_dual_lshlrev_b32 v15, 24, v10 :: v_dual_sub_nc_u32 v117, 30, v117
	v_bfe_i32 v10, v10, 0, 8
	v_and_b32_e32 v15, 0x80000000, v15
	s_delay_alu instid0(VALU_DEP_3) | instskip(NEXT) | instid1(VALU_DEP_1)
	v_dual_cndmask_b32 v117, v118, v117, s7 :: v_dual_bitop2_b32 v14, 3, v14 bitop3:0x40
	v_cndmask_b32_e64 v14, v54, v14, s7
	s_delay_alu instid0(VALU_DEP_2) | instskip(SKIP_1) | instid1(VALU_DEP_2)
	v_lshl_add_u32 v15, v117, 23, v15
	v_cmp_lt_i16_e64 s7, -1, v10
	v_lshl_or_b32 v14, v14, 21, v15
	s_delay_alu instid0(VALU_DEP_2) | instskip(SKIP_2) | instid1(VALU_DEP_4)
	v_cndmask_b32_e64 v10, 0xff800000, v109, s7
	v_and_b32_e32 v15, 0x7c0000, v13
	v_cmp_eq_u32_e64 s7, 0, v54
	v_add_nc_u32_e32 v14, 0x38000000, v14
	s_delay_alu instid0(VALU_DEP_2) | instskip(NEXT) | instid1(VALU_DEP_4)
	v_cndmask_b32_e64 v10, 0x7f800001, v10, s7
	v_cmp_eq_u32_e64 s7, 0x7c0000, v15
	s_delay_alu instid0(VALU_DEP_1)
	v_cndmask_b32_e64 v14, v14, v10, s7
.LBB4_4698:                             ;   in Loop: Header=BB4_4196 Depth=2
	s_or_b32 exec_lo, exec_lo, s10
	s_delay_alu instid0(VALU_DEP_1) | instskip(NEXT) | instid1(VALU_DEP_1)
	v_mul_f32_e32 v10, v11, v14
	v_dual_mov_b32 v15, v55 :: v_dual_lshrrev_b32 v11, 24, v10
	v_and_b32_e32 v14, 0x7f800000, v10
	v_and_b32_e32 v54, 0x7fffff, v10
	s_delay_alu instid0(VALU_DEP_2) | instskip(SKIP_1) | instid1(SALU_CYCLE_1)
	v_cmp_ne_u64_e64 s7, 0x7f800000, v[14:15]
                                        ; implicit-def: $vgpr14
	s_and_saveexec_b32 s10, s7
	s_xor_b32 s26, exec_lo, s10
	s_cbranch_execz .LBB4_4712
; %bb.4699:                             ;   in Loop: Header=BB4_4196 Depth=2
	v_and_b32_e32 v14, 0x7fffffff, v10
	v_mov_b32_e32 v15, v55
	v_and_b32_e32 v117, 0x80, v11
	s_delay_alu instid0(VALU_DEP_2) | instskip(SKIP_1) | instid1(SALU_CYCLE_1)
	v_cmp_gt_u64_e64 s7, 0x47600001, v[14:15]
                                        ; implicit-def: $vgpr14
	s_and_saveexec_b32 s10, s7
	s_xor_b32 s27, exec_lo, s10
	s_cbranch_execz .LBB4_4709
; %bb.4700:                             ;   in Loop: Header=BB4_4196 Depth=2
	v_mov_b32_e32 v14, 0
	s_mov_b32 s28, exec_lo
	v_cmpx_ne_u32_e32 0, v10
	s_cbranch_execz .LBB4_4708
; %bb.4701:                             ;   in Loop: Header=BB4_4196 Depth=2
	v_bfe_u32 v118, v10, 23, 8
	v_or_b32_e32 v14, 0x800000, v54
	s_delay_alu instid0(VALU_DEP_2) | instskip(SKIP_1) | instid1(VALU_DEP_1)
	v_sub_nc_u32_e32 v10, 0x71, v118
	v_cmp_gt_u32_e64 s7, 0x72, v118
	v_cndmask_b32_e64 v10, 0, v10, s7
	v_cmp_eq_u32_e64 s7, 0, v118
	s_delay_alu instid0(VALU_DEP_1) | instskip(NEXT) | instid1(VALU_DEP_1)
	v_cndmask_b32_e64 v119, v10, 0x70, s7
	v_dual_cndmask_b32 v54, v14, v54, s7 :: v_dual_add_nc_u32 v10, 21, v119
	v_add_nc_u32_e32 v15, 20, v119
	s_delay_alu instid0(VALU_DEP_2) | instskip(NEXT) | instid1(VALU_DEP_2)
	v_lshlrev_b64_e64 v[10:11], v10, -1
	v_lshlrev_b64_e64 v[14:15], v15, 1
	s_delay_alu instid0(VALU_DEP_2) | instskip(NEXT) | instid1(VALU_DEP_3)
	v_bfi_b32 v41, v11, 0, 0
	v_bfi_b32 v40, v10, 0, v54
	v_lshrrev_b64 v[10:11], v119, v[54:55]
	s_delay_alu instid0(VALU_DEP_2) | instskip(NEXT) | instid1(VALU_DEP_2)
	v_cmp_eq_u64_e64 s10, v[40:41], v[14:15]
	v_mov_b64_e32 v[14:15], v[10:11]
	s_and_saveexec_b32 s29, s10
; %bb.4702:                             ;   in Loop: Header=BB4_4196 Depth=2
	v_bfe_u32 v54, v10, 21, 1
	s_delay_alu instid0(VALU_DEP_1) | instskip(NEXT) | instid1(VALU_DEP_1)
	v_add_nc_u64_e32 v[14:15], v[10:11], v[54:55]
	v_add_nc_u64_e32 v[14:15], -1, v[14:15]
; %bb.4703:                             ;   in Loop: Header=BB4_4196 Depth=2
	s_or_b32 exec_lo, exec_lo, s29
	v_add_nc_u32_e32 v11, 0xffffff81, v118
	v_lshrrev_b32_e32 v15, 23, v10
	s_mov_b32 s10, exec_lo
	s_delay_alu instid0(VALU_DEP_2) | instskip(NEXT) | instid1(VALU_DEP_1)
	v_cndmask_b32_e64 v11, v11, 0xffffff82, s7
	v_add3_u32 v15, v119, v11, v15
	v_and_b32_e32 v11, 0x1fffff, v14
                                        ; implicit-def: $vgpr14
	s_delay_alu instid0(VALU_DEP_1) | instskip(NEXT) | instid1(VALU_DEP_1)
	v_dual_add_nc_u32 v118, 14, v15 :: v_dual_add_nc_u32 v54, v11, v10
                                        ; implicit-def: $vgpr10_vgpr11
	v_cmpx_ne_u32_e32 0, v118
	s_xor_b32 s10, exec_lo, s10
; %bb.4704:                             ;   in Loop: Header=BB4_4196 Depth=2
	s_delay_alu instid0(VALU_DEP_2) | instskip(SKIP_1) | instid1(VALU_DEP_1)
	v_cmp_lt_u64_e64 s7, 0xffffff, v[54:55]
	v_add_nc_u32_e32 v10, 15, v15
	v_cndmask_b32_e64 v14, v118, v10, s7
	v_cndmask_b32_e64 v10, 0, 1, s7
	s_delay_alu instid0(VALU_DEP_1)
	v_lshrrev_b64 v[10:11], v10, v[54:55]
; %bb.4705:                             ;   in Loop: Header=BB4_4196 Depth=2
	s_and_not1_saveexec_b32 s7, s10
; %bb.4706:                             ;   in Loop: Header=BB4_4196 Depth=2
	v_mov_b64_e32 v[10:11], v[54:55]
	v_bfe_u32 v14, v54, 23, 1
; %bb.4707:                             ;   in Loop: Header=BB4_4196 Depth=2
	s_or_b32 exec_lo, exec_lo, s7
	s_delay_alu instid0(VALU_DEP_2) | instskip(NEXT) | instid1(VALU_DEP_2)
	v_lshrrev_b64 v[10:11], 21, v[10:11]
	v_cmp_gt_i32_e64 s7, 32, v14
	v_min_i32_e32 v15, 31, v14
	v_cmp_eq_u32_e64 s10, 0, v14
	s_delay_alu instid0(VALU_DEP_3) | instskip(NEXT) | instid1(VALU_DEP_3)
	v_cndmask_b32_e64 v11, 0, v11, s7
	v_dual_lshlrev_b32 v15, 2, v15 :: v_dual_cndmask_b32 v10, 3, v10, s7
	s_delay_alu instid0(VALU_DEP_1) | instskip(NEXT) | instid1(VALU_DEP_2)
	v_and_b32_e32 v15, 0xfc, v15
	v_cmp_eq_u64_e64 s7, 0, v[10:11]
	s_delay_alu instid0(VALU_DEP_2)
	v_and_or_b32 v10, v10, 3, v15
	s_and_b32 s7, s10, s7
	s_delay_alu instid0(VALU_DEP_1) | instid1(SALU_CYCLE_1)
	v_cndmask_b32_e64 v10, v10, 0, s7
	s_delay_alu instid0(VALU_DEP_1)
	v_or_b32_e32 v14, v10, v117
.LBB4_4708:                             ;   in Loop: Header=BB4_4196 Depth=2
	s_or_b32 exec_lo, exec_lo, s28
                                        ; implicit-def: $vgpr117
.LBB4_4709:                             ;   in Loop: Header=BB4_4196 Depth=2
	s_and_not1_saveexec_b32 s7, s27
; %bb.4710:                             ;   in Loop: Header=BB4_4196 Depth=2
	v_or_b32_e32 v14, 0x7b, v117
; %bb.4711:                             ;   in Loop: Header=BB4_4196 Depth=2
	s_or_b32 exec_lo, exec_lo, s7
                                        ; implicit-def: $vgpr10
                                        ; implicit-def: $vgpr11
.LBB4_4712:                             ;   in Loop: Header=BB4_4196 Depth=2
	s_and_not1_saveexec_b32 s10, s26
	s_cbranch_execz .LBB4_4718
; %bb.4713:                             ;   in Loop: Header=BB4_4196 Depth=2
	v_cmp_ne_u64_e64 s7, 0, v[54:55]
                                        ; implicit-def: $vgpr14
	s_and_saveexec_b32 s26, s7
	s_delay_alu instid0(SALU_CYCLE_1)
	s_xor_b32 s7, exec_lo, s26
; %bb.4714:                             ;   in Loop: Header=BB4_4196 Depth=2
	v_or_b32_e32 v14, 0x7f, v11
                                        ; implicit-def: $vgpr10
; %bb.4715:                             ;   in Loop: Header=BB4_4196 Depth=2
	s_and_not1_saveexec_b32 s26, s7
; %bb.4716:                             ;   in Loop: Header=BB4_4196 Depth=2
	v_cmp_lt_i32_e64 s7, -1, v10
	s_delay_alu instid0(VALU_DEP_1)
	v_cndmask_b32_e64 v14, 0xfc, v110, s7
; %bb.4717:                             ;   in Loop: Header=BB4_4196 Depth=2
	s_or_b32 exec_lo, exec_lo, s26
.LBB4_4718:                             ;   in Loop: Header=BB4_4196 Depth=2
	s_delay_alu instid0(SALU_CYCLE_1)
	s_or_b32 exec_lo, exec_lo, s10
	v_mov_b32_e32 v11, 0
	s_mov_b32 s10, exec_lo
	v_cmpx_lt_u64_e64 s[12:13], v[16:17]
	s_cbranch_execz .LBB4_4728
; %bb.4719:                             ;   in Loop: Header=BB4_4196 Depth=2
	v_lshrrev_b32_e32 v10, 24, v17
	v_bfrev_b32_e32 v11, 1
	s_mov_b32 s26, exec_lo
	s_delay_alu instid0(VALU_DEP_2)
	v_cmpx_ne_u32_e32 0x80, v10
	s_cbranch_execz .LBB4_4727
; %bb.4720:                             ;   in Loop: Header=BB4_4196 Depth=2
	v_and_b32_e32 v11, 0x7c000000, v17
	v_bfe_u32 v15, v17, 24, 2
	s_delay_alu instid0(VALU_DEP_2) | instskip(SKIP_1) | instid1(SALU_CYCLE_1)
	v_cmp_ne_u32_e64 s7, 0x7c000000, v11
                                        ; implicit-def: $vgpr11
	s_and_saveexec_b32 s27, s7
	s_xor_b32 s27, exec_lo, s27
	s_cbranch_execz .LBB4_4724
; %bb.4721:                             ;   in Loop: Header=BB4_4196 Depth=2
	v_bfe_u32 v11, v17, 26, 5
	s_mov_b32 s28, exec_lo
	s_delay_alu instid0(VALU_DEP_1)
	v_cmpx_eq_u32_e32 0, v11
; %bb.4722:                             ;   in Loop: Header=BB4_4196 Depth=2
	v_clz_i32_u32_e32 v11, v15
	s_delay_alu instid0(VALU_DEP_1) | instskip(NEXT) | instid1(VALU_DEP_1)
	v_min_u32_e32 v15, 32, v11
	v_subrev_nc_u32_e32 v11, 29, v15
	s_delay_alu instid0(VALU_DEP_1) | instskip(NEXT) | instid1(VALU_DEP_1)
	v_lshlrev_b64_e32 v[10:11], v11, v[10:11]
	v_dual_sub_nc_u32 v11, 30, v15 :: v_dual_bitop2_b32 v15, 3, v10 bitop3:0x40
; %bb.4723:                             ;   in Loop: Header=BB4_4196 Depth=2
	s_or_b32 exec_lo, exec_lo, s28
	v_and_b32_e32 v10, 0x80000000, v17
                                        ; implicit-def: $vgpr16_vgpr17
	s_delay_alu instid0(VALU_DEP_1) | instskip(NEXT) | instid1(VALU_DEP_1)
	v_lshl_add_u32 v10, v11, 23, v10
	v_lshl_or_b32 v10, v15, 21, v10
                                        ; implicit-def: $vgpr15
	s_delay_alu instid0(VALU_DEP_1)
	v_add_nc_u32_e32 v11, 0x38000000, v10
.LBB4_4724:                             ;   in Loop: Header=BB4_4196 Depth=2
	s_and_not1_saveexec_b32 s27, s27
; %bb.4725:                             ;   in Loop: Header=BB4_4196 Depth=2
	v_cmp_lt_i64_e64 s7, -1, v[16:17]
	s_delay_alu instid0(VALU_DEP_1) | instskip(SKIP_1) | instid1(VALU_DEP_1)
	v_cndmask_b32_e64 v10, 0xff800000, v109, s7
	v_cmp_eq_u32_e64 s7, 0, v15
	v_cndmask_b32_e64 v11, 0x7f800001, v10, s7
; %bb.4726:                             ;   in Loop: Header=BB4_4196 Depth=2
	s_or_b32 exec_lo, exec_lo, s27
.LBB4_4727:                             ;   in Loop: Header=BB4_4196 Depth=2
	s_delay_alu instid0(SALU_CYCLE_1)
	s_or_b32 exec_lo, exec_lo, s26
.LBB4_4728:                             ;   in Loop: Header=BB4_4196 Depth=2
	s_delay_alu instid0(SALU_CYCLE_1) | instskip(SKIP_2) | instid1(VALU_DEP_2)
	s_or_b32 exec_lo, exec_lo, s10
	v_bfe_u32 v15, v13, 24, 2
	v_bfe_u32 v117, v13, 26, 5
	v_clz_i32_u32_e32 v10, v15
	s_delay_alu instid0(VALU_DEP_2) | instskip(NEXT) | instid1(VALU_DEP_2)
	v_cmp_eq_u32_e64 s7, 0, v117
	v_min_u32_e32 v54, 32, v10
	v_lshrrev_b32_e32 v10, 24, v13
	s_delay_alu instid0(VALU_DEP_2) | instskip(NEXT) | instid1(VALU_DEP_1)
	v_subrev_nc_u32_e32 v16, 29, v54
	v_lshlrev_b64_e32 v[16:17], v16, v[10:11]
	v_sub_nc_u32_e32 v17, 30, v54
	v_and_b32_e32 v54, 0x80000000, v13
	s_delay_alu instid0(VALU_DEP_2) | instskip(NEXT) | instid1(VALU_DEP_1)
	v_dual_cndmask_b32 v17, v117, v17, s7 :: v_dual_bitop2_b32 v16, 3, v16 bitop3:0x40
	v_lshl_add_u32 v17, v17, 23, v54
	s_delay_alu instid0(VALU_DEP_2) | instskip(SKIP_1) | instid1(VALU_DEP_2)
	v_cndmask_b32_e64 v16, v15, v16, s7
	v_cmp_lt_i64_e64 s7, -1, v[12:13]
	v_lshl_or_b32 v16, v16, 21, v17
	v_and_b32_e32 v17, 0x7c000000, v13
	s_delay_alu instid0(VALU_DEP_3) | instskip(SKIP_1) | instid1(VALU_DEP_4)
	v_cndmask_b32_e64 v54, 0xff800000, v109, s7
	v_cmp_eq_u32_e64 s7, 0, v15
	v_add_nc_u32_e32 v16, 0x38000000, v16
	s_delay_alu instid0(VALU_DEP_2) | instskip(SKIP_1) | instid1(VALU_DEP_1)
	v_cndmask_b32_e64 v15, 0x7f800001, v54, s7
	v_cmp_eq_u32_e64 s7, 0x7c000000, v17
	v_cndmask_b32_e64 v15, v16, v15, s7
	v_cmp_ne_u32_e64 s7, 0x80, v10
	s_delay_alu instid0(VALU_DEP_1) | instskip(SKIP_1) | instid1(VALU_DEP_1)
	v_cndmask_b32_e64 v10, 0x80000000, v15, s7
	v_cmp_lt_u64_e64 s7, s[12:13], v[12:13]
	v_dual_mov_b32 v13, v55 :: v_dual_cndmask_b32 v10, 0, v10, s7
	s_delay_alu instid0(VALU_DEP_1) | instskip(NEXT) | instid1(VALU_DEP_1)
	v_mul_f32_e32 v11, v10, v11
                                        ; implicit-def: $vgpr10
	v_and_b32_e32 v12, 0x7f800000, v11
	v_and_b32_e32 v54, 0x7fffff, v11
	s_delay_alu instid0(VALU_DEP_2) | instskip(SKIP_2) | instid1(SALU_CYCLE_1)
	v_cmp_ne_u64_e64 s7, 0x7f800000, v[12:13]
	v_lshrrev_b32_e32 v12, 24, v11
	s_and_saveexec_b32 s10, s7
	s_xor_b32 s26, exec_lo, s10
	s_cbranch_execz .LBB4_4742
; %bb.4729:                             ;   in Loop: Header=BB4_4196 Depth=2
	v_and_b32_e32 v16, 0x7fffffff, v11
	v_mov_b32_e32 v17, v55
	v_and_b32_e32 v15, 0x80, v12
                                        ; implicit-def: $vgpr10
	s_mov_b32 s10, exec_lo
	s_delay_alu instid0(VALU_DEP_2)
	v_cmpx_gt_u64_e32 0x47600001, v[16:17]
	s_xor_b32 s27, exec_lo, s10
	s_cbranch_execz .LBB4_4739
; %bb.4730:                             ;   in Loop: Header=BB4_4196 Depth=2
	v_mov_b32_e32 v10, 0
	s_mov_b32 s28, exec_lo
	v_cmpx_ne_u32_e32 0, v11
	s_cbranch_execz .LBB4_4738
; %bb.4731:                             ;   in Loop: Header=BB4_4196 Depth=2
	v_bfe_u32 v16, v11, 23, 8
	v_or_b32_e32 v12, 0x800000, v54
	s_delay_alu instid0(VALU_DEP_2) | instskip(SKIP_1) | instid1(VALU_DEP_1)
	v_sub_nc_u32_e32 v10, 0x71, v16
	v_cmp_gt_u32_e64 s7, 0x72, v16
	v_cndmask_b32_e64 v10, 0, v10, s7
	v_cmp_eq_u32_e64 s7, 0, v16
	s_delay_alu instid0(VALU_DEP_1) | instskip(NEXT) | instid1(VALU_DEP_1)
	v_cndmask_b32_e64 v17, v10, 0x70, s7
	v_dual_cndmask_b32 v54, v12, v54, s7 :: v_dual_add_nc_u32 v10, 21, v17
	v_add_nc_u32_e32 v13, 20, v17
	s_delay_alu instid0(VALU_DEP_2) | instskip(NEXT) | instid1(VALU_DEP_2)
	v_lshlrev_b64_e64 v[10:11], v10, -1
	v_lshlrev_b64_e64 v[12:13], v13, 1
	s_delay_alu instid0(VALU_DEP_2) | instskip(NEXT) | instid1(VALU_DEP_3)
	v_bfi_b32 v119, v11, 0, 0
	v_bfi_b32 v118, v10, 0, v54
	v_lshrrev_b64 v[10:11], v17, v[54:55]
	s_delay_alu instid0(VALU_DEP_2) | instskip(NEXT) | instid1(VALU_DEP_2)
	v_cmp_eq_u64_e64 s10, v[118:119], v[12:13]
	v_mov_b64_e32 v[12:13], v[10:11]
	s_and_saveexec_b32 s29, s10
; %bb.4732:                             ;   in Loop: Header=BB4_4196 Depth=2
	v_bfe_u32 v54, v10, 21, 1
	s_delay_alu instid0(VALU_DEP_1) | instskip(NEXT) | instid1(VALU_DEP_1)
	v_add_nc_u64_e32 v[12:13], v[10:11], v[54:55]
	v_add_nc_u64_e32 v[12:13], -1, v[12:13]
; %bb.4733:                             ;   in Loop: Header=BB4_4196 Depth=2
	s_or_b32 exec_lo, exec_lo, s29
	v_add_nc_u32_e32 v11, 0xffffff81, v16
	v_lshrrev_b32_e32 v13, 23, v10
	s_mov_b32 s10, exec_lo
	s_delay_alu instid0(VALU_DEP_2) | instskip(NEXT) | instid1(VALU_DEP_1)
	v_cndmask_b32_e64 v11, v11, 0xffffff82, s7
	v_add3_u32 v13, v17, v11, v13
	v_and_b32_e32 v11, 0x1fffff, v12
                                        ; implicit-def: $vgpr12
	s_delay_alu instid0(VALU_DEP_1) | instskip(NEXT) | instid1(VALU_DEP_1)
	v_dual_add_nc_u32 v16, 14, v13 :: v_dual_add_nc_u32 v54, v11, v10
                                        ; implicit-def: $vgpr10_vgpr11
	v_cmpx_ne_u32_e32 0, v16
	s_xor_b32 s10, exec_lo, s10
; %bb.4734:                             ;   in Loop: Header=BB4_4196 Depth=2
	s_delay_alu instid0(VALU_DEP_2) | instskip(SKIP_1) | instid1(VALU_DEP_1)
	v_cmp_lt_u64_e64 s7, 0xffffff, v[54:55]
	v_add_nc_u32_e32 v10, 15, v13
	v_cndmask_b32_e64 v12, v16, v10, s7
	v_cndmask_b32_e64 v10, 0, 1, s7
	s_delay_alu instid0(VALU_DEP_1)
	v_lshrrev_b64 v[10:11], v10, v[54:55]
; %bb.4735:                             ;   in Loop: Header=BB4_4196 Depth=2
	s_and_not1_saveexec_b32 s7, s10
; %bb.4736:                             ;   in Loop: Header=BB4_4196 Depth=2
	v_mov_b64_e32 v[10:11], v[54:55]
	v_bfe_u32 v12, v54, 23, 1
; %bb.4737:                             ;   in Loop: Header=BB4_4196 Depth=2
	s_or_b32 exec_lo, exec_lo, s7
	s_delay_alu instid0(VALU_DEP_2) | instskip(NEXT) | instid1(VALU_DEP_2)
	v_lshrrev_b64 v[10:11], 21, v[10:11]
	v_cmp_gt_i32_e64 s7, 32, v12
	v_min_i32_e32 v13, 31, v12
	v_cmp_eq_u32_e64 s10, 0, v12
	s_delay_alu instid0(VALU_DEP_2) | instskip(SKIP_1) | instid1(VALU_DEP_2)
	v_dual_cndmask_b32 v11, 0, v11, s7 :: v_dual_lshlrev_b32 v13, 2, v13
	v_cndmask_b32_e64 v10, 3, v10, s7
	v_and_b32_e32 v13, 0xfc, v13
	s_delay_alu instid0(VALU_DEP_2) | instskip(NEXT) | instid1(VALU_DEP_2)
	v_cmp_eq_u64_e64 s7, 0, v[10:11]
	v_and_or_b32 v10, v10, 3, v13
	s_and_b32 s7, s10, s7
	s_delay_alu instid0(VALU_DEP_1) | instid1(SALU_CYCLE_1)
	v_cndmask_b32_e64 v10, v10, 0, s7
	s_delay_alu instid0(VALU_DEP_1)
	v_or_b32_e32 v10, v10, v15
.LBB4_4738:                             ;   in Loop: Header=BB4_4196 Depth=2
	s_or_b32 exec_lo, exec_lo, s28
                                        ; implicit-def: $vgpr15
.LBB4_4739:                             ;   in Loop: Header=BB4_4196 Depth=2
	s_and_not1_saveexec_b32 s7, s27
; %bb.4740:                             ;   in Loop: Header=BB4_4196 Depth=2
	v_or_b32_e32 v10, 0x7b, v15
; %bb.4741:                             ;   in Loop: Header=BB4_4196 Depth=2
	s_or_b32 exec_lo, exec_lo, s7
                                        ; implicit-def: $vgpr11
                                        ; implicit-def: $vgpr12
.LBB4_4742:                             ;   in Loop: Header=BB4_4196 Depth=2
	s_and_not1_saveexec_b32 s10, s26
	s_cbranch_execz .LBB4_4195
; %bb.4743:                             ;   in Loop: Header=BB4_4196 Depth=2
	v_cmp_ne_u64_e64 s7, 0, v[54:55]
                                        ; implicit-def: $vgpr10
	s_and_saveexec_b32 s26, s7
	s_delay_alu instid0(SALU_CYCLE_1)
	s_xor_b32 s7, exec_lo, s26
; %bb.4744:                             ;   in Loop: Header=BB4_4196 Depth=2
	v_or_b32_e32 v10, 0x7f, v12
                                        ; implicit-def: $vgpr11
; %bb.4745:                             ;   in Loop: Header=BB4_4196 Depth=2
	s_and_not1_saveexec_b32 s26, s7
	s_cbranch_execz .LBB4_4194
; %bb.4746:                             ;   in Loop: Header=BB4_4196 Depth=2
	v_cmp_lt_i32_e64 s7, -1, v11
	s_delay_alu instid0(VALU_DEP_1)
	v_cndmask_b32_e64 v10, 0xfc, v110, s7
	s_branch .LBB4_4194
.LBB4_4747:                             ;   in Loop: Header=BB4_4196 Depth=2
	s_or_saveexec_b32 s10, s10
	v_bfrev_b32_e32 v25, 1
	s_xor_b32 exec_lo, exec_lo, s10
	s_cbranch_execz .LBB4_4210
.LBB4_4748:                             ;   in Loop: Header=BB4_4196 Depth=2
	v_cmp_ne_u16_e64 s7, 0, v54
	v_mov_b32_e32 v25, 0
	s_and_not1_b32 s26, s26, exec_lo
	s_and_b32 s7, s7, exec_lo
	s_delay_alu instid0(SALU_CYCLE_1)
	s_or_b32 s26, s26, s7
	s_or_b32 exec_lo, exec_lo, s10
	s_and_saveexec_b32 s10, s26
	s_cbranch_execnz .LBB4_4211
	s_branch .LBB4_4212
.LBB4_4749:                             ;   in Loop: Header=BB4_4196 Depth=2
	s_or_saveexec_b32 s10, s10
	v_bfrev_b32_e32 v25, 1
	s_xor_b32 exec_lo, exec_lo, s10
	s_cbranch_execz .LBB4_4246
.LBB4_4750:                             ;   in Loop: Header=BB4_4196 Depth=2
	v_cmp_ne_u16_e64 s7, 0, v54
	v_mov_b32_e32 v25, 0
	s_and_not1_b32 s26, s26, exec_lo
	s_and_b32 s7, s7, exec_lo
	s_delay_alu instid0(SALU_CYCLE_1)
	s_or_b32 s26, s26, s7
	s_or_b32 exec_lo, exec_lo, s10
	s_and_saveexec_b32 s10, s26
	s_cbranch_execnz .LBB4_4247
	s_branch .LBB4_4248
.LBB4_4751:                             ;   in Loop: Header=BB4_4196 Depth=2
	s_or_saveexec_b32 s10, s10
	v_bfrev_b32_e32 v54, 1
	s_xor_b32 exec_lo, exec_lo, s10
	s_cbranch_execz .LBB4_4282
.LBB4_4752:                             ;   in Loop: Header=BB4_4196 Depth=2
	v_cmp_ne_u16_e64 s7, 0, v96
	v_mov_b32_e32 v54, 0
	s_and_not1_b32 s26, s26, exec_lo
	s_and_b32 s7, s7, exec_lo
	s_delay_alu instid0(SALU_CYCLE_1)
	s_or_b32 s26, s26, s7
	s_or_b32 exec_lo, exec_lo, s10
	s_and_saveexec_b32 s10, s26
	s_cbranch_execnz .LBB4_4283
	s_branch .LBB4_4284
.LBB4_4753:                             ;   in Loop: Header=BB4_4196 Depth=2
	s_or_saveexec_b32 s10, s10
	v_bfrev_b32_e32 v97, 1
	s_xor_b32 exec_lo, exec_lo, s10
	s_cbranch_execz .LBB4_4348
.LBB4_4754:                             ;   in Loop: Header=BB4_4196 Depth=2
	v_cmp_ne_u16_e64 s7, 0, v25
	v_mov_b32_e32 v97, 0
	s_and_not1_b32 s26, s26, exec_lo
	s_and_b32 s7, s7, exec_lo
	s_delay_alu instid0(SALU_CYCLE_1)
	s_or_b32 s26, s26, s7
	s_or_b32 exec_lo, exec_lo, s10
	v_mov_b32_e32 v25, v55
	s_and_saveexec_b32 s10, s26
	s_cbranch_execnz .LBB4_4349
	s_branch .LBB4_4350
.LBB4_4755:                             ;   in Loop: Header=BB4_4196 Depth=2
	s_or_saveexec_b32 s10, s10
	v_bfrev_b32_e32 v96, 1
	s_xor_b32 exec_lo, exec_lo, s10
	s_cbranch_execz .LBB4_4384
.LBB4_4756:                             ;   in Loop: Header=BB4_4196 Depth=2
	v_cmp_ne_u16_e64 s7, 0, v54
	v_mov_b32_e32 v96, 0
	s_and_not1_b32 s26, s26, exec_lo
	s_and_b32 s7, s7, exec_lo
	s_delay_alu instid0(SALU_CYCLE_1)
	s_or_b32 s26, s26, s7
	s_or_b32 exec_lo, exec_lo, s10
	s_and_saveexec_b32 s10, s26
	s_cbranch_execnz .LBB4_4385
	s_branch .LBB4_4386
.LBB4_4757:                             ;   in Loop: Header=BB4_4196 Depth=2
	s_or_saveexec_b32 s10, s10
	v_bfrev_b32_e32 v54, 1
	s_xor_b32 exec_lo, exec_lo, s10
	s_cbranch_execz .LBB4_4420
.LBB4_4758:                             ;   in Loop: Header=BB4_4196 Depth=2
	v_cmp_ne_u16_e64 s7, 0, v96
	v_mov_b32_e32 v54, 0
	s_and_not1_b32 s26, s26, exec_lo
	s_and_b32 s7, s7, exec_lo
	s_delay_alu instid0(SALU_CYCLE_1)
	s_or_b32 s26, s26, s7
	s_or_b32 exec_lo, exec_lo, s10
	s_and_saveexec_b32 s10, s26
	s_cbranch_execnz .LBB4_4421
	s_branch .LBB4_4422
.LBB4_4759:                             ;   in Loop: Header=BB4_4196 Depth=2
	s_or_saveexec_b32 s10, s10
	v_bfrev_b32_e32 v11, 1
	s_xor_b32 exec_lo, exec_lo, s10
	s_cbranch_execz .LBB4_4486
.LBB4_4760:                             ;   in Loop: Header=BB4_4196 Depth=2
	v_cmp_ne_u16_e64 s7, 0, v14
	v_mov_b32_e32 v11, 0
	s_and_not1_b32 s26, s26, exec_lo
	s_and_b32 s7, s7, exec_lo
	s_delay_alu instid0(SALU_CYCLE_1)
	s_or_b32 s26, s26, s7
	s_or_b32 exec_lo, exec_lo, s10
	s_and_saveexec_b32 s10, s26
	s_cbranch_execnz .LBB4_4487
	s_branch .LBB4_4488
.LBB4_4761:                             ;   in Loop: Header=BB4_4196 Depth=2
	s_or_saveexec_b32 s10, s10
	v_bfrev_b32_e32 v11, 1
	s_xor_b32 exec_lo, exec_lo, s10
	s_cbranch_execz .LBB4_4522
.LBB4_4762:                             ;   in Loop: Header=BB4_4196 Depth=2
	v_cmp_ne_u16_e64 s7, 0, v54
	v_mov_b32_e32 v11, 0
	s_and_not1_b32 s26, s26, exec_lo
	s_and_b32 s7, s7, exec_lo
	s_delay_alu instid0(SALU_CYCLE_1)
	s_or_b32 s26, s26, s7
	s_or_b32 exec_lo, exec_lo, s10
	s_and_saveexec_b32 s10, s26
	s_cbranch_execnz .LBB4_4523
	s_branch .LBB4_4524
.LBB4_4763:                             ;   in Loop: Header=BB4_4196 Depth=2
	s_or_saveexec_b32 s10, s10
	v_bfrev_b32_e32 v14, 1
	s_xor_b32 exec_lo, exec_lo, s10
	s_cbranch_execz .LBB4_4558
.LBB4_4764:                             ;   in Loop: Header=BB4_4196 Depth=2
	v_cmp_ne_u16_e64 s7, 0, v15
	v_mov_b32_e32 v14, 0
	s_and_not1_b32 s26, s26, exec_lo
	s_and_b32 s7, s7, exec_lo
	s_delay_alu instid0(SALU_CYCLE_1)
	s_or_b32 s26, s26, s7
	s_or_b32 exec_lo, exec_lo, s10
	s_and_saveexec_b32 s10, s26
	s_cbranch_execnz .LBB4_4559
	s_branch .LBB4_4560
.LBB4_4765:                             ;   in Loop: Header=BB4_4196 Depth=2
	s_or_saveexec_b32 s10, s10
	v_bfrev_b32_e32 v15, 1
	s_xor_b32 exec_lo, exec_lo, s10
	s_cbranch_execz .LBB4_4624
.LBB4_4766:                             ;   in Loop: Header=BB4_4196 Depth=2
	v_cmp_ne_u16_e64 s7, 0, v11
	v_mov_b32_e32 v15, 0
	s_and_not1_b32 s26, s26, exec_lo
	s_and_b32 s7, s7, exec_lo
	s_delay_alu instid0(SALU_CYCLE_1)
	s_or_b32 s26, s26, s7
	s_or_b32 exec_lo, exec_lo, s10
	v_mov_b32_e32 v11, v55
	s_and_saveexec_b32 s10, s26
	s_cbranch_execnz .LBB4_4625
	s_branch .LBB4_4626
.LBB4_4767:                             ;   in Loop: Header=BB4_4196 Depth=2
	s_or_saveexec_b32 s10, s10
	v_bfrev_b32_e32 v14, 1
	s_xor_b32 exec_lo, exec_lo, s10
	s_cbranch_execz .LBB4_4660
.LBB4_4768:                             ;   in Loop: Header=BB4_4196 Depth=2
	v_cmp_ne_u16_e64 s7, 0, v54
	v_mov_b32_e32 v14, 0
	s_and_not1_b32 s26, s26, exec_lo
	s_and_b32 s7, s7, exec_lo
	s_delay_alu instid0(SALU_CYCLE_1)
	s_or_b32 s26, s26, s7
	s_or_b32 exec_lo, exec_lo, s10
	s_and_saveexec_b32 s10, s26
	s_cbranch_execnz .LBB4_4661
	s_branch .LBB4_4662
.LBB4_4769:                             ;   in Loop: Header=BB4_4196 Depth=2
	s_or_saveexec_b32 s10, s10
	v_bfrev_b32_e32 v14, 1
	s_xor_b32 exec_lo, exec_lo, s10
	s_cbranch_execz .LBB4_4696
.LBB4_4770:                             ;   in Loop: Header=BB4_4196 Depth=2
	v_cmp_ne_u16_e64 s7, 0, v15
	v_mov_b32_e32 v14, 0
	s_and_not1_b32 s26, s26, exec_lo
	s_and_b32 s7, s7, exec_lo
	s_delay_alu instid0(SALU_CYCLE_1)
	s_or_b32 s26, s26, s7
	s_or_b32 exec_lo, exec_lo, s10
	s_and_saveexec_b32 s10, s26
	s_cbranch_execnz .LBB4_4697
	s_branch .LBB4_4698
.LBB4_4771:                             ;   in Loop: Header=BB4_2835 Depth=1
	s_or_b32 exec_lo, exec_lo, s25
.LBB4_4772:                             ;   in Loop: Header=BB4_2835 Depth=1
	s_delay_alu instid0(SALU_CYCLE_1) | instskip(SKIP_3) | instid1(VALU_DEP_1)
	s_or_b32 exec_lo, exec_lo, s24
	v_and_b32_e32 v10, 15, v111
	s_mov_b32 s10, 0
	s_mov_b32 s24, exec_lo
                                        ; implicit-def: $vgpr123
	v_dual_cndmask_b32 v122, v30, v10, vcc_lo :: v_dual_mov_b32 v30, 0
                                        ; implicit-def: $vgpr10
	s_delay_alu instid0(VALU_DEP_1)
	v_cmpx_ne_u32_e32 0, v122
	s_cbranch_execz .LBB4_4774
; %bb.4773:                             ;   in Loop: Header=BB4_2835 Depth=1
	v_cmp_lt_i32_e64 s7, 0, v3
	s_mov_b32 s10, exec_lo
	v_cndmask_b32_e64 v10, 0, v52, s7
	s_delay_alu instid0(VALU_DEP_1) | instskip(NEXT) | instid1(VALU_DEP_1)
	v_sub_nc_u32_e32 v3, v10, v3
	v_lshl_add_u32 v123, v3, 5, v0
	v_and_b32_e32 v3, 0x1f0, v111
	s_delay_alu instid0(VALU_DEP_2) | instskip(NEXT) | instid1(VALU_DEP_1)
	v_ashrrev_i32_e32 v0, 31, v123
	v_dual_cndmask_b32 v3, 0, v3 :: v_dual_lshrrev_b32 v0, 27, v0
	s_delay_alu instid0(VALU_DEP_1) | instskip(NEXT) | instid1(VALU_DEP_2)
	v_add_nc_u32_e32 v0, v123, v0
	v_and_or_b32 v30, 0x3ffffe00, v111, v3
	s_delay_alu instid0(VALU_DEP_2)
	v_ashrrev_i32_e32 v10, 5, v0
.LBB4_4774:                             ;   in Loop: Header=BB4_2835 Depth=1
	s_or_b32 exec_lo, exec_lo, s24
	s_delay_alu instid0(SALU_CYCLE_1)
	s_and_b32 s7, s10, exec_lo
.LBB4_4775:                             ;   in Loop: Header=BB4_2835 Depth=1
	s_or_b32 exec_lo, exec_lo, s23
	s_and_saveexec_b32 s10, s7
	s_cbranch_execz .LBB4_5532
.LBB4_4776:                             ;   in Loop: Header=BB4_2835 Depth=1
	v_dual_lshrrev_b32 v0, 9, v122 :: v_dual_ashrrev_i32 v3, 31, v123
	s_mov_b32 s23, exec_lo
	s_delay_alu instid0(VALU_DEP_1) | instskip(NEXT) | instid1(VALU_DEP_1)
	v_dual_sub_nc_u32 v0, v0, v10 :: v_dual_lshrrev_b32 v3, 27, v3
	v_cmpx_lt_i32_e32 0, v0
	s_cbranch_execz .LBB4_5484
; %bb.4777:                             ;   in Loop: Header=BB4_2835 Depth=1
	s_delay_alu instid0(VALU_DEP_2)
	v_dual_add_nc_u32 v11, v123, v3 :: v_dual_lshlrev_b32 v10, 9, v10
	s_trap 2
	ds_load_b64 v[12:13], v0
	v_add_nc_u64_e32 v[16:17], 0x1e0, v[86:87]
	v_and_b32_e32 v11, 0xffffffe0, v11
	s_mov_b32 s24, 0
	s_delay_alu instid0(VALU_DEP_1) | instskip(NEXT) | instid1(VALU_DEP_1)
	v_sub_nc_u32_e32 v11, v123, v11
	v_add3_u32 v14, v30, v11, v10
	s_delay_alu instid0(VALU_DEP_1) | instskip(NEXT) | instid1(VALU_DEP_1)
	v_ashrrev_i32_e32 v15, 31, v14
	v_add_nc_u64_e32 v[10:11], v[14:15], v[84:85]
	s_wait_dscnt 0x0
	v_add_nc_u64_e32 v[12:13], v[12:13], v[14:15]
	v_add_nc_u64_e32 v[14:15], v[16:17], v[14:15]
	s_branch .LBB4_4780
.LBB4_4778:                             ;   in Loop: Header=BB4_4780 Depth=2
	s_or_b32 exec_lo, exec_lo, s25
.LBB4_4779:                             ;   in Loop: Header=BB4_4780 Depth=2
	s_delay_alu instid0(SALU_CYCLE_1)
	s_or_b32 exec_lo, exec_lo, s7
	v_sub_nc_u32_e32 v0, v0, v52
	s_clause 0xf
	flat_store_b8 v[14:15], v95 offset:-480 th:TH_STORE_NT
	flat_store_b8 v[14:15], v91 offset:-448 th:TH_STORE_NT
	;; [unrolled: 1-line block ×15, first 2 shown]
	flat_store_b8 v[14:15], v17 th:TH_STORE_NT
	v_add_nc_u64_e32 v[10:11], v[10:11], v[70:71]
	v_add_nc_u64_e32 v[12:13], v[12:13], v[70:71]
	v_cmp_gt_i32_e32 vcc_lo, 1, v0
	s_wait_xcnt 0x0
	v_add_nc_u64_e32 v[14:15], v[14:15], v[70:71]
	s_or_b32 s24, vcc_lo, s24
	s_delay_alu instid0(SALU_CYCLE_1)
	s_and_not1_b32 exec_lo, exec_lo, s24
	s_cbranch_execz .LBB4_5483
.LBB4_4780:                             ;   Parent Loop BB4_2835 Depth=1
                                        ; =>  This Inner Loop Header: Depth=2
	s_clause 0xf
	flat_load_i8 v54, v[10:11] th:TH_LOAD_NT
	flat_load_i8 v92, v[10:11] offset:32 th:TH_LOAD_NT
	flat_load_i8 v88, v[10:11] offset:64 th:TH_LOAD_NT
	;; [unrolled: 1-line block ×15, first 2 shown]
	s_clause 0xf
	flat_load_i8 v94, v[12:13] th:TH_LOAD_NT
	flat_load_i8 v90, v[12:13] offset:32 th:TH_LOAD_NT
	flat_load_i8 v78, v[12:13] offset:64 th:TH_LOAD_NT
	;; [unrolled: 1-line block ×15, first 2 shown]
	v_dual_mov_b32 v17, 0 :: v_dual_mov_b32 v19, 0
	s_mov_b32 s7, exec_lo
	s_wait_loadcnt_dscnt 0x1f1f
	s_wait_xcnt 0x0
	v_cmpx_ne_u16_e32 0, v54
	s_cbranch_execz .LBB4_4790
; %bb.4781:                             ;   in Loop: Header=BB4_4780 Depth=2
	v_bfrev_b32_e32 v19, 1
	s_mov_b32 s25, exec_lo
	v_cmpx_ne_u16_e32 0xff80, v54
	s_cbranch_execz .LBB4_4789
; %bb.4782:                             ;   in Loop: Header=BB4_4780 Depth=2
	v_and_b32_e32 v19, 0x7c, v54
	v_and_b32_e32 v21, 3, v54
	s_delay_alu instid0(VALU_DEP_2) | instskip(SKIP_1) | instid1(SALU_CYCLE_1)
	v_cmp_ne_u32_e32 vcc_lo, 0x7c, v19
                                        ; implicit-def: $vgpr19
	s_and_saveexec_b32 s26, vcc_lo
	s_xor_b32 s26, exec_lo, s26
	s_cbranch_execz .LBB4_4786
; %bb.4783:                             ;   in Loop: Header=BB4_4780 Depth=2
	v_and_b32_e32 v19, 0xff, v54
	s_mov_b32 s27, exec_lo
	s_delay_alu instid0(VALU_DEP_1) | instskip(NEXT) | instid1(VALU_DEP_1)
	v_bfe_u32 v19, v19, 2, 5
	v_cmpx_eq_u32_e32 0, v19
; %bb.4784:                             ;   in Loop: Header=BB4_4780 Depth=2
	v_clz_i32_u32_e32 v19, v21
	s_delay_alu instid0(VALU_DEP_1) | instskip(NEXT) | instid1(VALU_DEP_1)
	v_min_u32_e32 v19, 32, v19
	v_subrev_nc_u32_e32 v21, 29, v19
	s_delay_alu instid0(VALU_DEP_1) | instskip(NEXT) | instid1(VALU_DEP_1)
	v_lshlrev_b64_e32 v[104:105], v21, v[54:55]
	v_dual_sub_nc_u32 v19, 30, v19 :: v_dual_bitop2_b32 v21, 3, v104 bitop3:0x40
; %bb.4785:                             ;   in Loop: Header=BB4_4780 Depth=2
	s_or_b32 exec_lo, exec_lo, s27
	v_bfe_i32 v23, v54, 0, 16
	s_delay_alu instid0(VALU_DEP_1) | instskip(NEXT) | instid1(VALU_DEP_1)
	v_and_b32_e32 v23, 0x80000000, v23
	v_lshl_add_u32 v19, v19, 23, v23
	s_delay_alu instid0(VALU_DEP_1) | instskip(NEXT) | instid1(VALU_DEP_1)
	v_lshl_or_b32 v19, v21, 21, v19
                                        ; implicit-def: $vgpr21
	v_add_nc_u32_e32 v19, 0x38000000, v19
.LBB4_4786:                             ;   in Loop: Header=BB4_4780 Depth=2
	s_and_not1_saveexec_b32 s26, s26
; %bb.4787:                             ;   in Loop: Header=BB4_4780 Depth=2
	v_cmp_lt_i16_e32 vcc_lo, -1, v54
	v_cndmask_b32_e32 v19, 0xff800000, v109, vcc_lo
	v_cmp_eq_u32_e32 vcc_lo, 0, v21
	s_delay_alu instid0(VALU_DEP_2)
	v_cndmask_b32_e32 v19, 0x7f800001, v19, vcc_lo
; %bb.4788:                             ;   in Loop: Header=BB4_4780 Depth=2
	s_or_b32 exec_lo, exec_lo, s26
.LBB4_4789:                             ;   in Loop: Header=BB4_4780 Depth=2
	s_delay_alu instid0(SALU_CYCLE_1)
	s_or_b32 exec_lo, exec_lo, s25
.LBB4_4790:                             ;   in Loop: Header=BB4_4780 Depth=2
	s_delay_alu instid0(SALU_CYCLE_1) | instskip(NEXT) | instid1(SALU_CYCLE_1)
	s_or_b32 exec_lo, exec_lo, s7
	s_mov_b32 s7, exec_lo
	s_wait_loadcnt_dscnt 0xf0f
	v_cmpx_ne_u16_e32 0, v94
	s_cbranch_execz .LBB4_4800
; %bb.4791:                             ;   in Loop: Header=BB4_4780 Depth=2
	v_bfrev_b32_e32 v17, 1
	s_mov_b32 s25, exec_lo
	v_cmpx_ne_u16_e32 0xff80, v94
	s_cbranch_execz .LBB4_4799
; %bb.4792:                             ;   in Loop: Header=BB4_4780 Depth=2
	v_and_b32_e32 v17, 0x7c, v94
	v_and_b32_e32 v21, 3, v94
	s_delay_alu instid0(VALU_DEP_2) | instskip(SKIP_1) | instid1(SALU_CYCLE_1)
	v_cmp_ne_u32_e32 vcc_lo, 0x7c, v17
                                        ; implicit-def: $vgpr17
	s_and_saveexec_b32 s26, vcc_lo
	s_xor_b32 s26, exec_lo, s26
	s_cbranch_execz .LBB4_4796
; %bb.4793:                             ;   in Loop: Header=BB4_4780 Depth=2
	v_and_b32_e32 v17, 0xff, v94
	s_mov_b32 s27, exec_lo
	s_delay_alu instid0(VALU_DEP_1) | instskip(NEXT) | instid1(VALU_DEP_1)
	v_bfe_u32 v17, v17, 2, 5
	v_cmpx_eq_u32_e32 0, v17
	s_cbranch_execz .LBB4_4795
; %bb.4794:                             ;   in Loop: Header=BB4_4780 Depth=2
	v_clz_i32_u32_e32 v17, v21
	s_delay_alu instid0(VALU_DEP_1) | instskip(SKIP_1) | instid1(VALU_DEP_2)
	v_min_u32_e32 v17, 32, v17
	v_mov_b32_e32 v95, v55
	v_subrev_nc_u32_e32 v21, 29, v17
	v_sub_nc_u32_e32 v17, 30, v17
	s_delay_alu instid0(VALU_DEP_2) | instskip(NEXT) | instid1(VALU_DEP_1)
	v_lshlrev_b64_e32 v[104:105], v21, v[94:95]
	v_and_b32_e32 v21, 3, v104
.LBB4_4795:                             ;   in Loop: Header=BB4_4780 Depth=2
	s_or_b32 exec_lo, exec_lo, s27
	v_bfe_i32 v23, v94, 0, 16
                                        ; implicit-def: $vgpr94
	s_delay_alu instid0(VALU_DEP_1) | instskip(NEXT) | instid1(VALU_DEP_1)
	v_and_b32_e32 v23, 0x80000000, v23
	v_lshl_add_u32 v17, v17, 23, v23
	s_delay_alu instid0(VALU_DEP_1) | instskip(NEXT) | instid1(VALU_DEP_1)
	v_lshl_or_b32 v17, v21, 21, v17
                                        ; implicit-def: $vgpr21
	v_add_nc_u32_e32 v17, 0x38000000, v17
.LBB4_4796:                             ;   in Loop: Header=BB4_4780 Depth=2
	s_and_not1_saveexec_b32 s26, s26
; %bb.4797:                             ;   in Loop: Header=BB4_4780 Depth=2
	v_cmp_lt_i16_e32 vcc_lo, -1, v94
	v_cndmask_b32_e32 v17, 0xff800000, v109, vcc_lo
	v_cmp_eq_u32_e32 vcc_lo, 0, v21
	s_delay_alu instid0(VALU_DEP_2)
	v_cndmask_b32_e32 v17, 0x7f800001, v17, vcc_lo
; %bb.4798:                             ;   in Loop: Header=BB4_4780 Depth=2
	s_or_b32 exec_lo, exec_lo, s26
.LBB4_4799:                             ;   in Loop: Header=BB4_4780 Depth=2
	s_delay_alu instid0(SALU_CYCLE_1)
	s_or_b32 exec_lo, exec_lo, s25
.LBB4_4800:                             ;   in Loop: Header=BB4_4780 Depth=2
	s_delay_alu instid0(SALU_CYCLE_1) | instskip(NEXT) | instid1(VALU_DEP_1)
	s_or_b32 exec_lo, exec_lo, s7
	v_mul_f32_e32 v19, v19, v17
	v_mov_b32_e32 v95, v55
	s_delay_alu instid0(VALU_DEP_2) | instskip(SKIP_1) | instid1(VALU_DEP_2)
	v_and_b32_e32 v94, 0x7f800000, v19
	v_and_b32_e32 v54, 0x7fffff, v19
	v_cmp_ne_u64_e32 vcc_lo, 0x7f800000, v[94:95]
                                        ; implicit-def: $vgpr95
	s_and_saveexec_b32 s7, vcc_lo
	s_delay_alu instid0(SALU_CYCLE_1)
	s_xor_b32 s25, exec_lo, s7
	s_cbranch_execz .LBB4_4818
; %bb.4801:                             ;   in Loop: Header=BB4_4780 Depth=2
	v_and_b32_e32 v94, 0x7fffffff, v19
	v_dual_mov_b32 v95, v55 :: v_dual_lshrrev_b32 v17, 24, v19
	s_delay_alu instid0(VALU_DEP_1) | instskip(NEXT) | instid1(VALU_DEP_2)
	v_cmp_gt_u64_e32 vcc_lo, 0x47600001, v[94:95]
	v_and_b32_e32 v17, 0x80, v17
                                        ; implicit-def: $vgpr95
	s_and_saveexec_b32 s7, vcc_lo
	s_delay_alu instid0(SALU_CYCLE_1)
	s_xor_b32 s26, exec_lo, s7
	s_cbranch_execz .LBB4_4815
; %bb.4802:                             ;   in Loop: Header=BB4_4780 Depth=2
	v_mov_b32_e32 v95, 0
	s_mov_b32 s27, exec_lo
	v_cmpx_ne_u32_e32 0, v19
	s_cbranch_execz .LBB4_4814
; %bb.4803:                             ;   in Loop: Header=BB4_4780 Depth=2
	v_bfe_u32 v19, v19, 23, 8
	v_or_b32_e32 v25, 0x800000, v54
	s_delay_alu instid0(VALU_DEP_2) | instskip(SKIP_1) | instid1(VALU_DEP_2)
	v_sub_nc_u32_e32 v21, 0x71, v19
	v_cmp_gt_u32_e32 vcc_lo, 0x72, v19
	v_cndmask_b32_e32 v21, 0, v21, vcc_lo
	v_cmp_eq_u32_e32 vcc_lo, 0, v19
	s_delay_alu instid0(VALU_DEP_2) | instskip(NEXT) | instid1(VALU_DEP_1)
	v_cndmask_b32_e64 v21, v21, 0x70, vcc_lo
	v_dual_cndmask_b32 v54, v25, v54 :: v_dual_add_nc_u32 v23, 21, v21
	s_delay_alu instid0(VALU_DEP_1) | instskip(SKIP_1) | instid1(VALU_DEP_1)
	v_lshlrev_b64_e64 v[94:95], v23, -1
	v_add_nc_u32_e32 v23, 20, v21
	v_lshlrev_b64_e64 v[104:105], v23, 1
	s_delay_alu instid0(VALU_DEP_3) | instskip(NEXT) | instid1(VALU_DEP_4)
	v_bfi_b32 v125, v95, 0, 0
	v_bfi_b32 v124, v94, 0, v54
	v_lshrrev_b64 v[94:95], v21, v[54:55]
	s_delay_alu instid0(VALU_DEP_2) | instskip(NEXT) | instid1(VALU_DEP_2)
	v_cmp_eq_u64_e64 s7, v[124:125], v[104:105]
	v_mov_b64_e32 v[104:105], v[94:95]
	s_and_saveexec_b32 s28, s7
; %bb.4804:                             ;   in Loop: Header=BB4_4780 Depth=2
	v_bfe_u32 v54, v94, 21, 1
	s_delay_alu instid0(VALU_DEP_1) | instskip(NEXT) | instid1(VALU_DEP_1)
	v_add_nc_u64_e32 v[104:105], v[94:95], v[54:55]
	v_add_nc_u64_e32 v[104:105], -1, v[104:105]
; %bb.4805:                             ;   in Loop: Header=BB4_4780 Depth=2
	s_or_b32 exec_lo, exec_lo, s28
	v_add_nc_u32_e32 v19, 0xffffff81, v19
	v_lshrrev_b32_e32 v23, 23, v94
	s_mov_b32 s7, exec_lo
	s_delay_alu instid0(VALU_DEP_2) | instskip(NEXT) | instid1(VALU_DEP_1)
	v_cndmask_b32_e64 v19, v19, 0xffffff82, vcc_lo
	v_add3_u32 v21, v21, v19, v23
	v_and_b32_e32 v19, 0x1fffff, v104
	s_delay_alu instid0(VALU_DEP_1) | instskip(NEXT) | instid1(VALU_DEP_1)
	v_dual_add_nc_u32 v23, 14, v21 :: v_dual_add_nc_u32 v54, v19, v94
                                        ; implicit-def: $vgpr94_vgpr95
                                        ; implicit-def: $vgpr19
	v_cmpx_ne_u32_e32 0, v23
	s_xor_b32 s7, exec_lo, s7
; %bb.4806:                             ;   in Loop: Header=BB4_4780 Depth=2
	s_delay_alu instid0(VALU_DEP_2) | instskip(SKIP_2) | instid1(VALU_DEP_2)
	v_cmp_lt_u64_e32 vcc_lo, 0xffffff, v[54:55]
	v_add_nc_u32_e32 v19, 15, v21
	v_cndmask_b32_e64 v21, 0, 1, vcc_lo
	v_cndmask_b32_e32 v19, v23, v19, vcc_lo
	s_delay_alu instid0(VALU_DEP_2)
	v_lshrrev_b64 v[94:95], v21, v[54:55]
; %bb.4807:                             ;   in Loop: Header=BB4_4780 Depth=2
	s_and_not1_saveexec_b32 s7, s7
; %bb.4808:                             ;   in Loop: Header=BB4_4780 Depth=2
	v_mov_b64_e32 v[94:95], v[54:55]
	v_bfe_u32 v19, v54, 23, 1
; %bb.4809:                             ;   in Loop: Header=BB4_4780 Depth=2
	s_or_b32 exec_lo, exec_lo, s7
	s_delay_alu instid0(VALU_DEP_2) | instskip(NEXT) | instid1(VALU_DEP_2)
	v_lshrrev_b64 v[94:95], 21, v[94:95]
	v_cmp_gt_i32_e32 vcc_lo, 32, v19
	v_cmp_ne_u32_e64 s7, 0, v19
	s_delay_alu instid0(VALU_DEP_3) | instskip(NEXT) | instid1(VALU_DEP_1)
	v_dual_cndmask_b32 v95, 0, v95 :: v_dual_cndmask_b32 v94, 3, v94
	v_cmp_ne_u64_e32 vcc_lo, 0, v[94:95]
                                        ; implicit-def: $vgpr95
	s_or_b32 s7, s7, vcc_lo
	s_delay_alu instid0(SALU_CYCLE_1) | instskip(NEXT) | instid1(SALU_CYCLE_1)
	s_and_saveexec_b32 s28, s7
	s_xor_b32 s7, exec_lo, s28
; %bb.4810:                             ;   in Loop: Header=BB4_4780 Depth=2
	v_min_i32_e32 v19, 31, v19
	s_delay_alu instid0(VALU_DEP_1) | instskip(NEXT) | instid1(VALU_DEP_1)
	v_lshl_or_b32 v17, v19, 2, v17
	v_and_or_b32 v95, v94, 3, v17
                                        ; implicit-def: $vgpr17
; %bb.4811:                             ;   in Loop: Header=BB4_4780 Depth=2
	s_and_not1_saveexec_b32 s7, s7
; %bb.4812:                             ;   in Loop: Header=BB4_4780 Depth=2
	v_mov_b32_e32 v95, v17
; %bb.4813:                             ;   in Loop: Header=BB4_4780 Depth=2
	s_or_b32 exec_lo, exec_lo, s7
.LBB4_4814:                             ;   in Loop: Header=BB4_4780 Depth=2
	s_delay_alu instid0(SALU_CYCLE_1)
	s_or_b32 exec_lo, exec_lo, s27
                                        ; implicit-def: $vgpr17
.LBB4_4815:                             ;   in Loop: Header=BB4_4780 Depth=2
	s_and_not1_saveexec_b32 s7, s26
; %bb.4816:                             ;   in Loop: Header=BB4_4780 Depth=2
	v_or_b32_e32 v95, 0x7b, v17
; %bb.4817:                             ;   in Loop: Header=BB4_4780 Depth=2
	s_or_b32 exec_lo, exec_lo, s7
                                        ; implicit-def: $vgpr19
.LBB4_4818:                             ;   in Loop: Header=BB4_4780 Depth=2
	s_and_not1_saveexec_b32 s7, s25
	s_cbranch_execz .LBB4_4824
; %bb.4819:                             ;   in Loop: Header=BB4_4780 Depth=2
	s_mov_b32 s25, exec_lo
                                        ; implicit-def: $vgpr95
	v_cmpx_ne_u64_e32 0, v[54:55]
	s_xor_b32 s25, exec_lo, s25
; %bb.4820:                             ;   in Loop: Header=BB4_4780 Depth=2
	v_lshrrev_b32_e32 v17, 24, v19
                                        ; implicit-def: $vgpr19
	s_delay_alu instid0(VALU_DEP_1)
	v_or_b32_e32 v95, 0x7f, v17
; %bb.4821:                             ;   in Loop: Header=BB4_4780 Depth=2
	s_and_not1_saveexec_b32 s25, s25
; %bb.4822:                             ;   in Loop: Header=BB4_4780 Depth=2
	v_cmp_lt_i32_e32 vcc_lo, -1, v19
	v_cndmask_b32_e64 v95, -4, 0x7c, vcc_lo
; %bb.4823:                             ;   in Loop: Header=BB4_4780 Depth=2
	s_or_b32 exec_lo, exec_lo, s25
.LBB4_4824:                             ;   in Loop: Header=BB4_4780 Depth=2
	s_delay_alu instid0(SALU_CYCLE_1)
	s_or_b32 exec_lo, exec_lo, s7
	v_dual_mov_b32 v17, 0 :: v_dual_mov_b32 v19, 0
	s_mov_b32 s7, exec_lo
	v_cmpx_ne_u16_e32 0, v92
	s_cbranch_execz .LBB4_4834
; %bb.4825:                             ;   in Loop: Header=BB4_4780 Depth=2
	v_bfrev_b32_e32 v19, 1
	s_mov_b32 s25, exec_lo
	v_cmpx_ne_u16_e32 0xff80, v92
	s_cbranch_execz .LBB4_4833
; %bb.4826:                             ;   in Loop: Header=BB4_4780 Depth=2
	v_and_b32_e32 v19, 0x7c, v92
	v_and_b32_e32 v21, 3, v92
	s_delay_alu instid0(VALU_DEP_2) | instskip(SKIP_1) | instid1(SALU_CYCLE_1)
	v_cmp_ne_u32_e32 vcc_lo, 0x7c, v19
                                        ; implicit-def: $vgpr19
	s_and_saveexec_b32 s26, vcc_lo
	s_xor_b32 s26, exec_lo, s26
	s_cbranch_execz .LBB4_4830
; %bb.4827:                             ;   in Loop: Header=BB4_4780 Depth=2
	v_and_b32_e32 v19, 0xff, v92
	s_mov_b32 s27, exec_lo
	s_delay_alu instid0(VALU_DEP_1) | instskip(NEXT) | instid1(VALU_DEP_1)
	v_bfe_u32 v19, v19, 2, 5
	v_cmpx_eq_u32_e32 0, v19
	s_cbranch_execz .LBB4_4829
; %bb.4828:                             ;   in Loop: Header=BB4_4780 Depth=2
	v_clz_i32_u32_e32 v19, v21
	s_delay_alu instid0(VALU_DEP_1) | instskip(SKIP_1) | instid1(VALU_DEP_2)
	v_min_u32_e32 v19, 32, v19
	v_mov_b32_e32 v93, v55
	v_subrev_nc_u32_e32 v21, 29, v19
	v_sub_nc_u32_e32 v19, 30, v19
	s_delay_alu instid0(VALU_DEP_2) | instskip(NEXT) | instid1(VALU_DEP_1)
	v_lshlrev_b64_e32 v[104:105], v21, v[92:93]
	v_and_b32_e32 v21, 3, v104
.LBB4_4829:                             ;   in Loop: Header=BB4_4780 Depth=2
	s_or_b32 exec_lo, exec_lo, s27
	v_bfe_i32 v23, v92, 0, 16
                                        ; implicit-def: $vgpr92
	s_delay_alu instid0(VALU_DEP_1) | instskip(NEXT) | instid1(VALU_DEP_1)
	v_and_b32_e32 v23, 0x80000000, v23
	v_lshl_add_u32 v19, v19, 23, v23
	s_delay_alu instid0(VALU_DEP_1) | instskip(NEXT) | instid1(VALU_DEP_1)
	v_lshl_or_b32 v19, v21, 21, v19
                                        ; implicit-def: $vgpr21
	v_add_nc_u32_e32 v19, 0x38000000, v19
.LBB4_4830:                             ;   in Loop: Header=BB4_4780 Depth=2
	s_and_not1_saveexec_b32 s26, s26
; %bb.4831:                             ;   in Loop: Header=BB4_4780 Depth=2
	v_cmp_lt_i16_e32 vcc_lo, -1, v92
	v_cndmask_b32_e32 v19, 0xff800000, v109, vcc_lo
	v_cmp_eq_u32_e32 vcc_lo, 0, v21
	s_delay_alu instid0(VALU_DEP_2)
	v_cndmask_b32_e32 v19, 0x7f800001, v19, vcc_lo
; %bb.4832:                             ;   in Loop: Header=BB4_4780 Depth=2
	s_or_b32 exec_lo, exec_lo, s26
.LBB4_4833:                             ;   in Loop: Header=BB4_4780 Depth=2
	s_delay_alu instid0(SALU_CYCLE_1)
	s_or_b32 exec_lo, exec_lo, s25
.LBB4_4834:                             ;   in Loop: Header=BB4_4780 Depth=2
	s_delay_alu instid0(SALU_CYCLE_1) | instskip(NEXT) | instid1(SALU_CYCLE_1)
	s_or_b32 exec_lo, exec_lo, s7
	s_mov_b32 s7, exec_lo
	s_wait_loadcnt_dscnt 0xe0e
	v_cmpx_ne_u16_e32 0, v90
	s_cbranch_execz .LBB4_4844
; %bb.4835:                             ;   in Loop: Header=BB4_4780 Depth=2
	v_bfrev_b32_e32 v17, 1
	s_mov_b32 s25, exec_lo
	v_cmpx_ne_u16_e32 0xff80, v90
	s_cbranch_execz .LBB4_4843
; %bb.4836:                             ;   in Loop: Header=BB4_4780 Depth=2
	v_and_b32_e32 v17, 0x7c, v90
	v_and_b32_e32 v21, 3, v90
	s_delay_alu instid0(VALU_DEP_2) | instskip(SKIP_1) | instid1(SALU_CYCLE_1)
	v_cmp_ne_u32_e32 vcc_lo, 0x7c, v17
                                        ; implicit-def: $vgpr17
	s_and_saveexec_b32 s26, vcc_lo
	s_xor_b32 s26, exec_lo, s26
	s_cbranch_execz .LBB4_4840
; %bb.4837:                             ;   in Loop: Header=BB4_4780 Depth=2
	v_and_b32_e32 v17, 0xff, v90
	s_mov_b32 s27, exec_lo
	s_delay_alu instid0(VALU_DEP_1) | instskip(NEXT) | instid1(VALU_DEP_1)
	v_bfe_u32 v17, v17, 2, 5
	v_cmpx_eq_u32_e32 0, v17
	s_cbranch_execz .LBB4_4839
; %bb.4838:                             ;   in Loop: Header=BB4_4780 Depth=2
	v_clz_i32_u32_e32 v17, v21
	s_delay_alu instid0(VALU_DEP_1) | instskip(SKIP_1) | instid1(VALU_DEP_2)
	v_min_u32_e32 v17, 32, v17
	v_mov_b32_e32 v91, v55
	v_subrev_nc_u32_e32 v21, 29, v17
	v_sub_nc_u32_e32 v17, 30, v17
	s_delay_alu instid0(VALU_DEP_2) | instskip(NEXT) | instid1(VALU_DEP_1)
	v_lshlrev_b64_e32 v[92:93], v21, v[90:91]
	v_and_b32_e32 v21, 3, v92
.LBB4_4839:                             ;   in Loop: Header=BB4_4780 Depth=2
	s_or_b32 exec_lo, exec_lo, s27
	v_bfe_i32 v23, v90, 0, 16
                                        ; implicit-def: $vgpr90
	s_delay_alu instid0(VALU_DEP_1) | instskip(NEXT) | instid1(VALU_DEP_1)
	v_and_b32_e32 v23, 0x80000000, v23
	v_lshl_add_u32 v17, v17, 23, v23
	s_delay_alu instid0(VALU_DEP_1) | instskip(NEXT) | instid1(VALU_DEP_1)
	v_lshl_or_b32 v17, v21, 21, v17
                                        ; implicit-def: $vgpr21
	v_add_nc_u32_e32 v17, 0x38000000, v17
.LBB4_4840:                             ;   in Loop: Header=BB4_4780 Depth=2
	s_and_not1_saveexec_b32 s26, s26
; %bb.4841:                             ;   in Loop: Header=BB4_4780 Depth=2
	v_cmp_lt_i16_e32 vcc_lo, -1, v90
	v_cndmask_b32_e32 v17, 0xff800000, v109, vcc_lo
	v_cmp_eq_u32_e32 vcc_lo, 0, v21
	s_delay_alu instid0(VALU_DEP_2)
	v_cndmask_b32_e32 v17, 0x7f800001, v17, vcc_lo
; %bb.4842:                             ;   in Loop: Header=BB4_4780 Depth=2
	s_or_b32 exec_lo, exec_lo, s26
.LBB4_4843:                             ;   in Loop: Header=BB4_4780 Depth=2
	s_delay_alu instid0(SALU_CYCLE_1)
	s_or_b32 exec_lo, exec_lo, s25
.LBB4_4844:                             ;   in Loop: Header=BB4_4780 Depth=2
	s_delay_alu instid0(SALU_CYCLE_1) | instskip(NEXT) | instid1(VALU_DEP_1)
	s_or_b32 exec_lo, exec_lo, s7
	v_mul_f32_e32 v19, v19, v17
	v_mov_b32_e32 v91, v55
	s_delay_alu instid0(VALU_DEP_2) | instskip(SKIP_1) | instid1(VALU_DEP_2)
	v_and_b32_e32 v90, 0x7f800000, v19
	v_and_b32_e32 v54, 0x7fffff, v19
	v_cmp_ne_u64_e32 vcc_lo, 0x7f800000, v[90:91]
                                        ; implicit-def: $vgpr91
	s_and_saveexec_b32 s7, vcc_lo
	s_delay_alu instid0(SALU_CYCLE_1)
	s_xor_b32 s25, exec_lo, s7
	s_cbranch_execz .LBB4_4862
; %bb.4845:                             ;   in Loop: Header=BB4_4780 Depth=2
	v_and_b32_e32 v90, 0x7fffffff, v19
	v_dual_mov_b32 v91, v55 :: v_dual_lshrrev_b32 v17, 24, v19
	s_delay_alu instid0(VALU_DEP_1) | instskip(NEXT) | instid1(VALU_DEP_2)
	v_cmp_gt_u64_e32 vcc_lo, 0x47600001, v[90:91]
	v_and_b32_e32 v17, 0x80, v17
                                        ; implicit-def: $vgpr91
	s_and_saveexec_b32 s7, vcc_lo
	s_delay_alu instid0(SALU_CYCLE_1)
	s_xor_b32 s26, exec_lo, s7
	s_cbranch_execz .LBB4_4859
; %bb.4846:                             ;   in Loop: Header=BB4_4780 Depth=2
	v_mov_b32_e32 v91, 0
	s_mov_b32 s27, exec_lo
	v_cmpx_ne_u32_e32 0, v19
	s_cbranch_execz .LBB4_4858
; %bb.4847:                             ;   in Loop: Header=BB4_4780 Depth=2
	v_bfe_u32 v19, v19, 23, 8
	v_or_b32_e32 v25, 0x800000, v54
	s_delay_alu instid0(VALU_DEP_2) | instskip(SKIP_1) | instid1(VALU_DEP_2)
	v_sub_nc_u32_e32 v21, 0x71, v19
	v_cmp_gt_u32_e32 vcc_lo, 0x72, v19
	v_cndmask_b32_e32 v21, 0, v21, vcc_lo
	v_cmp_eq_u32_e32 vcc_lo, 0, v19
	s_delay_alu instid0(VALU_DEP_2) | instskip(NEXT) | instid1(VALU_DEP_1)
	v_cndmask_b32_e64 v21, v21, 0x70, vcc_lo
	v_dual_cndmask_b32 v54, v25, v54 :: v_dual_add_nc_u32 v23, 21, v21
	s_delay_alu instid0(VALU_DEP_1) | instskip(SKIP_1) | instid1(VALU_DEP_1)
	v_lshlrev_b64_e64 v[90:91], v23, -1
	v_add_nc_u32_e32 v23, 20, v21
	v_lshlrev_b64_e64 v[92:93], v23, 1
	s_delay_alu instid0(VALU_DEP_3) | instskip(NEXT) | instid1(VALU_DEP_4)
	v_bfi_b32 v105, v91, 0, 0
	v_bfi_b32 v104, v90, 0, v54
	v_lshrrev_b64 v[90:91], v21, v[54:55]
	s_delay_alu instid0(VALU_DEP_2) | instskip(NEXT) | instid1(VALU_DEP_2)
	v_cmp_eq_u64_e64 s7, v[104:105], v[92:93]
	v_mov_b64_e32 v[92:93], v[90:91]
	s_and_saveexec_b32 s28, s7
; %bb.4848:                             ;   in Loop: Header=BB4_4780 Depth=2
	v_bfe_u32 v54, v90, 21, 1
	s_delay_alu instid0(VALU_DEP_1) | instskip(NEXT) | instid1(VALU_DEP_1)
	v_add_nc_u64_e32 v[92:93], v[90:91], v[54:55]
	v_add_nc_u64_e32 v[92:93], -1, v[92:93]
; %bb.4849:                             ;   in Loop: Header=BB4_4780 Depth=2
	s_or_b32 exec_lo, exec_lo, s28
	v_add_nc_u32_e32 v19, 0xffffff81, v19
	v_lshrrev_b32_e32 v23, 23, v90
	s_mov_b32 s7, exec_lo
	s_delay_alu instid0(VALU_DEP_2) | instskip(NEXT) | instid1(VALU_DEP_1)
	v_cndmask_b32_e64 v19, v19, 0xffffff82, vcc_lo
	v_add3_u32 v21, v21, v19, v23
	v_and_b32_e32 v19, 0x1fffff, v92
	s_delay_alu instid0(VALU_DEP_1) | instskip(NEXT) | instid1(VALU_DEP_1)
	v_dual_add_nc_u32 v23, 14, v21 :: v_dual_add_nc_u32 v54, v19, v90
                                        ; implicit-def: $vgpr90_vgpr91
                                        ; implicit-def: $vgpr19
	v_cmpx_ne_u32_e32 0, v23
	s_xor_b32 s7, exec_lo, s7
; %bb.4850:                             ;   in Loop: Header=BB4_4780 Depth=2
	s_delay_alu instid0(VALU_DEP_2) | instskip(SKIP_2) | instid1(VALU_DEP_2)
	v_cmp_lt_u64_e32 vcc_lo, 0xffffff, v[54:55]
	v_add_nc_u32_e32 v19, 15, v21
	v_cndmask_b32_e64 v21, 0, 1, vcc_lo
	v_cndmask_b32_e32 v19, v23, v19, vcc_lo
	s_delay_alu instid0(VALU_DEP_2)
	v_lshrrev_b64 v[90:91], v21, v[54:55]
; %bb.4851:                             ;   in Loop: Header=BB4_4780 Depth=2
	s_and_not1_saveexec_b32 s7, s7
; %bb.4852:                             ;   in Loop: Header=BB4_4780 Depth=2
	v_mov_b64_e32 v[90:91], v[54:55]
	v_bfe_u32 v19, v54, 23, 1
; %bb.4853:                             ;   in Loop: Header=BB4_4780 Depth=2
	s_or_b32 exec_lo, exec_lo, s7
	s_delay_alu instid0(VALU_DEP_2) | instskip(NEXT) | instid1(VALU_DEP_2)
	v_lshrrev_b64 v[90:91], 21, v[90:91]
	v_cmp_gt_i32_e32 vcc_lo, 32, v19
	v_cmp_ne_u32_e64 s7, 0, v19
	s_delay_alu instid0(VALU_DEP_3) | instskip(NEXT) | instid1(VALU_DEP_1)
	v_dual_cndmask_b32 v91, 0, v91 :: v_dual_cndmask_b32 v90, 3, v90
	v_cmp_ne_u64_e32 vcc_lo, 0, v[90:91]
                                        ; implicit-def: $vgpr91
	s_or_b32 s7, s7, vcc_lo
	s_delay_alu instid0(SALU_CYCLE_1) | instskip(NEXT) | instid1(SALU_CYCLE_1)
	s_and_saveexec_b32 s28, s7
	s_xor_b32 s7, exec_lo, s28
; %bb.4854:                             ;   in Loop: Header=BB4_4780 Depth=2
	v_min_i32_e32 v19, 31, v19
	s_delay_alu instid0(VALU_DEP_1) | instskip(NEXT) | instid1(VALU_DEP_1)
	v_lshl_or_b32 v17, v19, 2, v17
	v_and_or_b32 v91, v90, 3, v17
                                        ; implicit-def: $vgpr17
; %bb.4855:                             ;   in Loop: Header=BB4_4780 Depth=2
	s_and_not1_saveexec_b32 s7, s7
; %bb.4856:                             ;   in Loop: Header=BB4_4780 Depth=2
	v_mov_b32_e32 v91, v17
; %bb.4857:                             ;   in Loop: Header=BB4_4780 Depth=2
	s_or_b32 exec_lo, exec_lo, s7
.LBB4_4858:                             ;   in Loop: Header=BB4_4780 Depth=2
	s_delay_alu instid0(SALU_CYCLE_1)
	s_or_b32 exec_lo, exec_lo, s27
                                        ; implicit-def: $vgpr17
.LBB4_4859:                             ;   in Loop: Header=BB4_4780 Depth=2
	s_and_not1_saveexec_b32 s7, s26
; %bb.4860:                             ;   in Loop: Header=BB4_4780 Depth=2
	v_or_b32_e32 v91, 0x7b, v17
; %bb.4861:                             ;   in Loop: Header=BB4_4780 Depth=2
	s_or_b32 exec_lo, exec_lo, s7
                                        ; implicit-def: $vgpr19
.LBB4_4862:                             ;   in Loop: Header=BB4_4780 Depth=2
	s_and_not1_saveexec_b32 s7, s25
	s_cbranch_execz .LBB4_4868
; %bb.4863:                             ;   in Loop: Header=BB4_4780 Depth=2
	s_mov_b32 s25, exec_lo
                                        ; implicit-def: $vgpr91
	v_cmpx_ne_u64_e32 0, v[54:55]
	s_xor_b32 s25, exec_lo, s25
; %bb.4864:                             ;   in Loop: Header=BB4_4780 Depth=2
	v_lshrrev_b32_e32 v17, 24, v19
                                        ; implicit-def: $vgpr19
	s_delay_alu instid0(VALU_DEP_1)
	v_or_b32_e32 v91, 0x7f, v17
; %bb.4865:                             ;   in Loop: Header=BB4_4780 Depth=2
	s_and_not1_saveexec_b32 s25, s25
; %bb.4866:                             ;   in Loop: Header=BB4_4780 Depth=2
	v_cmp_lt_i32_e32 vcc_lo, -1, v19
	v_cndmask_b32_e64 v91, -4, 0x7c, vcc_lo
; %bb.4867:                             ;   in Loop: Header=BB4_4780 Depth=2
	s_or_b32 exec_lo, exec_lo, s25
.LBB4_4868:                             ;   in Loop: Header=BB4_4780 Depth=2
	s_delay_alu instid0(SALU_CYCLE_1)
	s_or_b32 exec_lo, exec_lo, s7
	v_dual_mov_b32 v17, 0 :: v_dual_mov_b32 v19, 0
	s_mov_b32 s7, exec_lo
	v_cmpx_ne_u16_e32 0, v88
	s_cbranch_execz .LBB4_4878
; %bb.4869:                             ;   in Loop: Header=BB4_4780 Depth=2
	v_bfrev_b32_e32 v19, 1
	s_mov_b32 s25, exec_lo
	v_cmpx_ne_u16_e32 0xff80, v88
	s_cbranch_execz .LBB4_4877
; %bb.4870:                             ;   in Loop: Header=BB4_4780 Depth=2
	v_and_b32_e32 v19, 0x7c, v88
	v_and_b32_e32 v21, 3, v88
	s_delay_alu instid0(VALU_DEP_2) | instskip(SKIP_1) | instid1(SALU_CYCLE_1)
	v_cmp_ne_u32_e32 vcc_lo, 0x7c, v19
                                        ; implicit-def: $vgpr19
	s_and_saveexec_b32 s26, vcc_lo
	s_xor_b32 s26, exec_lo, s26
	s_cbranch_execz .LBB4_4874
; %bb.4871:                             ;   in Loop: Header=BB4_4780 Depth=2
	v_and_b32_e32 v19, 0xff, v88
	s_mov_b32 s27, exec_lo
	s_delay_alu instid0(VALU_DEP_1) | instskip(NEXT) | instid1(VALU_DEP_1)
	v_bfe_u32 v19, v19, 2, 5
	v_cmpx_eq_u32_e32 0, v19
	s_cbranch_execz .LBB4_4873
; %bb.4872:                             ;   in Loop: Header=BB4_4780 Depth=2
	v_clz_i32_u32_e32 v19, v21
	s_delay_alu instid0(VALU_DEP_1) | instskip(SKIP_1) | instid1(VALU_DEP_2)
	v_min_u32_e32 v19, 32, v19
	v_mov_b32_e32 v89, v55
	v_subrev_nc_u32_e32 v21, 29, v19
	v_sub_nc_u32_e32 v19, 30, v19
	s_delay_alu instid0(VALU_DEP_2) | instskip(NEXT) | instid1(VALU_DEP_1)
	v_lshlrev_b64_e32 v[92:93], v21, v[88:89]
	v_and_b32_e32 v21, 3, v92
.LBB4_4873:                             ;   in Loop: Header=BB4_4780 Depth=2
	s_or_b32 exec_lo, exec_lo, s27
	v_bfe_i32 v23, v88, 0, 16
                                        ; implicit-def: $vgpr88
	s_delay_alu instid0(VALU_DEP_1) | instskip(NEXT) | instid1(VALU_DEP_1)
	v_and_b32_e32 v23, 0x80000000, v23
	v_lshl_add_u32 v19, v19, 23, v23
	s_delay_alu instid0(VALU_DEP_1) | instskip(NEXT) | instid1(VALU_DEP_1)
	v_lshl_or_b32 v19, v21, 21, v19
                                        ; implicit-def: $vgpr21
	v_add_nc_u32_e32 v19, 0x38000000, v19
.LBB4_4874:                             ;   in Loop: Header=BB4_4780 Depth=2
	s_and_not1_saveexec_b32 s26, s26
; %bb.4875:                             ;   in Loop: Header=BB4_4780 Depth=2
	v_cmp_lt_i16_e32 vcc_lo, -1, v88
	v_cndmask_b32_e32 v19, 0xff800000, v109, vcc_lo
	v_cmp_eq_u32_e32 vcc_lo, 0, v21
	s_delay_alu instid0(VALU_DEP_2)
	v_cndmask_b32_e32 v19, 0x7f800001, v19, vcc_lo
; %bb.4876:                             ;   in Loop: Header=BB4_4780 Depth=2
	s_or_b32 exec_lo, exec_lo, s26
.LBB4_4877:                             ;   in Loop: Header=BB4_4780 Depth=2
	s_delay_alu instid0(SALU_CYCLE_1)
	s_or_b32 exec_lo, exec_lo, s25
.LBB4_4878:                             ;   in Loop: Header=BB4_4780 Depth=2
	s_delay_alu instid0(SALU_CYCLE_1) | instskip(NEXT) | instid1(SALU_CYCLE_1)
	s_or_b32 exec_lo, exec_lo, s7
	s_mov_b32 s7, exec_lo
	s_wait_loadcnt_dscnt 0xd0d
	v_cmpx_ne_u16_e32 0, v78
	s_cbranch_execz .LBB4_4888
; %bb.4879:                             ;   in Loop: Header=BB4_4780 Depth=2
	v_bfrev_b32_e32 v17, 1
	s_mov_b32 s25, exec_lo
	v_cmpx_ne_u16_e32 0xff80, v78
	s_cbranch_execz .LBB4_4887
; %bb.4880:                             ;   in Loop: Header=BB4_4780 Depth=2
	v_and_b32_e32 v17, 0x7c, v78
	v_and_b32_e32 v21, 3, v78
	s_delay_alu instid0(VALU_DEP_2) | instskip(SKIP_1) | instid1(SALU_CYCLE_1)
	v_cmp_ne_u32_e32 vcc_lo, 0x7c, v17
                                        ; implicit-def: $vgpr17
	s_and_saveexec_b32 s26, vcc_lo
	s_xor_b32 s26, exec_lo, s26
	s_cbranch_execz .LBB4_4884
; %bb.4881:                             ;   in Loop: Header=BB4_4780 Depth=2
	v_and_b32_e32 v17, 0xff, v78
	s_mov_b32 s27, exec_lo
	s_delay_alu instid0(VALU_DEP_1) | instskip(NEXT) | instid1(VALU_DEP_1)
	v_bfe_u32 v17, v17, 2, 5
	v_cmpx_eq_u32_e32 0, v17
	s_cbranch_execz .LBB4_4883
; %bb.4882:                             ;   in Loop: Header=BB4_4780 Depth=2
	v_clz_i32_u32_e32 v17, v21
	s_delay_alu instid0(VALU_DEP_1) | instskip(SKIP_1) | instid1(VALU_DEP_2)
	v_min_u32_e32 v17, 32, v17
	v_mov_b32_e32 v79, v55
	v_subrev_nc_u32_e32 v21, 29, v17
	v_sub_nc_u32_e32 v17, 30, v17
	s_delay_alu instid0(VALU_DEP_2) | instskip(NEXT) | instid1(VALU_DEP_1)
	v_lshlrev_b64_e32 v[88:89], v21, v[78:79]
	v_and_b32_e32 v21, 3, v88
.LBB4_4883:                             ;   in Loop: Header=BB4_4780 Depth=2
	s_or_b32 exec_lo, exec_lo, s27
	v_bfe_i32 v23, v78, 0, 16
                                        ; implicit-def: $vgpr78
	s_delay_alu instid0(VALU_DEP_1) | instskip(NEXT) | instid1(VALU_DEP_1)
	v_and_b32_e32 v23, 0x80000000, v23
	v_lshl_add_u32 v17, v17, 23, v23
	s_delay_alu instid0(VALU_DEP_1) | instskip(NEXT) | instid1(VALU_DEP_1)
	v_lshl_or_b32 v17, v21, 21, v17
                                        ; implicit-def: $vgpr21
	v_add_nc_u32_e32 v17, 0x38000000, v17
.LBB4_4884:                             ;   in Loop: Header=BB4_4780 Depth=2
	s_and_not1_saveexec_b32 s26, s26
; %bb.4885:                             ;   in Loop: Header=BB4_4780 Depth=2
	v_cmp_lt_i16_e32 vcc_lo, -1, v78
	v_cndmask_b32_e32 v17, 0xff800000, v109, vcc_lo
	v_cmp_eq_u32_e32 vcc_lo, 0, v21
	s_delay_alu instid0(VALU_DEP_2)
	v_cndmask_b32_e32 v17, 0x7f800001, v17, vcc_lo
; %bb.4886:                             ;   in Loop: Header=BB4_4780 Depth=2
	s_or_b32 exec_lo, exec_lo, s26
.LBB4_4887:                             ;   in Loop: Header=BB4_4780 Depth=2
	s_delay_alu instid0(SALU_CYCLE_1)
	s_or_b32 exec_lo, exec_lo, s25
.LBB4_4888:                             ;   in Loop: Header=BB4_4780 Depth=2
	s_delay_alu instid0(SALU_CYCLE_1) | instskip(NEXT) | instid1(VALU_DEP_1)
	s_or_b32 exec_lo, exec_lo, s7
	v_mul_f32_e32 v19, v19, v17
	v_mov_b32_e32 v79, v55
	s_delay_alu instid0(VALU_DEP_2) | instskip(SKIP_1) | instid1(VALU_DEP_2)
	v_and_b32_e32 v78, 0x7f800000, v19
	v_and_b32_e32 v54, 0x7fffff, v19
	v_cmp_ne_u64_e32 vcc_lo, 0x7f800000, v[78:79]
                                        ; implicit-def: $vgpr79
	s_and_saveexec_b32 s7, vcc_lo
	s_delay_alu instid0(SALU_CYCLE_1)
	s_xor_b32 s25, exec_lo, s7
	s_cbranch_execz .LBB4_4906
; %bb.4889:                             ;   in Loop: Header=BB4_4780 Depth=2
	v_and_b32_e32 v78, 0x7fffffff, v19
	v_dual_mov_b32 v79, v55 :: v_dual_lshrrev_b32 v17, 24, v19
	s_delay_alu instid0(VALU_DEP_1) | instskip(NEXT) | instid1(VALU_DEP_2)
	v_cmp_gt_u64_e32 vcc_lo, 0x47600001, v[78:79]
	v_and_b32_e32 v17, 0x80, v17
                                        ; implicit-def: $vgpr79
	s_and_saveexec_b32 s7, vcc_lo
	s_delay_alu instid0(SALU_CYCLE_1)
	s_xor_b32 s26, exec_lo, s7
	s_cbranch_execz .LBB4_4903
; %bb.4890:                             ;   in Loop: Header=BB4_4780 Depth=2
	v_mov_b32_e32 v79, 0
	s_mov_b32 s27, exec_lo
	v_cmpx_ne_u32_e32 0, v19
	s_cbranch_execz .LBB4_4902
; %bb.4891:                             ;   in Loop: Header=BB4_4780 Depth=2
	v_bfe_u32 v19, v19, 23, 8
	v_or_b32_e32 v25, 0x800000, v54
	s_delay_alu instid0(VALU_DEP_2) | instskip(SKIP_1) | instid1(VALU_DEP_2)
	v_sub_nc_u32_e32 v21, 0x71, v19
	v_cmp_gt_u32_e32 vcc_lo, 0x72, v19
	v_cndmask_b32_e32 v21, 0, v21, vcc_lo
	v_cmp_eq_u32_e32 vcc_lo, 0, v19
	s_delay_alu instid0(VALU_DEP_2) | instskip(NEXT) | instid1(VALU_DEP_1)
	v_cndmask_b32_e64 v21, v21, 0x70, vcc_lo
	v_dual_cndmask_b32 v54, v25, v54 :: v_dual_add_nc_u32 v23, 21, v21
	s_delay_alu instid0(VALU_DEP_1) | instskip(SKIP_1) | instid1(VALU_DEP_1)
	v_lshlrev_b64_e64 v[78:79], v23, -1
	v_add_nc_u32_e32 v23, 20, v21
	v_lshlrev_b64_e64 v[88:89], v23, 1
	s_delay_alu instid0(VALU_DEP_3) | instskip(NEXT) | instid1(VALU_DEP_4)
	v_bfi_b32 v93, v79, 0, 0
	v_bfi_b32 v92, v78, 0, v54
	v_lshrrev_b64 v[78:79], v21, v[54:55]
	s_delay_alu instid0(VALU_DEP_2) | instskip(NEXT) | instid1(VALU_DEP_2)
	v_cmp_eq_u64_e64 s7, v[92:93], v[88:89]
	v_mov_b64_e32 v[88:89], v[78:79]
	s_and_saveexec_b32 s28, s7
; %bb.4892:                             ;   in Loop: Header=BB4_4780 Depth=2
	v_bfe_u32 v54, v78, 21, 1
	s_delay_alu instid0(VALU_DEP_1) | instskip(NEXT) | instid1(VALU_DEP_1)
	v_add_nc_u64_e32 v[88:89], v[78:79], v[54:55]
	v_add_nc_u64_e32 v[88:89], -1, v[88:89]
; %bb.4893:                             ;   in Loop: Header=BB4_4780 Depth=2
	s_or_b32 exec_lo, exec_lo, s28
	v_add_nc_u32_e32 v19, 0xffffff81, v19
	v_lshrrev_b32_e32 v23, 23, v78
	s_mov_b32 s7, exec_lo
	s_delay_alu instid0(VALU_DEP_2) | instskip(NEXT) | instid1(VALU_DEP_1)
	v_cndmask_b32_e64 v19, v19, 0xffffff82, vcc_lo
	v_add3_u32 v21, v21, v19, v23
	v_and_b32_e32 v19, 0x1fffff, v88
	s_delay_alu instid0(VALU_DEP_1) | instskip(NEXT) | instid1(VALU_DEP_1)
	v_dual_add_nc_u32 v23, 14, v21 :: v_dual_add_nc_u32 v54, v19, v78
                                        ; implicit-def: $vgpr78_vgpr79
                                        ; implicit-def: $vgpr19
	v_cmpx_ne_u32_e32 0, v23
	s_xor_b32 s7, exec_lo, s7
; %bb.4894:                             ;   in Loop: Header=BB4_4780 Depth=2
	s_delay_alu instid0(VALU_DEP_2) | instskip(SKIP_2) | instid1(VALU_DEP_2)
	v_cmp_lt_u64_e32 vcc_lo, 0xffffff, v[54:55]
	v_add_nc_u32_e32 v19, 15, v21
	v_cndmask_b32_e64 v21, 0, 1, vcc_lo
	v_cndmask_b32_e32 v19, v23, v19, vcc_lo
	s_delay_alu instid0(VALU_DEP_2)
	v_lshrrev_b64 v[78:79], v21, v[54:55]
; %bb.4895:                             ;   in Loop: Header=BB4_4780 Depth=2
	s_and_not1_saveexec_b32 s7, s7
; %bb.4896:                             ;   in Loop: Header=BB4_4780 Depth=2
	v_mov_b64_e32 v[78:79], v[54:55]
	v_bfe_u32 v19, v54, 23, 1
; %bb.4897:                             ;   in Loop: Header=BB4_4780 Depth=2
	s_or_b32 exec_lo, exec_lo, s7
	s_delay_alu instid0(VALU_DEP_2) | instskip(NEXT) | instid1(VALU_DEP_2)
	v_lshrrev_b64 v[78:79], 21, v[78:79]
	v_cmp_gt_i32_e32 vcc_lo, 32, v19
	v_cmp_ne_u32_e64 s7, 0, v19
	s_delay_alu instid0(VALU_DEP_3) | instskip(NEXT) | instid1(VALU_DEP_1)
	v_dual_cndmask_b32 v79, 0, v79 :: v_dual_cndmask_b32 v78, 3, v78
	v_cmp_ne_u64_e32 vcc_lo, 0, v[78:79]
                                        ; implicit-def: $vgpr79
	s_or_b32 s7, s7, vcc_lo
	s_delay_alu instid0(SALU_CYCLE_1) | instskip(NEXT) | instid1(SALU_CYCLE_1)
	s_and_saveexec_b32 s28, s7
	s_xor_b32 s7, exec_lo, s28
; %bb.4898:                             ;   in Loop: Header=BB4_4780 Depth=2
	v_min_i32_e32 v19, 31, v19
	s_delay_alu instid0(VALU_DEP_1) | instskip(NEXT) | instid1(VALU_DEP_1)
	v_lshl_or_b32 v17, v19, 2, v17
	v_and_or_b32 v79, v78, 3, v17
                                        ; implicit-def: $vgpr17
; %bb.4899:                             ;   in Loop: Header=BB4_4780 Depth=2
	s_and_not1_saveexec_b32 s7, s7
; %bb.4900:                             ;   in Loop: Header=BB4_4780 Depth=2
	v_mov_b32_e32 v79, v17
; %bb.4901:                             ;   in Loop: Header=BB4_4780 Depth=2
	s_or_b32 exec_lo, exec_lo, s7
.LBB4_4902:                             ;   in Loop: Header=BB4_4780 Depth=2
	s_delay_alu instid0(SALU_CYCLE_1)
	s_or_b32 exec_lo, exec_lo, s27
                                        ; implicit-def: $vgpr17
.LBB4_4903:                             ;   in Loop: Header=BB4_4780 Depth=2
	s_and_not1_saveexec_b32 s7, s26
; %bb.4904:                             ;   in Loop: Header=BB4_4780 Depth=2
	v_or_b32_e32 v79, 0x7b, v17
; %bb.4905:                             ;   in Loop: Header=BB4_4780 Depth=2
	s_or_b32 exec_lo, exec_lo, s7
                                        ; implicit-def: $vgpr19
.LBB4_4906:                             ;   in Loop: Header=BB4_4780 Depth=2
	s_and_not1_saveexec_b32 s7, s25
	s_cbranch_execz .LBB4_4912
; %bb.4907:                             ;   in Loop: Header=BB4_4780 Depth=2
	s_mov_b32 s25, exec_lo
                                        ; implicit-def: $vgpr79
	v_cmpx_ne_u64_e32 0, v[54:55]
	s_xor_b32 s25, exec_lo, s25
; %bb.4908:                             ;   in Loop: Header=BB4_4780 Depth=2
	v_lshrrev_b32_e32 v17, 24, v19
                                        ; implicit-def: $vgpr19
	s_delay_alu instid0(VALU_DEP_1)
	v_or_b32_e32 v79, 0x7f, v17
; %bb.4909:                             ;   in Loop: Header=BB4_4780 Depth=2
	s_and_not1_saveexec_b32 s25, s25
; %bb.4910:                             ;   in Loop: Header=BB4_4780 Depth=2
	v_cmp_lt_i32_e32 vcc_lo, -1, v19
	v_cndmask_b32_e64 v79, -4, 0x7c, vcc_lo
; %bb.4911:                             ;   in Loop: Header=BB4_4780 Depth=2
	s_or_b32 exec_lo, exec_lo, s25
.LBB4_4912:                             ;   in Loop: Header=BB4_4780 Depth=2
	s_delay_alu instid0(SALU_CYCLE_1)
	s_or_b32 exec_lo, exec_lo, s7
	v_dual_mov_b32 v17, 0 :: v_dual_mov_b32 v19, 0
	s_mov_b32 s7, exec_lo
	v_cmpx_ne_u16_e32 0, v76
	s_cbranch_execz .LBB4_4922
; %bb.4913:                             ;   in Loop: Header=BB4_4780 Depth=2
	v_bfrev_b32_e32 v19, 1
	s_mov_b32 s25, exec_lo
	v_cmpx_ne_u16_e32 0xff80, v76
	s_cbranch_execz .LBB4_4921
; %bb.4914:                             ;   in Loop: Header=BB4_4780 Depth=2
	v_and_b32_e32 v19, 0x7c, v76
	v_and_b32_e32 v21, 3, v76
	s_delay_alu instid0(VALU_DEP_2) | instskip(SKIP_1) | instid1(SALU_CYCLE_1)
	v_cmp_ne_u32_e32 vcc_lo, 0x7c, v19
                                        ; implicit-def: $vgpr19
	s_and_saveexec_b32 s26, vcc_lo
	s_xor_b32 s26, exec_lo, s26
	s_cbranch_execz .LBB4_4918
; %bb.4915:                             ;   in Loop: Header=BB4_4780 Depth=2
	v_and_b32_e32 v19, 0xff, v76
	s_mov_b32 s27, exec_lo
	s_delay_alu instid0(VALU_DEP_1) | instskip(NEXT) | instid1(VALU_DEP_1)
	v_bfe_u32 v19, v19, 2, 5
	v_cmpx_eq_u32_e32 0, v19
	s_cbranch_execz .LBB4_4917
; %bb.4916:                             ;   in Loop: Header=BB4_4780 Depth=2
	v_clz_i32_u32_e32 v19, v21
	s_delay_alu instid0(VALU_DEP_1) | instskip(SKIP_1) | instid1(VALU_DEP_2)
	v_min_u32_e32 v19, 32, v19
	v_mov_b32_e32 v77, v55
	v_subrev_nc_u32_e32 v21, 29, v19
	v_sub_nc_u32_e32 v19, 30, v19
	s_delay_alu instid0(VALU_DEP_2) | instskip(NEXT) | instid1(VALU_DEP_1)
	v_lshlrev_b64_e32 v[88:89], v21, v[76:77]
	v_and_b32_e32 v21, 3, v88
.LBB4_4917:                             ;   in Loop: Header=BB4_4780 Depth=2
	s_or_b32 exec_lo, exec_lo, s27
	v_bfe_i32 v23, v76, 0, 16
                                        ; implicit-def: $vgpr76
	s_delay_alu instid0(VALU_DEP_1) | instskip(NEXT) | instid1(VALU_DEP_1)
	v_and_b32_e32 v23, 0x80000000, v23
	v_lshl_add_u32 v19, v19, 23, v23
	s_delay_alu instid0(VALU_DEP_1) | instskip(NEXT) | instid1(VALU_DEP_1)
	v_lshl_or_b32 v19, v21, 21, v19
                                        ; implicit-def: $vgpr21
	v_add_nc_u32_e32 v19, 0x38000000, v19
.LBB4_4918:                             ;   in Loop: Header=BB4_4780 Depth=2
	s_and_not1_saveexec_b32 s26, s26
; %bb.4919:                             ;   in Loop: Header=BB4_4780 Depth=2
	v_cmp_lt_i16_e32 vcc_lo, -1, v76
	v_cndmask_b32_e32 v19, 0xff800000, v109, vcc_lo
	v_cmp_eq_u32_e32 vcc_lo, 0, v21
	s_delay_alu instid0(VALU_DEP_2)
	v_cndmask_b32_e32 v19, 0x7f800001, v19, vcc_lo
; %bb.4920:                             ;   in Loop: Header=BB4_4780 Depth=2
	s_or_b32 exec_lo, exec_lo, s26
.LBB4_4921:                             ;   in Loop: Header=BB4_4780 Depth=2
	s_delay_alu instid0(SALU_CYCLE_1)
	s_or_b32 exec_lo, exec_lo, s25
.LBB4_4922:                             ;   in Loop: Header=BB4_4780 Depth=2
	s_delay_alu instid0(SALU_CYCLE_1) | instskip(NEXT) | instid1(SALU_CYCLE_1)
	s_or_b32 exec_lo, exec_lo, s7
	s_mov_b32 s7, exec_lo
	s_wait_loadcnt_dscnt 0xc0c
	v_cmpx_ne_u16_e32 0, v74
	s_cbranch_execz .LBB4_4932
; %bb.4923:                             ;   in Loop: Header=BB4_4780 Depth=2
	v_bfrev_b32_e32 v17, 1
	s_mov_b32 s25, exec_lo
	v_cmpx_ne_u16_e32 0xff80, v74
	s_cbranch_execz .LBB4_4931
; %bb.4924:                             ;   in Loop: Header=BB4_4780 Depth=2
	v_and_b32_e32 v17, 0x7c, v74
	v_and_b32_e32 v21, 3, v74
	s_delay_alu instid0(VALU_DEP_2) | instskip(SKIP_1) | instid1(SALU_CYCLE_1)
	v_cmp_ne_u32_e32 vcc_lo, 0x7c, v17
                                        ; implicit-def: $vgpr17
	s_and_saveexec_b32 s26, vcc_lo
	s_xor_b32 s26, exec_lo, s26
	s_cbranch_execz .LBB4_4928
; %bb.4925:                             ;   in Loop: Header=BB4_4780 Depth=2
	v_and_b32_e32 v17, 0xff, v74
	s_mov_b32 s27, exec_lo
	s_delay_alu instid0(VALU_DEP_1) | instskip(NEXT) | instid1(VALU_DEP_1)
	v_bfe_u32 v17, v17, 2, 5
	v_cmpx_eq_u32_e32 0, v17
	s_cbranch_execz .LBB4_4927
; %bb.4926:                             ;   in Loop: Header=BB4_4780 Depth=2
	v_clz_i32_u32_e32 v17, v21
	s_delay_alu instid0(VALU_DEP_1) | instskip(SKIP_1) | instid1(VALU_DEP_2)
	v_min_u32_e32 v17, 32, v17
	v_mov_b32_e32 v75, v55
	v_subrev_nc_u32_e32 v21, 29, v17
	v_sub_nc_u32_e32 v17, 30, v17
	s_delay_alu instid0(VALU_DEP_2) | instskip(NEXT) | instid1(VALU_DEP_1)
	v_lshlrev_b64_e32 v[76:77], v21, v[74:75]
	v_and_b32_e32 v21, 3, v76
.LBB4_4927:                             ;   in Loop: Header=BB4_4780 Depth=2
	s_or_b32 exec_lo, exec_lo, s27
	v_bfe_i32 v23, v74, 0, 16
                                        ; implicit-def: $vgpr74
	s_delay_alu instid0(VALU_DEP_1) | instskip(NEXT) | instid1(VALU_DEP_1)
	v_and_b32_e32 v23, 0x80000000, v23
	v_lshl_add_u32 v17, v17, 23, v23
	s_delay_alu instid0(VALU_DEP_1) | instskip(NEXT) | instid1(VALU_DEP_1)
	v_lshl_or_b32 v17, v21, 21, v17
                                        ; implicit-def: $vgpr21
	v_add_nc_u32_e32 v17, 0x38000000, v17
.LBB4_4928:                             ;   in Loop: Header=BB4_4780 Depth=2
	s_and_not1_saveexec_b32 s26, s26
; %bb.4929:                             ;   in Loop: Header=BB4_4780 Depth=2
	v_cmp_lt_i16_e32 vcc_lo, -1, v74
	v_cndmask_b32_e32 v17, 0xff800000, v109, vcc_lo
	v_cmp_eq_u32_e32 vcc_lo, 0, v21
	s_delay_alu instid0(VALU_DEP_2)
	v_cndmask_b32_e32 v17, 0x7f800001, v17, vcc_lo
; %bb.4930:                             ;   in Loop: Header=BB4_4780 Depth=2
	s_or_b32 exec_lo, exec_lo, s26
.LBB4_4931:                             ;   in Loop: Header=BB4_4780 Depth=2
	s_delay_alu instid0(SALU_CYCLE_1)
	s_or_b32 exec_lo, exec_lo, s25
.LBB4_4932:                             ;   in Loop: Header=BB4_4780 Depth=2
	s_delay_alu instid0(SALU_CYCLE_1) | instskip(NEXT) | instid1(VALU_DEP_1)
	s_or_b32 exec_lo, exec_lo, s7
	v_mul_f32_e32 v19, v19, v17
	v_mov_b32_e32 v75, v55
	s_delay_alu instid0(VALU_DEP_2) | instskip(SKIP_1) | instid1(VALU_DEP_2)
	v_and_b32_e32 v74, 0x7f800000, v19
	v_and_b32_e32 v54, 0x7fffff, v19
	v_cmp_ne_u64_e32 vcc_lo, 0x7f800000, v[74:75]
                                        ; implicit-def: $vgpr75
	s_and_saveexec_b32 s7, vcc_lo
	s_delay_alu instid0(SALU_CYCLE_1)
	s_xor_b32 s25, exec_lo, s7
	s_cbranch_execz .LBB4_4950
; %bb.4933:                             ;   in Loop: Header=BB4_4780 Depth=2
	v_and_b32_e32 v74, 0x7fffffff, v19
	v_dual_mov_b32 v75, v55 :: v_dual_lshrrev_b32 v17, 24, v19
	s_delay_alu instid0(VALU_DEP_1) | instskip(NEXT) | instid1(VALU_DEP_2)
	v_cmp_gt_u64_e32 vcc_lo, 0x47600001, v[74:75]
	v_and_b32_e32 v17, 0x80, v17
                                        ; implicit-def: $vgpr75
	s_and_saveexec_b32 s7, vcc_lo
	s_delay_alu instid0(SALU_CYCLE_1)
	s_xor_b32 s26, exec_lo, s7
	s_cbranch_execz .LBB4_4947
; %bb.4934:                             ;   in Loop: Header=BB4_4780 Depth=2
	v_mov_b32_e32 v75, 0
	s_mov_b32 s27, exec_lo
	v_cmpx_ne_u32_e32 0, v19
	s_cbranch_execz .LBB4_4946
; %bb.4935:                             ;   in Loop: Header=BB4_4780 Depth=2
	v_bfe_u32 v19, v19, 23, 8
	v_or_b32_e32 v25, 0x800000, v54
	s_delay_alu instid0(VALU_DEP_2) | instskip(SKIP_1) | instid1(VALU_DEP_2)
	v_sub_nc_u32_e32 v21, 0x71, v19
	v_cmp_gt_u32_e32 vcc_lo, 0x72, v19
	v_cndmask_b32_e32 v21, 0, v21, vcc_lo
	v_cmp_eq_u32_e32 vcc_lo, 0, v19
	s_delay_alu instid0(VALU_DEP_2) | instskip(NEXT) | instid1(VALU_DEP_1)
	v_cndmask_b32_e64 v21, v21, 0x70, vcc_lo
	v_dual_cndmask_b32 v54, v25, v54 :: v_dual_add_nc_u32 v23, 21, v21
	s_delay_alu instid0(VALU_DEP_1) | instskip(SKIP_1) | instid1(VALU_DEP_1)
	v_lshlrev_b64_e64 v[74:75], v23, -1
	v_add_nc_u32_e32 v23, 20, v21
	v_lshlrev_b64_e64 v[76:77], v23, 1
	s_delay_alu instid0(VALU_DEP_3) | instskip(NEXT) | instid1(VALU_DEP_4)
	v_bfi_b32 v89, v75, 0, 0
	v_bfi_b32 v88, v74, 0, v54
	v_lshrrev_b64 v[74:75], v21, v[54:55]
	s_delay_alu instid0(VALU_DEP_2) | instskip(NEXT) | instid1(VALU_DEP_2)
	v_cmp_eq_u64_e64 s7, v[88:89], v[76:77]
	v_mov_b64_e32 v[76:77], v[74:75]
	s_and_saveexec_b32 s28, s7
; %bb.4936:                             ;   in Loop: Header=BB4_4780 Depth=2
	v_bfe_u32 v54, v74, 21, 1
	s_delay_alu instid0(VALU_DEP_1) | instskip(NEXT) | instid1(VALU_DEP_1)
	v_add_nc_u64_e32 v[76:77], v[74:75], v[54:55]
	v_add_nc_u64_e32 v[76:77], -1, v[76:77]
; %bb.4937:                             ;   in Loop: Header=BB4_4780 Depth=2
	s_or_b32 exec_lo, exec_lo, s28
	v_add_nc_u32_e32 v19, 0xffffff81, v19
	v_lshrrev_b32_e32 v23, 23, v74
	s_mov_b32 s7, exec_lo
	s_delay_alu instid0(VALU_DEP_2) | instskip(NEXT) | instid1(VALU_DEP_1)
	v_cndmask_b32_e64 v19, v19, 0xffffff82, vcc_lo
	v_add3_u32 v21, v21, v19, v23
	v_and_b32_e32 v19, 0x1fffff, v76
	s_delay_alu instid0(VALU_DEP_1) | instskip(NEXT) | instid1(VALU_DEP_1)
	v_dual_add_nc_u32 v23, 14, v21 :: v_dual_add_nc_u32 v54, v19, v74
                                        ; implicit-def: $vgpr74_vgpr75
                                        ; implicit-def: $vgpr19
	v_cmpx_ne_u32_e32 0, v23
	s_xor_b32 s7, exec_lo, s7
; %bb.4938:                             ;   in Loop: Header=BB4_4780 Depth=2
	s_delay_alu instid0(VALU_DEP_2) | instskip(SKIP_2) | instid1(VALU_DEP_2)
	v_cmp_lt_u64_e32 vcc_lo, 0xffffff, v[54:55]
	v_add_nc_u32_e32 v19, 15, v21
	v_cndmask_b32_e64 v21, 0, 1, vcc_lo
	v_cndmask_b32_e32 v19, v23, v19, vcc_lo
	s_delay_alu instid0(VALU_DEP_2)
	v_lshrrev_b64 v[74:75], v21, v[54:55]
; %bb.4939:                             ;   in Loop: Header=BB4_4780 Depth=2
	s_and_not1_saveexec_b32 s7, s7
; %bb.4940:                             ;   in Loop: Header=BB4_4780 Depth=2
	v_mov_b64_e32 v[74:75], v[54:55]
	v_bfe_u32 v19, v54, 23, 1
; %bb.4941:                             ;   in Loop: Header=BB4_4780 Depth=2
	s_or_b32 exec_lo, exec_lo, s7
	s_delay_alu instid0(VALU_DEP_2) | instskip(NEXT) | instid1(VALU_DEP_2)
	v_lshrrev_b64 v[74:75], 21, v[74:75]
	v_cmp_gt_i32_e32 vcc_lo, 32, v19
	v_cmp_ne_u32_e64 s7, 0, v19
	s_delay_alu instid0(VALU_DEP_3) | instskip(NEXT) | instid1(VALU_DEP_1)
	v_dual_cndmask_b32 v75, 0, v75 :: v_dual_cndmask_b32 v74, 3, v74
	v_cmp_ne_u64_e32 vcc_lo, 0, v[74:75]
                                        ; implicit-def: $vgpr75
	s_or_b32 s7, s7, vcc_lo
	s_delay_alu instid0(SALU_CYCLE_1) | instskip(NEXT) | instid1(SALU_CYCLE_1)
	s_and_saveexec_b32 s28, s7
	s_xor_b32 s7, exec_lo, s28
; %bb.4942:                             ;   in Loop: Header=BB4_4780 Depth=2
	v_min_i32_e32 v19, 31, v19
	s_delay_alu instid0(VALU_DEP_1) | instskip(NEXT) | instid1(VALU_DEP_1)
	v_lshl_or_b32 v17, v19, 2, v17
	v_and_or_b32 v75, v74, 3, v17
                                        ; implicit-def: $vgpr17
; %bb.4943:                             ;   in Loop: Header=BB4_4780 Depth=2
	s_and_not1_saveexec_b32 s7, s7
; %bb.4944:                             ;   in Loop: Header=BB4_4780 Depth=2
	v_mov_b32_e32 v75, v17
; %bb.4945:                             ;   in Loop: Header=BB4_4780 Depth=2
	s_or_b32 exec_lo, exec_lo, s7
.LBB4_4946:                             ;   in Loop: Header=BB4_4780 Depth=2
	s_delay_alu instid0(SALU_CYCLE_1)
	s_or_b32 exec_lo, exec_lo, s27
                                        ; implicit-def: $vgpr17
.LBB4_4947:                             ;   in Loop: Header=BB4_4780 Depth=2
	s_and_not1_saveexec_b32 s7, s26
; %bb.4948:                             ;   in Loop: Header=BB4_4780 Depth=2
	v_or_b32_e32 v75, 0x7b, v17
; %bb.4949:                             ;   in Loop: Header=BB4_4780 Depth=2
	s_or_b32 exec_lo, exec_lo, s7
                                        ; implicit-def: $vgpr19
.LBB4_4950:                             ;   in Loop: Header=BB4_4780 Depth=2
	s_and_not1_saveexec_b32 s7, s25
	s_cbranch_execz .LBB4_4956
; %bb.4951:                             ;   in Loop: Header=BB4_4780 Depth=2
	s_mov_b32 s25, exec_lo
                                        ; implicit-def: $vgpr75
	v_cmpx_ne_u64_e32 0, v[54:55]
	s_xor_b32 s25, exec_lo, s25
; %bb.4952:                             ;   in Loop: Header=BB4_4780 Depth=2
	v_lshrrev_b32_e32 v17, 24, v19
                                        ; implicit-def: $vgpr19
	s_delay_alu instid0(VALU_DEP_1)
	v_or_b32_e32 v75, 0x7f, v17
; %bb.4953:                             ;   in Loop: Header=BB4_4780 Depth=2
	s_and_not1_saveexec_b32 s25, s25
; %bb.4954:                             ;   in Loop: Header=BB4_4780 Depth=2
	v_cmp_lt_i32_e32 vcc_lo, -1, v19
	v_cndmask_b32_e64 v75, -4, 0x7c, vcc_lo
; %bb.4955:                             ;   in Loop: Header=BB4_4780 Depth=2
	s_or_b32 exec_lo, exec_lo, s25
.LBB4_4956:                             ;   in Loop: Header=BB4_4780 Depth=2
	s_delay_alu instid0(SALU_CYCLE_1)
	s_or_b32 exec_lo, exec_lo, s7
	v_dual_mov_b32 v17, 0 :: v_dual_mov_b32 v19, 0
	s_mov_b32 s7, exec_lo
	v_cmpx_ne_u16_e32 0, v72
	s_cbranch_execz .LBB4_4966
; %bb.4957:                             ;   in Loop: Header=BB4_4780 Depth=2
	v_bfrev_b32_e32 v19, 1
	s_mov_b32 s25, exec_lo
	v_cmpx_ne_u16_e32 0xff80, v72
	s_cbranch_execz .LBB4_4965
; %bb.4958:                             ;   in Loop: Header=BB4_4780 Depth=2
	v_and_b32_e32 v19, 0x7c, v72
	v_and_b32_e32 v21, 3, v72
	s_delay_alu instid0(VALU_DEP_2) | instskip(SKIP_1) | instid1(SALU_CYCLE_1)
	v_cmp_ne_u32_e32 vcc_lo, 0x7c, v19
                                        ; implicit-def: $vgpr19
	s_and_saveexec_b32 s26, vcc_lo
	s_xor_b32 s26, exec_lo, s26
	s_cbranch_execz .LBB4_4962
; %bb.4959:                             ;   in Loop: Header=BB4_4780 Depth=2
	v_and_b32_e32 v19, 0xff, v72
	s_mov_b32 s27, exec_lo
	s_delay_alu instid0(VALU_DEP_1) | instskip(NEXT) | instid1(VALU_DEP_1)
	v_bfe_u32 v19, v19, 2, 5
	v_cmpx_eq_u32_e32 0, v19
	s_cbranch_execz .LBB4_4961
; %bb.4960:                             ;   in Loop: Header=BB4_4780 Depth=2
	v_clz_i32_u32_e32 v19, v21
	s_delay_alu instid0(VALU_DEP_1) | instskip(SKIP_1) | instid1(VALU_DEP_2)
	v_min_u32_e32 v19, 32, v19
	v_mov_b32_e32 v73, v55
	v_subrev_nc_u32_e32 v21, 29, v19
	v_sub_nc_u32_e32 v19, 30, v19
	s_delay_alu instid0(VALU_DEP_2) | instskip(NEXT) | instid1(VALU_DEP_1)
	v_lshlrev_b64_e32 v[76:77], v21, v[72:73]
	v_and_b32_e32 v21, 3, v76
.LBB4_4961:                             ;   in Loop: Header=BB4_4780 Depth=2
	s_or_b32 exec_lo, exec_lo, s27
	v_bfe_i32 v23, v72, 0, 16
                                        ; implicit-def: $vgpr72
	s_delay_alu instid0(VALU_DEP_1) | instskip(NEXT) | instid1(VALU_DEP_1)
	v_and_b32_e32 v23, 0x80000000, v23
	v_lshl_add_u32 v19, v19, 23, v23
	s_delay_alu instid0(VALU_DEP_1) | instskip(NEXT) | instid1(VALU_DEP_1)
	v_lshl_or_b32 v19, v21, 21, v19
                                        ; implicit-def: $vgpr21
	v_add_nc_u32_e32 v19, 0x38000000, v19
.LBB4_4962:                             ;   in Loop: Header=BB4_4780 Depth=2
	s_and_not1_saveexec_b32 s26, s26
; %bb.4963:                             ;   in Loop: Header=BB4_4780 Depth=2
	v_cmp_lt_i16_e32 vcc_lo, -1, v72
	v_cndmask_b32_e32 v19, 0xff800000, v109, vcc_lo
	v_cmp_eq_u32_e32 vcc_lo, 0, v21
	s_delay_alu instid0(VALU_DEP_2)
	v_cndmask_b32_e32 v19, 0x7f800001, v19, vcc_lo
; %bb.4964:                             ;   in Loop: Header=BB4_4780 Depth=2
	s_or_b32 exec_lo, exec_lo, s26
.LBB4_4965:                             ;   in Loop: Header=BB4_4780 Depth=2
	s_delay_alu instid0(SALU_CYCLE_1)
	s_or_b32 exec_lo, exec_lo, s25
.LBB4_4966:                             ;   in Loop: Header=BB4_4780 Depth=2
	s_delay_alu instid0(SALU_CYCLE_1) | instskip(NEXT) | instid1(SALU_CYCLE_1)
	s_or_b32 exec_lo, exec_lo, s7
	s_mov_b32 s7, exec_lo
	s_wait_loadcnt_dscnt 0xb0b
	v_cmpx_ne_u16_e32 0, v62
	s_cbranch_execz .LBB4_4976
; %bb.4967:                             ;   in Loop: Header=BB4_4780 Depth=2
	v_bfrev_b32_e32 v17, 1
	s_mov_b32 s25, exec_lo
	v_cmpx_ne_u16_e32 0xff80, v62
	s_cbranch_execz .LBB4_4975
; %bb.4968:                             ;   in Loop: Header=BB4_4780 Depth=2
	v_and_b32_e32 v17, 0x7c, v62
	v_and_b32_e32 v21, 3, v62
	s_delay_alu instid0(VALU_DEP_2) | instskip(SKIP_1) | instid1(SALU_CYCLE_1)
	v_cmp_ne_u32_e32 vcc_lo, 0x7c, v17
                                        ; implicit-def: $vgpr17
	s_and_saveexec_b32 s26, vcc_lo
	s_xor_b32 s26, exec_lo, s26
	s_cbranch_execz .LBB4_4972
; %bb.4969:                             ;   in Loop: Header=BB4_4780 Depth=2
	v_and_b32_e32 v17, 0xff, v62
	s_mov_b32 s27, exec_lo
	s_delay_alu instid0(VALU_DEP_1) | instskip(NEXT) | instid1(VALU_DEP_1)
	v_bfe_u32 v17, v17, 2, 5
	v_cmpx_eq_u32_e32 0, v17
	s_cbranch_execz .LBB4_4971
; %bb.4970:                             ;   in Loop: Header=BB4_4780 Depth=2
	v_clz_i32_u32_e32 v17, v21
	s_delay_alu instid0(VALU_DEP_1) | instskip(SKIP_1) | instid1(VALU_DEP_2)
	v_min_u32_e32 v17, 32, v17
	v_mov_b32_e32 v63, v55
	v_subrev_nc_u32_e32 v21, 29, v17
	v_sub_nc_u32_e32 v17, 30, v17
	s_delay_alu instid0(VALU_DEP_2) | instskip(NEXT) | instid1(VALU_DEP_1)
	v_lshlrev_b64_e32 v[72:73], v21, v[62:63]
	v_and_b32_e32 v21, 3, v72
.LBB4_4971:                             ;   in Loop: Header=BB4_4780 Depth=2
	s_or_b32 exec_lo, exec_lo, s27
	v_bfe_i32 v23, v62, 0, 16
                                        ; implicit-def: $vgpr62
	s_delay_alu instid0(VALU_DEP_1) | instskip(NEXT) | instid1(VALU_DEP_1)
	v_and_b32_e32 v23, 0x80000000, v23
	v_lshl_add_u32 v17, v17, 23, v23
	s_delay_alu instid0(VALU_DEP_1) | instskip(NEXT) | instid1(VALU_DEP_1)
	v_lshl_or_b32 v17, v21, 21, v17
                                        ; implicit-def: $vgpr21
	v_add_nc_u32_e32 v17, 0x38000000, v17
.LBB4_4972:                             ;   in Loop: Header=BB4_4780 Depth=2
	s_and_not1_saveexec_b32 s26, s26
; %bb.4973:                             ;   in Loop: Header=BB4_4780 Depth=2
	v_cmp_lt_i16_e32 vcc_lo, -1, v62
	v_cndmask_b32_e32 v17, 0xff800000, v109, vcc_lo
	v_cmp_eq_u32_e32 vcc_lo, 0, v21
	s_delay_alu instid0(VALU_DEP_2)
	v_cndmask_b32_e32 v17, 0x7f800001, v17, vcc_lo
; %bb.4974:                             ;   in Loop: Header=BB4_4780 Depth=2
	s_or_b32 exec_lo, exec_lo, s26
.LBB4_4975:                             ;   in Loop: Header=BB4_4780 Depth=2
	s_delay_alu instid0(SALU_CYCLE_1)
	s_or_b32 exec_lo, exec_lo, s25
.LBB4_4976:                             ;   in Loop: Header=BB4_4780 Depth=2
	s_delay_alu instid0(SALU_CYCLE_1) | instskip(NEXT) | instid1(VALU_DEP_1)
	s_or_b32 exec_lo, exec_lo, s7
	v_mul_f32_e32 v19, v19, v17
	v_mov_b32_e32 v63, v55
	s_delay_alu instid0(VALU_DEP_2) | instskip(SKIP_1) | instid1(VALU_DEP_2)
	v_and_b32_e32 v62, 0x7f800000, v19
	v_and_b32_e32 v54, 0x7fffff, v19
	v_cmp_ne_u64_e32 vcc_lo, 0x7f800000, v[62:63]
                                        ; implicit-def: $vgpr63
	s_and_saveexec_b32 s7, vcc_lo
	s_delay_alu instid0(SALU_CYCLE_1)
	s_xor_b32 s25, exec_lo, s7
	s_cbranch_execz .LBB4_4994
; %bb.4977:                             ;   in Loop: Header=BB4_4780 Depth=2
	v_and_b32_e32 v62, 0x7fffffff, v19
	v_dual_mov_b32 v63, v55 :: v_dual_lshrrev_b32 v17, 24, v19
	s_delay_alu instid0(VALU_DEP_1) | instskip(NEXT) | instid1(VALU_DEP_2)
	v_cmp_gt_u64_e32 vcc_lo, 0x47600001, v[62:63]
	v_and_b32_e32 v17, 0x80, v17
                                        ; implicit-def: $vgpr63
	s_and_saveexec_b32 s7, vcc_lo
	s_delay_alu instid0(SALU_CYCLE_1)
	s_xor_b32 s26, exec_lo, s7
	s_cbranch_execz .LBB4_4991
; %bb.4978:                             ;   in Loop: Header=BB4_4780 Depth=2
	v_mov_b32_e32 v63, 0
	s_mov_b32 s27, exec_lo
	v_cmpx_ne_u32_e32 0, v19
	s_cbranch_execz .LBB4_4990
; %bb.4979:                             ;   in Loop: Header=BB4_4780 Depth=2
	v_bfe_u32 v19, v19, 23, 8
	v_or_b32_e32 v25, 0x800000, v54
	s_delay_alu instid0(VALU_DEP_2) | instskip(SKIP_1) | instid1(VALU_DEP_2)
	v_sub_nc_u32_e32 v21, 0x71, v19
	v_cmp_gt_u32_e32 vcc_lo, 0x72, v19
	v_cndmask_b32_e32 v21, 0, v21, vcc_lo
	v_cmp_eq_u32_e32 vcc_lo, 0, v19
	s_delay_alu instid0(VALU_DEP_2) | instskip(NEXT) | instid1(VALU_DEP_1)
	v_cndmask_b32_e64 v21, v21, 0x70, vcc_lo
	v_dual_cndmask_b32 v54, v25, v54 :: v_dual_add_nc_u32 v23, 21, v21
	s_delay_alu instid0(VALU_DEP_1) | instskip(SKIP_1) | instid1(VALU_DEP_1)
	v_lshlrev_b64_e64 v[62:63], v23, -1
	v_add_nc_u32_e32 v23, 20, v21
	v_lshlrev_b64_e64 v[72:73], v23, 1
	s_delay_alu instid0(VALU_DEP_3) | instskip(NEXT) | instid1(VALU_DEP_4)
	v_bfi_b32 v77, v63, 0, 0
	v_bfi_b32 v76, v62, 0, v54
	v_lshrrev_b64 v[62:63], v21, v[54:55]
	s_delay_alu instid0(VALU_DEP_2) | instskip(NEXT) | instid1(VALU_DEP_2)
	v_cmp_eq_u64_e64 s7, v[76:77], v[72:73]
	v_mov_b64_e32 v[72:73], v[62:63]
	s_and_saveexec_b32 s28, s7
; %bb.4980:                             ;   in Loop: Header=BB4_4780 Depth=2
	v_bfe_u32 v54, v62, 21, 1
	s_delay_alu instid0(VALU_DEP_1) | instskip(NEXT) | instid1(VALU_DEP_1)
	v_add_nc_u64_e32 v[72:73], v[62:63], v[54:55]
	v_add_nc_u64_e32 v[72:73], -1, v[72:73]
; %bb.4981:                             ;   in Loop: Header=BB4_4780 Depth=2
	s_or_b32 exec_lo, exec_lo, s28
	v_add_nc_u32_e32 v19, 0xffffff81, v19
	v_lshrrev_b32_e32 v23, 23, v62
	s_mov_b32 s7, exec_lo
	s_delay_alu instid0(VALU_DEP_2) | instskip(NEXT) | instid1(VALU_DEP_1)
	v_cndmask_b32_e64 v19, v19, 0xffffff82, vcc_lo
	v_add3_u32 v21, v21, v19, v23
	v_and_b32_e32 v19, 0x1fffff, v72
	s_delay_alu instid0(VALU_DEP_1) | instskip(NEXT) | instid1(VALU_DEP_1)
	v_dual_add_nc_u32 v23, 14, v21 :: v_dual_add_nc_u32 v54, v19, v62
                                        ; implicit-def: $vgpr62_vgpr63
                                        ; implicit-def: $vgpr19
	v_cmpx_ne_u32_e32 0, v23
	s_xor_b32 s7, exec_lo, s7
; %bb.4982:                             ;   in Loop: Header=BB4_4780 Depth=2
	s_delay_alu instid0(VALU_DEP_2) | instskip(SKIP_2) | instid1(VALU_DEP_2)
	v_cmp_lt_u64_e32 vcc_lo, 0xffffff, v[54:55]
	v_add_nc_u32_e32 v19, 15, v21
	v_cndmask_b32_e64 v21, 0, 1, vcc_lo
	v_cndmask_b32_e32 v19, v23, v19, vcc_lo
	s_delay_alu instid0(VALU_DEP_2)
	v_lshrrev_b64 v[62:63], v21, v[54:55]
; %bb.4983:                             ;   in Loop: Header=BB4_4780 Depth=2
	s_and_not1_saveexec_b32 s7, s7
; %bb.4984:                             ;   in Loop: Header=BB4_4780 Depth=2
	v_mov_b64_e32 v[62:63], v[54:55]
	v_bfe_u32 v19, v54, 23, 1
; %bb.4985:                             ;   in Loop: Header=BB4_4780 Depth=2
	s_or_b32 exec_lo, exec_lo, s7
	s_delay_alu instid0(VALU_DEP_2) | instskip(NEXT) | instid1(VALU_DEP_2)
	v_lshrrev_b64 v[62:63], 21, v[62:63]
	v_cmp_gt_i32_e32 vcc_lo, 32, v19
	v_cmp_ne_u32_e64 s7, 0, v19
	s_delay_alu instid0(VALU_DEP_3) | instskip(NEXT) | instid1(VALU_DEP_1)
	v_dual_cndmask_b32 v63, 0, v63 :: v_dual_cndmask_b32 v62, 3, v62
	v_cmp_ne_u64_e32 vcc_lo, 0, v[62:63]
                                        ; implicit-def: $vgpr63
	s_or_b32 s7, s7, vcc_lo
	s_delay_alu instid0(SALU_CYCLE_1) | instskip(NEXT) | instid1(SALU_CYCLE_1)
	s_and_saveexec_b32 s28, s7
	s_xor_b32 s7, exec_lo, s28
; %bb.4986:                             ;   in Loop: Header=BB4_4780 Depth=2
	v_min_i32_e32 v19, 31, v19
	s_delay_alu instid0(VALU_DEP_1) | instskip(NEXT) | instid1(VALU_DEP_1)
	v_lshl_or_b32 v17, v19, 2, v17
	v_and_or_b32 v63, v62, 3, v17
                                        ; implicit-def: $vgpr17
; %bb.4987:                             ;   in Loop: Header=BB4_4780 Depth=2
	s_and_not1_saveexec_b32 s7, s7
; %bb.4988:                             ;   in Loop: Header=BB4_4780 Depth=2
	v_mov_b32_e32 v63, v17
; %bb.4989:                             ;   in Loop: Header=BB4_4780 Depth=2
	s_or_b32 exec_lo, exec_lo, s7
.LBB4_4990:                             ;   in Loop: Header=BB4_4780 Depth=2
	s_delay_alu instid0(SALU_CYCLE_1)
	s_or_b32 exec_lo, exec_lo, s27
                                        ; implicit-def: $vgpr17
.LBB4_4991:                             ;   in Loop: Header=BB4_4780 Depth=2
	s_and_not1_saveexec_b32 s7, s26
; %bb.4992:                             ;   in Loop: Header=BB4_4780 Depth=2
	v_or_b32_e32 v63, 0x7b, v17
; %bb.4993:                             ;   in Loop: Header=BB4_4780 Depth=2
	s_or_b32 exec_lo, exec_lo, s7
                                        ; implicit-def: $vgpr19
.LBB4_4994:                             ;   in Loop: Header=BB4_4780 Depth=2
	s_and_not1_saveexec_b32 s7, s25
	s_cbranch_execz .LBB4_5000
; %bb.4995:                             ;   in Loop: Header=BB4_4780 Depth=2
	s_mov_b32 s25, exec_lo
                                        ; implicit-def: $vgpr63
	v_cmpx_ne_u64_e32 0, v[54:55]
	s_xor_b32 s25, exec_lo, s25
; %bb.4996:                             ;   in Loop: Header=BB4_4780 Depth=2
	v_lshrrev_b32_e32 v17, 24, v19
                                        ; implicit-def: $vgpr19
	s_delay_alu instid0(VALU_DEP_1)
	v_or_b32_e32 v63, 0x7f, v17
; %bb.4997:                             ;   in Loop: Header=BB4_4780 Depth=2
	s_and_not1_saveexec_b32 s25, s25
; %bb.4998:                             ;   in Loop: Header=BB4_4780 Depth=2
	v_cmp_lt_i32_e32 vcc_lo, -1, v19
	v_cndmask_b32_e64 v63, -4, 0x7c, vcc_lo
; %bb.4999:                             ;   in Loop: Header=BB4_4780 Depth=2
	s_or_b32 exec_lo, exec_lo, s25
.LBB4_5000:                             ;   in Loop: Header=BB4_4780 Depth=2
	s_delay_alu instid0(SALU_CYCLE_1)
	s_or_b32 exec_lo, exec_lo, s7
	v_dual_mov_b32 v17, 0 :: v_dual_mov_b32 v19, 0
	s_mov_b32 s7, exec_lo
	v_cmpx_ne_u16_e32 0, v60
	s_cbranch_execz .LBB4_5010
; %bb.5001:                             ;   in Loop: Header=BB4_4780 Depth=2
	v_bfrev_b32_e32 v19, 1
	s_mov_b32 s25, exec_lo
	v_cmpx_ne_u16_e32 0xff80, v60
	s_cbranch_execz .LBB4_5009
; %bb.5002:                             ;   in Loop: Header=BB4_4780 Depth=2
	v_and_b32_e32 v19, 0x7c, v60
	v_and_b32_e32 v21, 3, v60
	s_delay_alu instid0(VALU_DEP_2) | instskip(SKIP_1) | instid1(SALU_CYCLE_1)
	v_cmp_ne_u32_e32 vcc_lo, 0x7c, v19
                                        ; implicit-def: $vgpr19
	s_and_saveexec_b32 s26, vcc_lo
	s_xor_b32 s26, exec_lo, s26
	s_cbranch_execz .LBB4_5006
; %bb.5003:                             ;   in Loop: Header=BB4_4780 Depth=2
	v_and_b32_e32 v19, 0xff, v60
	s_mov_b32 s27, exec_lo
	s_delay_alu instid0(VALU_DEP_1) | instskip(NEXT) | instid1(VALU_DEP_1)
	v_bfe_u32 v19, v19, 2, 5
	v_cmpx_eq_u32_e32 0, v19
	s_cbranch_execz .LBB4_5005
; %bb.5004:                             ;   in Loop: Header=BB4_4780 Depth=2
	v_clz_i32_u32_e32 v19, v21
	s_delay_alu instid0(VALU_DEP_1) | instskip(SKIP_1) | instid1(VALU_DEP_2)
	v_min_u32_e32 v19, 32, v19
	v_mov_b32_e32 v61, v55
	v_subrev_nc_u32_e32 v21, 29, v19
	v_sub_nc_u32_e32 v19, 30, v19
	s_delay_alu instid0(VALU_DEP_2) | instskip(NEXT) | instid1(VALU_DEP_1)
	v_lshlrev_b64_e32 v[72:73], v21, v[60:61]
	v_and_b32_e32 v21, 3, v72
.LBB4_5005:                             ;   in Loop: Header=BB4_4780 Depth=2
	s_or_b32 exec_lo, exec_lo, s27
	v_bfe_i32 v23, v60, 0, 16
                                        ; implicit-def: $vgpr60
	s_delay_alu instid0(VALU_DEP_1) | instskip(NEXT) | instid1(VALU_DEP_1)
	v_and_b32_e32 v23, 0x80000000, v23
	v_lshl_add_u32 v19, v19, 23, v23
	s_delay_alu instid0(VALU_DEP_1) | instskip(NEXT) | instid1(VALU_DEP_1)
	v_lshl_or_b32 v19, v21, 21, v19
                                        ; implicit-def: $vgpr21
	v_add_nc_u32_e32 v19, 0x38000000, v19
.LBB4_5006:                             ;   in Loop: Header=BB4_4780 Depth=2
	s_and_not1_saveexec_b32 s26, s26
; %bb.5007:                             ;   in Loop: Header=BB4_4780 Depth=2
	v_cmp_lt_i16_e32 vcc_lo, -1, v60
	v_cndmask_b32_e32 v19, 0xff800000, v109, vcc_lo
	v_cmp_eq_u32_e32 vcc_lo, 0, v21
	s_delay_alu instid0(VALU_DEP_2)
	v_cndmask_b32_e32 v19, 0x7f800001, v19, vcc_lo
; %bb.5008:                             ;   in Loop: Header=BB4_4780 Depth=2
	s_or_b32 exec_lo, exec_lo, s26
.LBB4_5009:                             ;   in Loop: Header=BB4_4780 Depth=2
	s_delay_alu instid0(SALU_CYCLE_1)
	s_or_b32 exec_lo, exec_lo, s25
.LBB4_5010:                             ;   in Loop: Header=BB4_4780 Depth=2
	s_delay_alu instid0(SALU_CYCLE_1) | instskip(NEXT) | instid1(SALU_CYCLE_1)
	s_or_b32 exec_lo, exec_lo, s7
	s_mov_b32 s7, exec_lo
	s_wait_loadcnt_dscnt 0xa0a
	v_cmpx_ne_u16_e32 0, v58
	s_cbranch_execz .LBB4_5020
; %bb.5011:                             ;   in Loop: Header=BB4_4780 Depth=2
	v_bfrev_b32_e32 v17, 1
	s_mov_b32 s25, exec_lo
	v_cmpx_ne_u16_e32 0xff80, v58
	s_cbranch_execz .LBB4_5019
; %bb.5012:                             ;   in Loop: Header=BB4_4780 Depth=2
	v_and_b32_e32 v17, 0x7c, v58
	v_and_b32_e32 v21, 3, v58
	s_delay_alu instid0(VALU_DEP_2) | instskip(SKIP_1) | instid1(SALU_CYCLE_1)
	v_cmp_ne_u32_e32 vcc_lo, 0x7c, v17
                                        ; implicit-def: $vgpr17
	s_and_saveexec_b32 s26, vcc_lo
	s_xor_b32 s26, exec_lo, s26
	s_cbranch_execz .LBB4_5016
; %bb.5013:                             ;   in Loop: Header=BB4_4780 Depth=2
	v_and_b32_e32 v17, 0xff, v58
	s_mov_b32 s27, exec_lo
	s_delay_alu instid0(VALU_DEP_1) | instskip(NEXT) | instid1(VALU_DEP_1)
	v_bfe_u32 v17, v17, 2, 5
	v_cmpx_eq_u32_e32 0, v17
	s_cbranch_execz .LBB4_5015
; %bb.5014:                             ;   in Loop: Header=BB4_4780 Depth=2
	v_clz_i32_u32_e32 v17, v21
	s_delay_alu instid0(VALU_DEP_1) | instskip(SKIP_1) | instid1(VALU_DEP_2)
	v_min_u32_e32 v17, 32, v17
	v_mov_b32_e32 v59, v55
	v_subrev_nc_u32_e32 v21, 29, v17
	v_sub_nc_u32_e32 v17, 30, v17
	s_delay_alu instid0(VALU_DEP_2) | instskip(NEXT) | instid1(VALU_DEP_1)
	v_lshlrev_b64_e32 v[60:61], v21, v[58:59]
	v_and_b32_e32 v21, 3, v60
.LBB4_5015:                             ;   in Loop: Header=BB4_4780 Depth=2
	s_or_b32 exec_lo, exec_lo, s27
	v_bfe_i32 v23, v58, 0, 16
                                        ; implicit-def: $vgpr58
	s_delay_alu instid0(VALU_DEP_1) | instskip(NEXT) | instid1(VALU_DEP_1)
	v_and_b32_e32 v23, 0x80000000, v23
	v_lshl_add_u32 v17, v17, 23, v23
	s_delay_alu instid0(VALU_DEP_1) | instskip(NEXT) | instid1(VALU_DEP_1)
	v_lshl_or_b32 v17, v21, 21, v17
                                        ; implicit-def: $vgpr21
	v_add_nc_u32_e32 v17, 0x38000000, v17
.LBB4_5016:                             ;   in Loop: Header=BB4_4780 Depth=2
	s_and_not1_saveexec_b32 s26, s26
; %bb.5017:                             ;   in Loop: Header=BB4_4780 Depth=2
	v_cmp_lt_i16_e32 vcc_lo, -1, v58
	v_cndmask_b32_e32 v17, 0xff800000, v109, vcc_lo
	v_cmp_eq_u32_e32 vcc_lo, 0, v21
	s_delay_alu instid0(VALU_DEP_2)
	v_cndmask_b32_e32 v17, 0x7f800001, v17, vcc_lo
; %bb.5018:                             ;   in Loop: Header=BB4_4780 Depth=2
	s_or_b32 exec_lo, exec_lo, s26
.LBB4_5019:                             ;   in Loop: Header=BB4_4780 Depth=2
	s_delay_alu instid0(SALU_CYCLE_1)
	s_or_b32 exec_lo, exec_lo, s25
.LBB4_5020:                             ;   in Loop: Header=BB4_4780 Depth=2
	s_delay_alu instid0(SALU_CYCLE_1) | instskip(NEXT) | instid1(VALU_DEP_1)
	s_or_b32 exec_lo, exec_lo, s7
	v_mul_f32_e32 v19, v19, v17
	v_mov_b32_e32 v59, v55
	s_delay_alu instid0(VALU_DEP_2) | instskip(SKIP_1) | instid1(VALU_DEP_2)
	v_and_b32_e32 v58, 0x7f800000, v19
	v_and_b32_e32 v54, 0x7fffff, v19
	v_cmp_ne_u64_e32 vcc_lo, 0x7f800000, v[58:59]
                                        ; implicit-def: $vgpr59
	s_and_saveexec_b32 s7, vcc_lo
	s_delay_alu instid0(SALU_CYCLE_1)
	s_xor_b32 s25, exec_lo, s7
	s_cbranch_execz .LBB4_5038
; %bb.5021:                             ;   in Loop: Header=BB4_4780 Depth=2
	v_and_b32_e32 v58, 0x7fffffff, v19
	v_dual_mov_b32 v59, v55 :: v_dual_lshrrev_b32 v17, 24, v19
	s_delay_alu instid0(VALU_DEP_1) | instskip(NEXT) | instid1(VALU_DEP_2)
	v_cmp_gt_u64_e32 vcc_lo, 0x47600001, v[58:59]
	v_and_b32_e32 v17, 0x80, v17
                                        ; implicit-def: $vgpr59
	s_and_saveexec_b32 s7, vcc_lo
	s_delay_alu instid0(SALU_CYCLE_1)
	s_xor_b32 s26, exec_lo, s7
	s_cbranch_execz .LBB4_5035
; %bb.5022:                             ;   in Loop: Header=BB4_4780 Depth=2
	v_mov_b32_e32 v59, 0
	s_mov_b32 s27, exec_lo
	v_cmpx_ne_u32_e32 0, v19
	s_cbranch_execz .LBB4_5034
; %bb.5023:                             ;   in Loop: Header=BB4_4780 Depth=2
	v_bfe_u32 v19, v19, 23, 8
	v_or_b32_e32 v25, 0x800000, v54
	s_delay_alu instid0(VALU_DEP_2) | instskip(SKIP_1) | instid1(VALU_DEP_2)
	v_sub_nc_u32_e32 v21, 0x71, v19
	v_cmp_gt_u32_e32 vcc_lo, 0x72, v19
	v_cndmask_b32_e32 v21, 0, v21, vcc_lo
	v_cmp_eq_u32_e32 vcc_lo, 0, v19
	s_delay_alu instid0(VALU_DEP_2) | instskip(NEXT) | instid1(VALU_DEP_1)
	v_cndmask_b32_e64 v21, v21, 0x70, vcc_lo
	v_dual_cndmask_b32 v54, v25, v54 :: v_dual_add_nc_u32 v23, 21, v21
	s_delay_alu instid0(VALU_DEP_1) | instskip(SKIP_1) | instid1(VALU_DEP_1)
	v_lshlrev_b64_e64 v[58:59], v23, -1
	v_add_nc_u32_e32 v23, 20, v21
	v_lshlrev_b64_e64 v[60:61], v23, 1
	s_delay_alu instid0(VALU_DEP_3) | instskip(NEXT) | instid1(VALU_DEP_4)
	v_bfi_b32 v73, v59, 0, 0
	v_bfi_b32 v72, v58, 0, v54
	v_lshrrev_b64 v[58:59], v21, v[54:55]
	s_delay_alu instid0(VALU_DEP_2) | instskip(NEXT) | instid1(VALU_DEP_2)
	v_cmp_eq_u64_e64 s7, v[72:73], v[60:61]
	v_mov_b64_e32 v[60:61], v[58:59]
	s_and_saveexec_b32 s28, s7
; %bb.5024:                             ;   in Loop: Header=BB4_4780 Depth=2
	v_bfe_u32 v54, v58, 21, 1
	s_delay_alu instid0(VALU_DEP_1) | instskip(NEXT) | instid1(VALU_DEP_1)
	v_add_nc_u64_e32 v[60:61], v[58:59], v[54:55]
	v_add_nc_u64_e32 v[60:61], -1, v[60:61]
; %bb.5025:                             ;   in Loop: Header=BB4_4780 Depth=2
	s_or_b32 exec_lo, exec_lo, s28
	v_add_nc_u32_e32 v19, 0xffffff81, v19
	v_lshrrev_b32_e32 v23, 23, v58
	s_mov_b32 s7, exec_lo
	s_delay_alu instid0(VALU_DEP_2) | instskip(NEXT) | instid1(VALU_DEP_1)
	v_cndmask_b32_e64 v19, v19, 0xffffff82, vcc_lo
	v_add3_u32 v21, v21, v19, v23
	v_and_b32_e32 v19, 0x1fffff, v60
	s_delay_alu instid0(VALU_DEP_1) | instskip(NEXT) | instid1(VALU_DEP_1)
	v_dual_add_nc_u32 v23, 14, v21 :: v_dual_add_nc_u32 v54, v19, v58
                                        ; implicit-def: $vgpr58_vgpr59
                                        ; implicit-def: $vgpr19
	v_cmpx_ne_u32_e32 0, v23
	s_xor_b32 s7, exec_lo, s7
; %bb.5026:                             ;   in Loop: Header=BB4_4780 Depth=2
	s_delay_alu instid0(VALU_DEP_2) | instskip(SKIP_2) | instid1(VALU_DEP_2)
	v_cmp_lt_u64_e32 vcc_lo, 0xffffff, v[54:55]
	v_add_nc_u32_e32 v19, 15, v21
	v_cndmask_b32_e64 v21, 0, 1, vcc_lo
	v_cndmask_b32_e32 v19, v23, v19, vcc_lo
	s_delay_alu instid0(VALU_DEP_2)
	v_lshrrev_b64 v[58:59], v21, v[54:55]
; %bb.5027:                             ;   in Loop: Header=BB4_4780 Depth=2
	s_and_not1_saveexec_b32 s7, s7
; %bb.5028:                             ;   in Loop: Header=BB4_4780 Depth=2
	v_mov_b64_e32 v[58:59], v[54:55]
	v_bfe_u32 v19, v54, 23, 1
; %bb.5029:                             ;   in Loop: Header=BB4_4780 Depth=2
	s_or_b32 exec_lo, exec_lo, s7
	s_delay_alu instid0(VALU_DEP_2) | instskip(NEXT) | instid1(VALU_DEP_2)
	v_lshrrev_b64 v[58:59], 21, v[58:59]
	v_cmp_gt_i32_e32 vcc_lo, 32, v19
	v_cmp_ne_u32_e64 s7, 0, v19
	s_delay_alu instid0(VALU_DEP_3) | instskip(NEXT) | instid1(VALU_DEP_1)
	v_dual_cndmask_b32 v59, 0, v59 :: v_dual_cndmask_b32 v58, 3, v58
	v_cmp_ne_u64_e32 vcc_lo, 0, v[58:59]
                                        ; implicit-def: $vgpr59
	s_or_b32 s7, s7, vcc_lo
	s_delay_alu instid0(SALU_CYCLE_1) | instskip(NEXT) | instid1(SALU_CYCLE_1)
	s_and_saveexec_b32 s28, s7
	s_xor_b32 s7, exec_lo, s28
; %bb.5030:                             ;   in Loop: Header=BB4_4780 Depth=2
	v_min_i32_e32 v19, 31, v19
	s_delay_alu instid0(VALU_DEP_1) | instskip(NEXT) | instid1(VALU_DEP_1)
	v_lshl_or_b32 v17, v19, 2, v17
	v_and_or_b32 v59, v58, 3, v17
                                        ; implicit-def: $vgpr17
; %bb.5031:                             ;   in Loop: Header=BB4_4780 Depth=2
	s_and_not1_saveexec_b32 s7, s7
; %bb.5032:                             ;   in Loop: Header=BB4_4780 Depth=2
	v_mov_b32_e32 v59, v17
; %bb.5033:                             ;   in Loop: Header=BB4_4780 Depth=2
	s_or_b32 exec_lo, exec_lo, s7
.LBB4_5034:                             ;   in Loop: Header=BB4_4780 Depth=2
	s_delay_alu instid0(SALU_CYCLE_1)
	s_or_b32 exec_lo, exec_lo, s27
                                        ; implicit-def: $vgpr17
.LBB4_5035:                             ;   in Loop: Header=BB4_4780 Depth=2
	s_and_not1_saveexec_b32 s7, s26
; %bb.5036:                             ;   in Loop: Header=BB4_4780 Depth=2
	v_or_b32_e32 v59, 0x7b, v17
; %bb.5037:                             ;   in Loop: Header=BB4_4780 Depth=2
	s_or_b32 exec_lo, exec_lo, s7
                                        ; implicit-def: $vgpr19
.LBB4_5038:                             ;   in Loop: Header=BB4_4780 Depth=2
	s_and_not1_saveexec_b32 s7, s25
	s_cbranch_execz .LBB4_5044
; %bb.5039:                             ;   in Loop: Header=BB4_4780 Depth=2
	s_mov_b32 s25, exec_lo
                                        ; implicit-def: $vgpr59
	v_cmpx_ne_u64_e32 0, v[54:55]
	s_xor_b32 s25, exec_lo, s25
; %bb.5040:                             ;   in Loop: Header=BB4_4780 Depth=2
	v_lshrrev_b32_e32 v17, 24, v19
                                        ; implicit-def: $vgpr19
	s_delay_alu instid0(VALU_DEP_1)
	v_or_b32_e32 v59, 0x7f, v17
; %bb.5041:                             ;   in Loop: Header=BB4_4780 Depth=2
	s_and_not1_saveexec_b32 s25, s25
; %bb.5042:                             ;   in Loop: Header=BB4_4780 Depth=2
	v_cmp_lt_i32_e32 vcc_lo, -1, v19
	v_cndmask_b32_e64 v59, -4, 0x7c, vcc_lo
; %bb.5043:                             ;   in Loop: Header=BB4_4780 Depth=2
	s_or_b32 exec_lo, exec_lo, s25
.LBB4_5044:                             ;   in Loop: Header=BB4_4780 Depth=2
	s_delay_alu instid0(SALU_CYCLE_1)
	s_or_b32 exec_lo, exec_lo, s7
	v_dual_mov_b32 v17, 0 :: v_dual_mov_b32 v19, 0
	s_mov_b32 s7, exec_lo
	v_cmpx_ne_u16_e32 0, v56
	s_cbranch_execz .LBB4_5054
; %bb.5045:                             ;   in Loop: Header=BB4_4780 Depth=2
	v_bfrev_b32_e32 v19, 1
	s_mov_b32 s25, exec_lo
	v_cmpx_ne_u16_e32 0xff80, v56
	s_cbranch_execz .LBB4_5053
; %bb.5046:                             ;   in Loop: Header=BB4_4780 Depth=2
	v_and_b32_e32 v19, 0x7c, v56
	v_and_b32_e32 v21, 3, v56
	s_delay_alu instid0(VALU_DEP_2) | instskip(SKIP_1) | instid1(SALU_CYCLE_1)
	v_cmp_ne_u32_e32 vcc_lo, 0x7c, v19
                                        ; implicit-def: $vgpr19
	s_and_saveexec_b32 s26, vcc_lo
	s_xor_b32 s26, exec_lo, s26
	s_cbranch_execz .LBB4_5050
; %bb.5047:                             ;   in Loop: Header=BB4_4780 Depth=2
	v_and_b32_e32 v19, 0xff, v56
	s_mov_b32 s27, exec_lo
	s_delay_alu instid0(VALU_DEP_1) | instskip(NEXT) | instid1(VALU_DEP_1)
	v_bfe_u32 v19, v19, 2, 5
	v_cmpx_eq_u32_e32 0, v19
	s_cbranch_execz .LBB4_5049
; %bb.5048:                             ;   in Loop: Header=BB4_4780 Depth=2
	v_clz_i32_u32_e32 v19, v21
	s_delay_alu instid0(VALU_DEP_1) | instskip(SKIP_1) | instid1(VALU_DEP_2)
	v_min_u32_e32 v19, 32, v19
	v_mov_b32_e32 v57, v55
	v_subrev_nc_u32_e32 v21, 29, v19
	v_sub_nc_u32_e32 v19, 30, v19
	s_delay_alu instid0(VALU_DEP_2) | instskip(NEXT) | instid1(VALU_DEP_1)
	v_lshlrev_b64_e32 v[60:61], v21, v[56:57]
	v_and_b32_e32 v21, 3, v60
.LBB4_5049:                             ;   in Loop: Header=BB4_4780 Depth=2
	s_or_b32 exec_lo, exec_lo, s27
	v_bfe_i32 v23, v56, 0, 16
                                        ; implicit-def: $vgpr56
	s_delay_alu instid0(VALU_DEP_1) | instskip(NEXT) | instid1(VALU_DEP_1)
	v_and_b32_e32 v23, 0x80000000, v23
	v_lshl_add_u32 v19, v19, 23, v23
	s_delay_alu instid0(VALU_DEP_1) | instskip(NEXT) | instid1(VALU_DEP_1)
	v_lshl_or_b32 v19, v21, 21, v19
                                        ; implicit-def: $vgpr21
	v_add_nc_u32_e32 v19, 0x38000000, v19
.LBB4_5050:                             ;   in Loop: Header=BB4_4780 Depth=2
	s_and_not1_saveexec_b32 s26, s26
; %bb.5051:                             ;   in Loop: Header=BB4_4780 Depth=2
	v_cmp_lt_i16_e32 vcc_lo, -1, v56
	v_cndmask_b32_e32 v19, 0xff800000, v109, vcc_lo
	v_cmp_eq_u32_e32 vcc_lo, 0, v21
	s_delay_alu instid0(VALU_DEP_2)
	v_cndmask_b32_e32 v19, 0x7f800001, v19, vcc_lo
; %bb.5052:                             ;   in Loop: Header=BB4_4780 Depth=2
	s_or_b32 exec_lo, exec_lo, s26
.LBB4_5053:                             ;   in Loop: Header=BB4_4780 Depth=2
	s_delay_alu instid0(SALU_CYCLE_1)
	s_or_b32 exec_lo, exec_lo, s25
.LBB4_5054:                             ;   in Loop: Header=BB4_4780 Depth=2
	s_delay_alu instid0(SALU_CYCLE_1) | instskip(NEXT) | instid1(SALU_CYCLE_1)
	s_or_b32 exec_lo, exec_lo, s7
	s_mov_b32 s7, exec_lo
	s_wait_loadcnt_dscnt 0x909
	v_cmpx_ne_u16_e32 0, v46
	s_cbranch_execz .LBB4_5064
; %bb.5055:                             ;   in Loop: Header=BB4_4780 Depth=2
	v_bfrev_b32_e32 v17, 1
	s_mov_b32 s25, exec_lo
	v_cmpx_ne_u16_e32 0xff80, v46
	s_cbranch_execz .LBB4_5063
; %bb.5056:                             ;   in Loop: Header=BB4_4780 Depth=2
	v_and_b32_e32 v17, 0x7c, v46
	v_and_b32_e32 v21, 3, v46
	s_delay_alu instid0(VALU_DEP_2) | instskip(SKIP_1) | instid1(SALU_CYCLE_1)
	v_cmp_ne_u32_e32 vcc_lo, 0x7c, v17
                                        ; implicit-def: $vgpr17
	s_and_saveexec_b32 s26, vcc_lo
	s_xor_b32 s26, exec_lo, s26
	s_cbranch_execz .LBB4_5060
; %bb.5057:                             ;   in Loop: Header=BB4_4780 Depth=2
	v_and_b32_e32 v17, 0xff, v46
	s_mov_b32 s27, exec_lo
	s_delay_alu instid0(VALU_DEP_1) | instskip(NEXT) | instid1(VALU_DEP_1)
	v_bfe_u32 v17, v17, 2, 5
	v_cmpx_eq_u32_e32 0, v17
	s_cbranch_execz .LBB4_5059
; %bb.5058:                             ;   in Loop: Header=BB4_4780 Depth=2
	v_clz_i32_u32_e32 v17, v21
	s_delay_alu instid0(VALU_DEP_1) | instskip(SKIP_1) | instid1(VALU_DEP_2)
	v_min_u32_e32 v17, 32, v17
	v_mov_b32_e32 v47, v55
	v_subrev_nc_u32_e32 v21, 29, v17
	v_sub_nc_u32_e32 v17, 30, v17
	s_delay_alu instid0(VALU_DEP_2) | instskip(NEXT) | instid1(VALU_DEP_1)
	v_lshlrev_b64_e32 v[56:57], v21, v[46:47]
	v_and_b32_e32 v21, 3, v56
.LBB4_5059:                             ;   in Loop: Header=BB4_4780 Depth=2
	s_or_b32 exec_lo, exec_lo, s27
	v_bfe_i32 v23, v46, 0, 16
                                        ; implicit-def: $vgpr46
	s_delay_alu instid0(VALU_DEP_1) | instskip(NEXT) | instid1(VALU_DEP_1)
	v_and_b32_e32 v23, 0x80000000, v23
	v_lshl_add_u32 v17, v17, 23, v23
	s_delay_alu instid0(VALU_DEP_1) | instskip(NEXT) | instid1(VALU_DEP_1)
	v_lshl_or_b32 v17, v21, 21, v17
                                        ; implicit-def: $vgpr21
	v_add_nc_u32_e32 v17, 0x38000000, v17
.LBB4_5060:                             ;   in Loop: Header=BB4_4780 Depth=2
	s_and_not1_saveexec_b32 s26, s26
; %bb.5061:                             ;   in Loop: Header=BB4_4780 Depth=2
	v_cmp_lt_i16_e32 vcc_lo, -1, v46
	v_cndmask_b32_e32 v17, 0xff800000, v109, vcc_lo
	v_cmp_eq_u32_e32 vcc_lo, 0, v21
	s_delay_alu instid0(VALU_DEP_2)
	v_cndmask_b32_e32 v17, 0x7f800001, v17, vcc_lo
; %bb.5062:                             ;   in Loop: Header=BB4_4780 Depth=2
	s_or_b32 exec_lo, exec_lo, s26
.LBB4_5063:                             ;   in Loop: Header=BB4_4780 Depth=2
	s_delay_alu instid0(SALU_CYCLE_1)
	s_or_b32 exec_lo, exec_lo, s25
.LBB4_5064:                             ;   in Loop: Header=BB4_4780 Depth=2
	s_delay_alu instid0(SALU_CYCLE_1) | instskip(NEXT) | instid1(VALU_DEP_1)
	s_or_b32 exec_lo, exec_lo, s7
	v_mul_f32_e32 v19, v19, v17
	v_mov_b32_e32 v47, v55
	s_delay_alu instid0(VALU_DEP_2) | instskip(SKIP_1) | instid1(VALU_DEP_2)
	v_and_b32_e32 v46, 0x7f800000, v19
	v_and_b32_e32 v54, 0x7fffff, v19
	v_cmp_ne_u64_e32 vcc_lo, 0x7f800000, v[46:47]
                                        ; implicit-def: $vgpr47
	s_and_saveexec_b32 s7, vcc_lo
	s_delay_alu instid0(SALU_CYCLE_1)
	s_xor_b32 s25, exec_lo, s7
	s_cbranch_execz .LBB4_5082
; %bb.5065:                             ;   in Loop: Header=BB4_4780 Depth=2
	v_and_b32_e32 v46, 0x7fffffff, v19
	v_dual_mov_b32 v47, v55 :: v_dual_lshrrev_b32 v17, 24, v19
	s_delay_alu instid0(VALU_DEP_1) | instskip(NEXT) | instid1(VALU_DEP_2)
	v_cmp_gt_u64_e32 vcc_lo, 0x47600001, v[46:47]
	v_and_b32_e32 v17, 0x80, v17
                                        ; implicit-def: $vgpr47
	s_and_saveexec_b32 s7, vcc_lo
	s_delay_alu instid0(SALU_CYCLE_1)
	s_xor_b32 s26, exec_lo, s7
	s_cbranch_execz .LBB4_5079
; %bb.5066:                             ;   in Loop: Header=BB4_4780 Depth=2
	v_mov_b32_e32 v47, 0
	s_mov_b32 s27, exec_lo
	v_cmpx_ne_u32_e32 0, v19
	s_cbranch_execz .LBB4_5078
; %bb.5067:                             ;   in Loop: Header=BB4_4780 Depth=2
	v_bfe_u32 v19, v19, 23, 8
	v_or_b32_e32 v25, 0x800000, v54
	s_delay_alu instid0(VALU_DEP_2) | instskip(SKIP_1) | instid1(VALU_DEP_2)
	v_sub_nc_u32_e32 v21, 0x71, v19
	v_cmp_gt_u32_e32 vcc_lo, 0x72, v19
	v_cndmask_b32_e32 v21, 0, v21, vcc_lo
	v_cmp_eq_u32_e32 vcc_lo, 0, v19
	s_delay_alu instid0(VALU_DEP_2) | instskip(NEXT) | instid1(VALU_DEP_1)
	v_cndmask_b32_e64 v21, v21, 0x70, vcc_lo
	v_dual_cndmask_b32 v54, v25, v54 :: v_dual_add_nc_u32 v23, 21, v21
	s_delay_alu instid0(VALU_DEP_1) | instskip(SKIP_1) | instid1(VALU_DEP_1)
	v_lshlrev_b64_e64 v[46:47], v23, -1
	v_add_nc_u32_e32 v23, 20, v21
	v_lshlrev_b64_e64 v[56:57], v23, 1
	s_delay_alu instid0(VALU_DEP_3) | instskip(NEXT) | instid1(VALU_DEP_4)
	v_bfi_b32 v61, v47, 0, 0
	v_bfi_b32 v60, v46, 0, v54
	v_lshrrev_b64 v[46:47], v21, v[54:55]
	s_delay_alu instid0(VALU_DEP_2) | instskip(NEXT) | instid1(VALU_DEP_2)
	v_cmp_eq_u64_e64 s7, v[60:61], v[56:57]
	v_mov_b64_e32 v[56:57], v[46:47]
	s_and_saveexec_b32 s28, s7
; %bb.5068:                             ;   in Loop: Header=BB4_4780 Depth=2
	v_bfe_u32 v54, v46, 21, 1
	s_delay_alu instid0(VALU_DEP_1) | instskip(NEXT) | instid1(VALU_DEP_1)
	v_add_nc_u64_e32 v[56:57], v[46:47], v[54:55]
	v_add_nc_u64_e32 v[56:57], -1, v[56:57]
; %bb.5069:                             ;   in Loop: Header=BB4_4780 Depth=2
	s_or_b32 exec_lo, exec_lo, s28
	v_add_nc_u32_e32 v19, 0xffffff81, v19
	v_lshrrev_b32_e32 v23, 23, v46
	s_mov_b32 s7, exec_lo
	s_delay_alu instid0(VALU_DEP_2) | instskip(NEXT) | instid1(VALU_DEP_1)
	v_cndmask_b32_e64 v19, v19, 0xffffff82, vcc_lo
	v_add3_u32 v21, v21, v19, v23
	v_and_b32_e32 v19, 0x1fffff, v56
	s_delay_alu instid0(VALU_DEP_1) | instskip(NEXT) | instid1(VALU_DEP_1)
	v_dual_add_nc_u32 v23, 14, v21 :: v_dual_add_nc_u32 v54, v19, v46
                                        ; implicit-def: $vgpr46_vgpr47
                                        ; implicit-def: $vgpr19
	v_cmpx_ne_u32_e32 0, v23
	s_xor_b32 s7, exec_lo, s7
; %bb.5070:                             ;   in Loop: Header=BB4_4780 Depth=2
	s_delay_alu instid0(VALU_DEP_2) | instskip(SKIP_2) | instid1(VALU_DEP_2)
	v_cmp_lt_u64_e32 vcc_lo, 0xffffff, v[54:55]
	v_add_nc_u32_e32 v19, 15, v21
	v_cndmask_b32_e64 v21, 0, 1, vcc_lo
	v_cndmask_b32_e32 v19, v23, v19, vcc_lo
	s_delay_alu instid0(VALU_DEP_2)
	v_lshrrev_b64 v[46:47], v21, v[54:55]
; %bb.5071:                             ;   in Loop: Header=BB4_4780 Depth=2
	s_and_not1_saveexec_b32 s7, s7
; %bb.5072:                             ;   in Loop: Header=BB4_4780 Depth=2
	v_mov_b64_e32 v[46:47], v[54:55]
	v_bfe_u32 v19, v54, 23, 1
; %bb.5073:                             ;   in Loop: Header=BB4_4780 Depth=2
	s_or_b32 exec_lo, exec_lo, s7
	s_delay_alu instid0(VALU_DEP_2) | instskip(NEXT) | instid1(VALU_DEP_2)
	v_lshrrev_b64 v[46:47], 21, v[46:47]
	v_cmp_gt_i32_e32 vcc_lo, 32, v19
	v_cmp_ne_u32_e64 s7, 0, v19
	s_delay_alu instid0(VALU_DEP_3) | instskip(NEXT) | instid1(VALU_DEP_1)
	v_dual_cndmask_b32 v47, 0, v47 :: v_dual_cndmask_b32 v46, 3, v46
	v_cmp_ne_u64_e32 vcc_lo, 0, v[46:47]
                                        ; implicit-def: $vgpr47
	s_or_b32 s7, s7, vcc_lo
	s_delay_alu instid0(SALU_CYCLE_1) | instskip(NEXT) | instid1(SALU_CYCLE_1)
	s_and_saveexec_b32 s28, s7
	s_xor_b32 s7, exec_lo, s28
; %bb.5074:                             ;   in Loop: Header=BB4_4780 Depth=2
	v_min_i32_e32 v19, 31, v19
	s_delay_alu instid0(VALU_DEP_1) | instskip(NEXT) | instid1(VALU_DEP_1)
	v_lshl_or_b32 v17, v19, 2, v17
	v_and_or_b32 v47, v46, 3, v17
                                        ; implicit-def: $vgpr17
; %bb.5075:                             ;   in Loop: Header=BB4_4780 Depth=2
	s_and_not1_saveexec_b32 s7, s7
; %bb.5076:                             ;   in Loop: Header=BB4_4780 Depth=2
	v_mov_b32_e32 v47, v17
; %bb.5077:                             ;   in Loop: Header=BB4_4780 Depth=2
	s_or_b32 exec_lo, exec_lo, s7
.LBB4_5078:                             ;   in Loop: Header=BB4_4780 Depth=2
	s_delay_alu instid0(SALU_CYCLE_1)
	s_or_b32 exec_lo, exec_lo, s27
                                        ; implicit-def: $vgpr17
.LBB4_5079:                             ;   in Loop: Header=BB4_4780 Depth=2
	s_and_not1_saveexec_b32 s7, s26
; %bb.5080:                             ;   in Loop: Header=BB4_4780 Depth=2
	v_or_b32_e32 v47, 0x7b, v17
; %bb.5081:                             ;   in Loop: Header=BB4_4780 Depth=2
	s_or_b32 exec_lo, exec_lo, s7
                                        ; implicit-def: $vgpr19
.LBB4_5082:                             ;   in Loop: Header=BB4_4780 Depth=2
	s_and_not1_saveexec_b32 s7, s25
	s_cbranch_execz .LBB4_5088
; %bb.5083:                             ;   in Loop: Header=BB4_4780 Depth=2
	s_mov_b32 s25, exec_lo
                                        ; implicit-def: $vgpr47
	v_cmpx_ne_u64_e32 0, v[54:55]
	s_xor_b32 s25, exec_lo, s25
; %bb.5084:                             ;   in Loop: Header=BB4_4780 Depth=2
	v_lshrrev_b32_e32 v17, 24, v19
                                        ; implicit-def: $vgpr19
	s_delay_alu instid0(VALU_DEP_1)
	v_or_b32_e32 v47, 0x7f, v17
; %bb.5085:                             ;   in Loop: Header=BB4_4780 Depth=2
	s_and_not1_saveexec_b32 s25, s25
; %bb.5086:                             ;   in Loop: Header=BB4_4780 Depth=2
	v_cmp_lt_i32_e32 vcc_lo, -1, v19
	v_cndmask_b32_e64 v47, -4, 0x7c, vcc_lo
; %bb.5087:                             ;   in Loop: Header=BB4_4780 Depth=2
	s_or_b32 exec_lo, exec_lo, s25
.LBB4_5088:                             ;   in Loop: Header=BB4_4780 Depth=2
	s_delay_alu instid0(SALU_CYCLE_1)
	s_or_b32 exec_lo, exec_lo, s7
	v_dual_mov_b32 v17, 0 :: v_dual_mov_b32 v19, 0
	s_mov_b32 s7, exec_lo
	v_cmpx_ne_u16_e32 0, v44
	s_cbranch_execz .LBB4_5098
; %bb.5089:                             ;   in Loop: Header=BB4_4780 Depth=2
	v_bfrev_b32_e32 v19, 1
	s_mov_b32 s25, exec_lo
	v_cmpx_ne_u16_e32 0xff80, v44
	s_cbranch_execz .LBB4_5097
; %bb.5090:                             ;   in Loop: Header=BB4_4780 Depth=2
	v_and_b32_e32 v19, 0x7c, v44
	v_and_b32_e32 v21, 3, v44
	s_delay_alu instid0(VALU_DEP_2) | instskip(SKIP_1) | instid1(SALU_CYCLE_1)
	v_cmp_ne_u32_e32 vcc_lo, 0x7c, v19
                                        ; implicit-def: $vgpr19
	s_and_saveexec_b32 s26, vcc_lo
	s_xor_b32 s26, exec_lo, s26
	s_cbranch_execz .LBB4_5094
; %bb.5091:                             ;   in Loop: Header=BB4_4780 Depth=2
	v_and_b32_e32 v19, 0xff, v44
	s_mov_b32 s27, exec_lo
	s_delay_alu instid0(VALU_DEP_1) | instskip(NEXT) | instid1(VALU_DEP_1)
	v_bfe_u32 v19, v19, 2, 5
	v_cmpx_eq_u32_e32 0, v19
	s_cbranch_execz .LBB4_5093
; %bb.5092:                             ;   in Loop: Header=BB4_4780 Depth=2
	v_clz_i32_u32_e32 v19, v21
	s_delay_alu instid0(VALU_DEP_1) | instskip(SKIP_1) | instid1(VALU_DEP_2)
	v_min_u32_e32 v19, 32, v19
	v_mov_b32_e32 v45, v55
	v_subrev_nc_u32_e32 v21, 29, v19
	v_sub_nc_u32_e32 v19, 30, v19
	s_delay_alu instid0(VALU_DEP_2) | instskip(NEXT) | instid1(VALU_DEP_1)
	v_lshlrev_b64_e32 v[56:57], v21, v[44:45]
	v_and_b32_e32 v21, 3, v56
.LBB4_5093:                             ;   in Loop: Header=BB4_4780 Depth=2
	s_or_b32 exec_lo, exec_lo, s27
	v_bfe_i32 v23, v44, 0, 16
                                        ; implicit-def: $vgpr44
	s_delay_alu instid0(VALU_DEP_1) | instskip(NEXT) | instid1(VALU_DEP_1)
	v_and_b32_e32 v23, 0x80000000, v23
	v_lshl_add_u32 v19, v19, 23, v23
	s_delay_alu instid0(VALU_DEP_1) | instskip(NEXT) | instid1(VALU_DEP_1)
	v_lshl_or_b32 v19, v21, 21, v19
                                        ; implicit-def: $vgpr21
	v_add_nc_u32_e32 v19, 0x38000000, v19
.LBB4_5094:                             ;   in Loop: Header=BB4_4780 Depth=2
	s_and_not1_saveexec_b32 s26, s26
; %bb.5095:                             ;   in Loop: Header=BB4_4780 Depth=2
	v_cmp_lt_i16_e32 vcc_lo, -1, v44
	v_cndmask_b32_e32 v19, 0xff800000, v109, vcc_lo
	v_cmp_eq_u32_e32 vcc_lo, 0, v21
	s_delay_alu instid0(VALU_DEP_2)
	v_cndmask_b32_e32 v19, 0x7f800001, v19, vcc_lo
; %bb.5096:                             ;   in Loop: Header=BB4_4780 Depth=2
	s_or_b32 exec_lo, exec_lo, s26
.LBB4_5097:                             ;   in Loop: Header=BB4_4780 Depth=2
	s_delay_alu instid0(SALU_CYCLE_1)
	s_or_b32 exec_lo, exec_lo, s25
.LBB4_5098:                             ;   in Loop: Header=BB4_4780 Depth=2
	s_delay_alu instid0(SALU_CYCLE_1) | instskip(NEXT) | instid1(SALU_CYCLE_1)
	s_or_b32 exec_lo, exec_lo, s7
	s_mov_b32 s7, exec_lo
	s_wait_loadcnt_dscnt 0x808
	v_cmpx_ne_u16_e32 0, v42
	s_cbranch_execz .LBB4_5108
; %bb.5099:                             ;   in Loop: Header=BB4_4780 Depth=2
	v_bfrev_b32_e32 v17, 1
	s_mov_b32 s25, exec_lo
	v_cmpx_ne_u16_e32 0xff80, v42
	s_cbranch_execz .LBB4_5107
; %bb.5100:                             ;   in Loop: Header=BB4_4780 Depth=2
	v_and_b32_e32 v17, 0x7c, v42
	v_and_b32_e32 v21, 3, v42
	s_delay_alu instid0(VALU_DEP_2) | instskip(SKIP_1) | instid1(SALU_CYCLE_1)
	v_cmp_ne_u32_e32 vcc_lo, 0x7c, v17
                                        ; implicit-def: $vgpr17
	s_and_saveexec_b32 s26, vcc_lo
	s_xor_b32 s26, exec_lo, s26
	s_cbranch_execz .LBB4_5104
; %bb.5101:                             ;   in Loop: Header=BB4_4780 Depth=2
	v_and_b32_e32 v17, 0xff, v42
	s_mov_b32 s27, exec_lo
	s_delay_alu instid0(VALU_DEP_1) | instskip(NEXT) | instid1(VALU_DEP_1)
	v_bfe_u32 v17, v17, 2, 5
	v_cmpx_eq_u32_e32 0, v17
	s_cbranch_execz .LBB4_5103
; %bb.5102:                             ;   in Loop: Header=BB4_4780 Depth=2
	v_clz_i32_u32_e32 v17, v21
	s_delay_alu instid0(VALU_DEP_1) | instskip(SKIP_1) | instid1(VALU_DEP_2)
	v_min_u32_e32 v17, 32, v17
	v_mov_b32_e32 v43, v55
	v_subrev_nc_u32_e32 v21, 29, v17
	v_sub_nc_u32_e32 v17, 30, v17
	s_delay_alu instid0(VALU_DEP_2) | instskip(NEXT) | instid1(VALU_DEP_1)
	v_lshlrev_b64_e32 v[44:45], v21, v[42:43]
	v_and_b32_e32 v21, 3, v44
.LBB4_5103:                             ;   in Loop: Header=BB4_4780 Depth=2
	s_or_b32 exec_lo, exec_lo, s27
	v_bfe_i32 v23, v42, 0, 16
                                        ; implicit-def: $vgpr42
	s_delay_alu instid0(VALU_DEP_1) | instskip(NEXT) | instid1(VALU_DEP_1)
	v_and_b32_e32 v23, 0x80000000, v23
	v_lshl_add_u32 v17, v17, 23, v23
	s_delay_alu instid0(VALU_DEP_1) | instskip(NEXT) | instid1(VALU_DEP_1)
	v_lshl_or_b32 v17, v21, 21, v17
                                        ; implicit-def: $vgpr21
	v_add_nc_u32_e32 v17, 0x38000000, v17
.LBB4_5104:                             ;   in Loop: Header=BB4_4780 Depth=2
	s_and_not1_saveexec_b32 s26, s26
; %bb.5105:                             ;   in Loop: Header=BB4_4780 Depth=2
	v_cmp_lt_i16_e32 vcc_lo, -1, v42
	v_cndmask_b32_e32 v17, 0xff800000, v109, vcc_lo
	v_cmp_eq_u32_e32 vcc_lo, 0, v21
	s_delay_alu instid0(VALU_DEP_2)
	v_cndmask_b32_e32 v17, 0x7f800001, v17, vcc_lo
; %bb.5106:                             ;   in Loop: Header=BB4_4780 Depth=2
	s_or_b32 exec_lo, exec_lo, s26
.LBB4_5107:                             ;   in Loop: Header=BB4_4780 Depth=2
	s_delay_alu instid0(SALU_CYCLE_1)
	s_or_b32 exec_lo, exec_lo, s25
.LBB4_5108:                             ;   in Loop: Header=BB4_4780 Depth=2
	s_delay_alu instid0(SALU_CYCLE_1) | instskip(NEXT) | instid1(VALU_DEP_1)
	s_or_b32 exec_lo, exec_lo, s7
	v_mul_f32_e32 v19, v19, v17
	v_mov_b32_e32 v43, v55
	s_delay_alu instid0(VALU_DEP_2) | instskip(SKIP_1) | instid1(VALU_DEP_2)
	v_and_b32_e32 v42, 0x7f800000, v19
	v_and_b32_e32 v54, 0x7fffff, v19
	v_cmp_ne_u64_e32 vcc_lo, 0x7f800000, v[42:43]
                                        ; implicit-def: $vgpr43
	s_and_saveexec_b32 s7, vcc_lo
	s_delay_alu instid0(SALU_CYCLE_1)
	s_xor_b32 s25, exec_lo, s7
	s_cbranch_execz .LBB4_5126
; %bb.5109:                             ;   in Loop: Header=BB4_4780 Depth=2
	v_and_b32_e32 v42, 0x7fffffff, v19
	v_dual_mov_b32 v43, v55 :: v_dual_lshrrev_b32 v17, 24, v19
	s_delay_alu instid0(VALU_DEP_1) | instskip(NEXT) | instid1(VALU_DEP_2)
	v_cmp_gt_u64_e32 vcc_lo, 0x47600001, v[42:43]
	v_and_b32_e32 v17, 0x80, v17
                                        ; implicit-def: $vgpr43
	s_and_saveexec_b32 s7, vcc_lo
	s_delay_alu instid0(SALU_CYCLE_1)
	s_xor_b32 s26, exec_lo, s7
	s_cbranch_execz .LBB4_5123
; %bb.5110:                             ;   in Loop: Header=BB4_4780 Depth=2
	v_mov_b32_e32 v43, 0
	s_mov_b32 s27, exec_lo
	v_cmpx_ne_u32_e32 0, v19
	s_cbranch_execz .LBB4_5122
; %bb.5111:                             ;   in Loop: Header=BB4_4780 Depth=2
	v_bfe_u32 v19, v19, 23, 8
	v_or_b32_e32 v25, 0x800000, v54
	s_delay_alu instid0(VALU_DEP_2) | instskip(SKIP_1) | instid1(VALU_DEP_2)
	v_sub_nc_u32_e32 v21, 0x71, v19
	v_cmp_gt_u32_e32 vcc_lo, 0x72, v19
	v_cndmask_b32_e32 v21, 0, v21, vcc_lo
	v_cmp_eq_u32_e32 vcc_lo, 0, v19
	s_delay_alu instid0(VALU_DEP_2) | instskip(NEXT) | instid1(VALU_DEP_1)
	v_cndmask_b32_e64 v21, v21, 0x70, vcc_lo
	v_dual_cndmask_b32 v54, v25, v54 :: v_dual_add_nc_u32 v23, 21, v21
	s_delay_alu instid0(VALU_DEP_1) | instskip(SKIP_1) | instid1(VALU_DEP_1)
	v_lshlrev_b64_e64 v[42:43], v23, -1
	v_add_nc_u32_e32 v23, 20, v21
	v_lshlrev_b64_e64 v[44:45], v23, 1
	s_delay_alu instid0(VALU_DEP_3) | instskip(NEXT) | instid1(VALU_DEP_4)
	v_bfi_b32 v57, v43, 0, 0
	v_bfi_b32 v56, v42, 0, v54
	v_lshrrev_b64 v[42:43], v21, v[54:55]
	s_delay_alu instid0(VALU_DEP_2) | instskip(NEXT) | instid1(VALU_DEP_2)
	v_cmp_eq_u64_e64 s7, v[56:57], v[44:45]
	v_mov_b64_e32 v[44:45], v[42:43]
	s_and_saveexec_b32 s28, s7
; %bb.5112:                             ;   in Loop: Header=BB4_4780 Depth=2
	v_bfe_u32 v54, v42, 21, 1
	s_delay_alu instid0(VALU_DEP_1) | instskip(NEXT) | instid1(VALU_DEP_1)
	v_add_nc_u64_e32 v[44:45], v[42:43], v[54:55]
	v_add_nc_u64_e32 v[44:45], -1, v[44:45]
; %bb.5113:                             ;   in Loop: Header=BB4_4780 Depth=2
	s_or_b32 exec_lo, exec_lo, s28
	v_add_nc_u32_e32 v19, 0xffffff81, v19
	v_lshrrev_b32_e32 v23, 23, v42
	s_mov_b32 s7, exec_lo
	s_delay_alu instid0(VALU_DEP_2) | instskip(NEXT) | instid1(VALU_DEP_1)
	v_cndmask_b32_e64 v19, v19, 0xffffff82, vcc_lo
	v_add3_u32 v21, v21, v19, v23
	v_and_b32_e32 v19, 0x1fffff, v44
	s_delay_alu instid0(VALU_DEP_1) | instskip(NEXT) | instid1(VALU_DEP_1)
	v_dual_add_nc_u32 v23, 14, v21 :: v_dual_add_nc_u32 v54, v19, v42
                                        ; implicit-def: $vgpr42_vgpr43
                                        ; implicit-def: $vgpr19
	v_cmpx_ne_u32_e32 0, v23
	s_xor_b32 s7, exec_lo, s7
; %bb.5114:                             ;   in Loop: Header=BB4_4780 Depth=2
	s_delay_alu instid0(VALU_DEP_2) | instskip(SKIP_2) | instid1(VALU_DEP_2)
	v_cmp_lt_u64_e32 vcc_lo, 0xffffff, v[54:55]
	v_add_nc_u32_e32 v19, 15, v21
	v_cndmask_b32_e64 v21, 0, 1, vcc_lo
	v_cndmask_b32_e32 v19, v23, v19, vcc_lo
	s_delay_alu instid0(VALU_DEP_2)
	v_lshrrev_b64 v[42:43], v21, v[54:55]
; %bb.5115:                             ;   in Loop: Header=BB4_4780 Depth=2
	s_and_not1_saveexec_b32 s7, s7
; %bb.5116:                             ;   in Loop: Header=BB4_4780 Depth=2
	v_mov_b64_e32 v[42:43], v[54:55]
	v_bfe_u32 v19, v54, 23, 1
; %bb.5117:                             ;   in Loop: Header=BB4_4780 Depth=2
	s_or_b32 exec_lo, exec_lo, s7
	s_delay_alu instid0(VALU_DEP_2) | instskip(NEXT) | instid1(VALU_DEP_2)
	v_lshrrev_b64 v[42:43], 21, v[42:43]
	v_cmp_gt_i32_e32 vcc_lo, 32, v19
	v_cmp_ne_u32_e64 s7, 0, v19
	s_delay_alu instid0(VALU_DEP_3) | instskip(NEXT) | instid1(VALU_DEP_1)
	v_dual_cndmask_b32 v43, 0, v43 :: v_dual_cndmask_b32 v42, 3, v42
	v_cmp_ne_u64_e32 vcc_lo, 0, v[42:43]
                                        ; implicit-def: $vgpr43
	s_or_b32 s7, s7, vcc_lo
	s_delay_alu instid0(SALU_CYCLE_1) | instskip(NEXT) | instid1(SALU_CYCLE_1)
	s_and_saveexec_b32 s28, s7
	s_xor_b32 s7, exec_lo, s28
; %bb.5118:                             ;   in Loop: Header=BB4_4780 Depth=2
	v_min_i32_e32 v19, 31, v19
	s_delay_alu instid0(VALU_DEP_1) | instskip(NEXT) | instid1(VALU_DEP_1)
	v_lshl_or_b32 v17, v19, 2, v17
	v_and_or_b32 v43, v42, 3, v17
                                        ; implicit-def: $vgpr17
; %bb.5119:                             ;   in Loop: Header=BB4_4780 Depth=2
	s_and_not1_saveexec_b32 s7, s7
; %bb.5120:                             ;   in Loop: Header=BB4_4780 Depth=2
	v_mov_b32_e32 v43, v17
; %bb.5121:                             ;   in Loop: Header=BB4_4780 Depth=2
	s_or_b32 exec_lo, exec_lo, s7
.LBB4_5122:                             ;   in Loop: Header=BB4_4780 Depth=2
	s_delay_alu instid0(SALU_CYCLE_1)
	s_or_b32 exec_lo, exec_lo, s27
                                        ; implicit-def: $vgpr17
.LBB4_5123:                             ;   in Loop: Header=BB4_4780 Depth=2
	s_and_not1_saveexec_b32 s7, s26
; %bb.5124:                             ;   in Loop: Header=BB4_4780 Depth=2
	v_or_b32_e32 v43, 0x7b, v17
; %bb.5125:                             ;   in Loop: Header=BB4_4780 Depth=2
	s_or_b32 exec_lo, exec_lo, s7
                                        ; implicit-def: $vgpr19
.LBB4_5126:                             ;   in Loop: Header=BB4_4780 Depth=2
	s_and_not1_saveexec_b32 s7, s25
	s_cbranch_execz .LBB4_5132
; %bb.5127:                             ;   in Loop: Header=BB4_4780 Depth=2
	s_mov_b32 s25, exec_lo
                                        ; implicit-def: $vgpr43
	v_cmpx_ne_u64_e32 0, v[54:55]
	s_xor_b32 s25, exec_lo, s25
; %bb.5128:                             ;   in Loop: Header=BB4_4780 Depth=2
	v_lshrrev_b32_e32 v17, 24, v19
                                        ; implicit-def: $vgpr19
	s_delay_alu instid0(VALU_DEP_1)
	v_or_b32_e32 v43, 0x7f, v17
; %bb.5129:                             ;   in Loop: Header=BB4_4780 Depth=2
	s_and_not1_saveexec_b32 s25, s25
; %bb.5130:                             ;   in Loop: Header=BB4_4780 Depth=2
	v_cmp_lt_i32_e32 vcc_lo, -1, v19
	v_cndmask_b32_e64 v43, -4, 0x7c, vcc_lo
; %bb.5131:                             ;   in Loop: Header=BB4_4780 Depth=2
	s_or_b32 exec_lo, exec_lo, s25
.LBB4_5132:                             ;   in Loop: Header=BB4_4780 Depth=2
	s_delay_alu instid0(SALU_CYCLE_1)
	s_or_b32 exec_lo, exec_lo, s7
	v_dual_mov_b32 v17, 0 :: v_dual_mov_b32 v19, 0
	s_mov_b32 s7, exec_lo
	v_cmpx_ne_u16_e32 0, v40
	s_cbranch_execz .LBB4_5142
; %bb.5133:                             ;   in Loop: Header=BB4_4780 Depth=2
	v_bfrev_b32_e32 v19, 1
	s_mov_b32 s25, exec_lo
	v_cmpx_ne_u16_e32 0xff80, v40
	s_cbranch_execz .LBB4_5141
; %bb.5134:                             ;   in Loop: Header=BB4_4780 Depth=2
	v_and_b32_e32 v19, 0x7c, v40
	v_and_b32_e32 v21, 3, v40
	s_delay_alu instid0(VALU_DEP_2) | instskip(SKIP_1) | instid1(SALU_CYCLE_1)
	v_cmp_ne_u32_e32 vcc_lo, 0x7c, v19
                                        ; implicit-def: $vgpr19
	s_and_saveexec_b32 s26, vcc_lo
	s_xor_b32 s26, exec_lo, s26
	s_cbranch_execz .LBB4_5138
; %bb.5135:                             ;   in Loop: Header=BB4_4780 Depth=2
	v_and_b32_e32 v19, 0xff, v40
	s_mov_b32 s27, exec_lo
	s_delay_alu instid0(VALU_DEP_1) | instskip(NEXT) | instid1(VALU_DEP_1)
	v_bfe_u32 v19, v19, 2, 5
	v_cmpx_eq_u32_e32 0, v19
	s_cbranch_execz .LBB4_5137
; %bb.5136:                             ;   in Loop: Header=BB4_4780 Depth=2
	v_clz_i32_u32_e32 v19, v21
	s_delay_alu instid0(VALU_DEP_1) | instskip(SKIP_1) | instid1(VALU_DEP_2)
	v_min_u32_e32 v19, 32, v19
	v_mov_b32_e32 v41, v55
	v_subrev_nc_u32_e32 v21, 29, v19
	v_sub_nc_u32_e32 v19, 30, v19
	s_delay_alu instid0(VALU_DEP_2) | instskip(NEXT) | instid1(VALU_DEP_1)
	v_lshlrev_b64_e32 v[44:45], v21, v[40:41]
	v_and_b32_e32 v21, 3, v44
.LBB4_5137:                             ;   in Loop: Header=BB4_4780 Depth=2
	s_or_b32 exec_lo, exec_lo, s27
	v_bfe_i32 v23, v40, 0, 16
                                        ; implicit-def: $vgpr40
	s_delay_alu instid0(VALU_DEP_1) | instskip(NEXT) | instid1(VALU_DEP_1)
	v_and_b32_e32 v23, 0x80000000, v23
	v_lshl_add_u32 v19, v19, 23, v23
	s_delay_alu instid0(VALU_DEP_1) | instskip(NEXT) | instid1(VALU_DEP_1)
	v_lshl_or_b32 v19, v21, 21, v19
                                        ; implicit-def: $vgpr21
	v_add_nc_u32_e32 v19, 0x38000000, v19
.LBB4_5138:                             ;   in Loop: Header=BB4_4780 Depth=2
	s_and_not1_saveexec_b32 s26, s26
; %bb.5139:                             ;   in Loop: Header=BB4_4780 Depth=2
	v_cmp_lt_i16_e32 vcc_lo, -1, v40
	v_cndmask_b32_e32 v19, 0xff800000, v109, vcc_lo
	v_cmp_eq_u32_e32 vcc_lo, 0, v21
	s_delay_alu instid0(VALU_DEP_2)
	v_cndmask_b32_e32 v19, 0x7f800001, v19, vcc_lo
; %bb.5140:                             ;   in Loop: Header=BB4_4780 Depth=2
	s_or_b32 exec_lo, exec_lo, s26
.LBB4_5141:                             ;   in Loop: Header=BB4_4780 Depth=2
	s_delay_alu instid0(SALU_CYCLE_1)
	s_or_b32 exec_lo, exec_lo, s25
.LBB4_5142:                             ;   in Loop: Header=BB4_4780 Depth=2
	s_delay_alu instid0(SALU_CYCLE_1) | instskip(NEXT) | instid1(SALU_CYCLE_1)
	s_or_b32 exec_lo, exec_lo, s7
	s_mov_b32 s7, exec_lo
	s_wait_loadcnt_dscnt 0x707
	v_cmpx_ne_u16_e32 0, v118
	s_cbranch_execz .LBB4_5152
; %bb.5143:                             ;   in Loop: Header=BB4_4780 Depth=2
	v_bfrev_b32_e32 v17, 1
	s_mov_b32 s25, exec_lo
	v_cmpx_ne_u16_e32 0xff80, v118
	s_cbranch_execz .LBB4_5151
; %bb.5144:                             ;   in Loop: Header=BB4_4780 Depth=2
	v_and_b32_e32 v17, 0x7c, v118
	v_and_b32_e32 v21, 3, v118
	s_delay_alu instid0(VALU_DEP_2) | instskip(SKIP_1) | instid1(SALU_CYCLE_1)
	v_cmp_ne_u32_e32 vcc_lo, 0x7c, v17
                                        ; implicit-def: $vgpr17
	s_and_saveexec_b32 s26, vcc_lo
	s_xor_b32 s26, exec_lo, s26
	s_cbranch_execz .LBB4_5148
; %bb.5145:                             ;   in Loop: Header=BB4_4780 Depth=2
	v_and_b32_e32 v17, 0xff, v118
	s_mov_b32 s27, exec_lo
	s_delay_alu instid0(VALU_DEP_1) | instskip(NEXT) | instid1(VALU_DEP_1)
	v_bfe_u32 v17, v17, 2, 5
	v_cmpx_eq_u32_e32 0, v17
	s_cbranch_execz .LBB4_5147
; %bb.5146:                             ;   in Loop: Header=BB4_4780 Depth=2
	v_clz_i32_u32_e32 v17, v21
	s_delay_alu instid0(VALU_DEP_1) | instskip(SKIP_1) | instid1(VALU_DEP_2)
	v_min_u32_e32 v17, 32, v17
	v_mov_b32_e32 v119, v55
	v_subrev_nc_u32_e32 v21, 29, v17
	v_sub_nc_u32_e32 v17, 30, v17
	s_delay_alu instid0(VALU_DEP_2) | instskip(NEXT) | instid1(VALU_DEP_1)
	v_lshlrev_b64_e32 v[40:41], v21, v[118:119]
	v_and_b32_e32 v21, 3, v40
.LBB4_5147:                             ;   in Loop: Header=BB4_4780 Depth=2
	s_or_b32 exec_lo, exec_lo, s27
	v_bfe_i32 v23, v118, 0, 16
                                        ; implicit-def: $vgpr118
	s_delay_alu instid0(VALU_DEP_1) | instskip(NEXT) | instid1(VALU_DEP_1)
	v_and_b32_e32 v23, 0x80000000, v23
	v_lshl_add_u32 v17, v17, 23, v23
	s_delay_alu instid0(VALU_DEP_1) | instskip(NEXT) | instid1(VALU_DEP_1)
	v_lshl_or_b32 v17, v21, 21, v17
                                        ; implicit-def: $vgpr21
	v_add_nc_u32_e32 v17, 0x38000000, v17
.LBB4_5148:                             ;   in Loop: Header=BB4_4780 Depth=2
	s_and_not1_saveexec_b32 s26, s26
; %bb.5149:                             ;   in Loop: Header=BB4_4780 Depth=2
	v_cmp_lt_i16_e32 vcc_lo, -1, v118
	v_cndmask_b32_e32 v17, 0xff800000, v109, vcc_lo
	v_cmp_eq_u32_e32 vcc_lo, 0, v21
	s_delay_alu instid0(VALU_DEP_2)
	v_cndmask_b32_e32 v17, 0x7f800001, v17, vcc_lo
; %bb.5150:                             ;   in Loop: Header=BB4_4780 Depth=2
	s_or_b32 exec_lo, exec_lo, s26
.LBB4_5151:                             ;   in Loop: Header=BB4_4780 Depth=2
	s_delay_alu instid0(SALU_CYCLE_1)
	s_or_b32 exec_lo, exec_lo, s25
.LBB4_5152:                             ;   in Loop: Header=BB4_4780 Depth=2
	s_delay_alu instid0(SALU_CYCLE_1) | instskip(NEXT) | instid1(VALU_DEP_1)
	s_or_b32 exec_lo, exec_lo, s7
	v_mul_f32_e32 v19, v19, v17
	v_mov_b32_e32 v119, v55
	s_delay_alu instid0(VALU_DEP_2) | instskip(SKIP_1) | instid1(VALU_DEP_2)
	v_and_b32_e32 v118, 0x7f800000, v19
	v_and_b32_e32 v54, 0x7fffff, v19
	v_cmp_ne_u64_e32 vcc_lo, 0x7f800000, v[118:119]
                                        ; implicit-def: $vgpr119
	s_and_saveexec_b32 s7, vcc_lo
	s_delay_alu instid0(SALU_CYCLE_1)
	s_xor_b32 s25, exec_lo, s7
	s_cbranch_execz .LBB4_5170
; %bb.5153:                             ;   in Loop: Header=BB4_4780 Depth=2
	v_and_b32_e32 v118, 0x7fffffff, v19
	v_dual_mov_b32 v119, v55 :: v_dual_lshrrev_b32 v17, 24, v19
	s_delay_alu instid0(VALU_DEP_1) | instskip(NEXT) | instid1(VALU_DEP_2)
	v_cmp_gt_u64_e32 vcc_lo, 0x47600001, v[118:119]
	v_and_b32_e32 v17, 0x80, v17
                                        ; implicit-def: $vgpr119
	s_and_saveexec_b32 s7, vcc_lo
	s_delay_alu instid0(SALU_CYCLE_1)
	s_xor_b32 s26, exec_lo, s7
	s_cbranch_execz .LBB4_5167
; %bb.5154:                             ;   in Loop: Header=BB4_4780 Depth=2
	v_mov_b32_e32 v119, 0
	s_mov_b32 s27, exec_lo
	v_cmpx_ne_u32_e32 0, v19
	s_cbranch_execz .LBB4_5166
; %bb.5155:                             ;   in Loop: Header=BB4_4780 Depth=2
	v_bfe_u32 v19, v19, 23, 8
	v_or_b32_e32 v25, 0x800000, v54
	s_delay_alu instid0(VALU_DEP_2) | instskip(SKIP_1) | instid1(VALU_DEP_2)
	v_sub_nc_u32_e32 v21, 0x71, v19
	v_cmp_gt_u32_e32 vcc_lo, 0x72, v19
	v_cndmask_b32_e32 v21, 0, v21, vcc_lo
	v_cmp_eq_u32_e32 vcc_lo, 0, v19
	s_delay_alu instid0(VALU_DEP_2) | instskip(NEXT) | instid1(VALU_DEP_1)
	v_cndmask_b32_e64 v21, v21, 0x70, vcc_lo
	v_dual_cndmask_b32 v54, v25, v54 :: v_dual_add_nc_u32 v23, 21, v21
	s_delay_alu instid0(VALU_DEP_1) | instskip(SKIP_1) | instid1(VALU_DEP_1)
	v_lshlrev_b64_e64 v[118:119], v23, -1
	v_add_nc_u32_e32 v23, 20, v21
	v_lshlrev_b64_e64 v[40:41], v23, 1
	s_delay_alu instid0(VALU_DEP_3) | instskip(NEXT) | instid1(VALU_DEP_4)
	v_bfi_b32 v45, v119, 0, 0
	v_bfi_b32 v44, v118, 0, v54
	v_lshrrev_b64 v[118:119], v21, v[54:55]
	s_delay_alu instid0(VALU_DEP_2) | instskip(NEXT) | instid1(VALU_DEP_2)
	v_cmp_eq_u64_e64 s7, v[44:45], v[40:41]
	v_mov_b64_e32 v[40:41], v[118:119]
	s_and_saveexec_b32 s28, s7
; %bb.5156:                             ;   in Loop: Header=BB4_4780 Depth=2
	v_bfe_u32 v54, v118, 21, 1
	s_delay_alu instid0(VALU_DEP_1) | instskip(NEXT) | instid1(VALU_DEP_1)
	v_add_nc_u64_e32 v[40:41], v[118:119], v[54:55]
	v_add_nc_u64_e32 v[40:41], -1, v[40:41]
; %bb.5157:                             ;   in Loop: Header=BB4_4780 Depth=2
	s_or_b32 exec_lo, exec_lo, s28
	v_add_nc_u32_e32 v19, 0xffffff81, v19
	v_lshrrev_b32_e32 v23, 23, v118
	s_mov_b32 s7, exec_lo
	s_delay_alu instid0(VALU_DEP_2) | instskip(NEXT) | instid1(VALU_DEP_1)
	v_cndmask_b32_e64 v19, v19, 0xffffff82, vcc_lo
	v_add3_u32 v21, v21, v19, v23
	v_and_b32_e32 v19, 0x1fffff, v40
	s_delay_alu instid0(VALU_DEP_1) | instskip(NEXT) | instid1(VALU_DEP_1)
	v_dual_add_nc_u32 v23, 14, v21 :: v_dual_add_nc_u32 v54, v19, v118
                                        ; implicit-def: $vgpr118_vgpr119
                                        ; implicit-def: $vgpr19
	v_cmpx_ne_u32_e32 0, v23
	s_xor_b32 s7, exec_lo, s7
; %bb.5158:                             ;   in Loop: Header=BB4_4780 Depth=2
	s_delay_alu instid0(VALU_DEP_2) | instskip(SKIP_2) | instid1(VALU_DEP_2)
	v_cmp_lt_u64_e32 vcc_lo, 0xffffff, v[54:55]
	v_add_nc_u32_e32 v19, 15, v21
	v_cndmask_b32_e64 v21, 0, 1, vcc_lo
	v_cndmask_b32_e32 v19, v23, v19, vcc_lo
	s_delay_alu instid0(VALU_DEP_2)
	v_lshrrev_b64 v[118:119], v21, v[54:55]
; %bb.5159:                             ;   in Loop: Header=BB4_4780 Depth=2
	s_and_not1_saveexec_b32 s7, s7
; %bb.5160:                             ;   in Loop: Header=BB4_4780 Depth=2
	v_mov_b64_e32 v[118:119], v[54:55]
	v_bfe_u32 v19, v54, 23, 1
; %bb.5161:                             ;   in Loop: Header=BB4_4780 Depth=2
	s_or_b32 exec_lo, exec_lo, s7
	s_delay_alu instid0(VALU_DEP_2) | instskip(NEXT) | instid1(VALU_DEP_2)
	v_lshrrev_b64 v[118:119], 21, v[118:119]
	v_cmp_gt_i32_e32 vcc_lo, 32, v19
	v_cmp_ne_u32_e64 s7, 0, v19
	s_delay_alu instid0(VALU_DEP_3) | instskip(NEXT) | instid1(VALU_DEP_1)
	v_dual_cndmask_b32 v119, 0, v119 :: v_dual_cndmask_b32 v118, 3, v118
	v_cmp_ne_u64_e32 vcc_lo, 0, v[118:119]
                                        ; implicit-def: $vgpr119
	s_or_b32 s7, s7, vcc_lo
	s_delay_alu instid0(SALU_CYCLE_1) | instskip(NEXT) | instid1(SALU_CYCLE_1)
	s_and_saveexec_b32 s28, s7
	s_xor_b32 s7, exec_lo, s28
; %bb.5162:                             ;   in Loop: Header=BB4_4780 Depth=2
	v_min_i32_e32 v19, 31, v19
	s_delay_alu instid0(VALU_DEP_1) | instskip(NEXT) | instid1(VALU_DEP_1)
	v_lshl_or_b32 v17, v19, 2, v17
	v_and_or_b32 v119, v118, 3, v17
                                        ; implicit-def: $vgpr17
; %bb.5163:                             ;   in Loop: Header=BB4_4780 Depth=2
	s_and_not1_saveexec_b32 s7, s7
; %bb.5164:                             ;   in Loop: Header=BB4_4780 Depth=2
	v_mov_b32_e32 v119, v17
; %bb.5165:                             ;   in Loop: Header=BB4_4780 Depth=2
	s_or_b32 exec_lo, exec_lo, s7
.LBB4_5166:                             ;   in Loop: Header=BB4_4780 Depth=2
	s_delay_alu instid0(SALU_CYCLE_1)
	s_or_b32 exec_lo, exec_lo, s27
                                        ; implicit-def: $vgpr17
.LBB4_5167:                             ;   in Loop: Header=BB4_4780 Depth=2
	s_and_not1_saveexec_b32 s7, s26
; %bb.5168:                             ;   in Loop: Header=BB4_4780 Depth=2
	v_or_b32_e32 v119, 0x7b, v17
; %bb.5169:                             ;   in Loop: Header=BB4_4780 Depth=2
	s_or_b32 exec_lo, exec_lo, s7
                                        ; implicit-def: $vgpr19
.LBB4_5170:                             ;   in Loop: Header=BB4_4780 Depth=2
	s_and_not1_saveexec_b32 s7, s25
	s_cbranch_execz .LBB4_5176
; %bb.5171:                             ;   in Loop: Header=BB4_4780 Depth=2
	s_mov_b32 s25, exec_lo
                                        ; implicit-def: $vgpr119
	v_cmpx_ne_u64_e32 0, v[54:55]
	s_xor_b32 s25, exec_lo, s25
; %bb.5172:                             ;   in Loop: Header=BB4_4780 Depth=2
	v_lshrrev_b32_e32 v17, 24, v19
                                        ; implicit-def: $vgpr19
	s_delay_alu instid0(VALU_DEP_1)
	v_or_b32_e32 v119, 0x7f, v17
; %bb.5173:                             ;   in Loop: Header=BB4_4780 Depth=2
	s_and_not1_saveexec_b32 s25, s25
; %bb.5174:                             ;   in Loop: Header=BB4_4780 Depth=2
	v_cmp_lt_i32_e32 vcc_lo, -1, v19
	v_cndmask_b32_e64 v119, -4, 0x7c, vcc_lo
; %bb.5175:                             ;   in Loop: Header=BB4_4780 Depth=2
	s_or_b32 exec_lo, exec_lo, s25
.LBB4_5176:                             ;   in Loop: Header=BB4_4780 Depth=2
	s_delay_alu instid0(SALU_CYCLE_1)
	s_or_b32 exec_lo, exec_lo, s7
	v_dual_mov_b32 v17, 0 :: v_dual_mov_b32 v19, 0
	s_mov_b32 s7, exec_lo
	v_cmpx_ne_u16_e32 0, v116
	s_cbranch_execz .LBB4_5186
; %bb.5177:                             ;   in Loop: Header=BB4_4780 Depth=2
	v_bfrev_b32_e32 v19, 1
	s_mov_b32 s25, exec_lo
	v_cmpx_ne_u16_e32 0xff80, v116
	s_cbranch_execz .LBB4_5185
; %bb.5178:                             ;   in Loop: Header=BB4_4780 Depth=2
	v_and_b32_e32 v19, 0x7c, v116
	v_and_b32_e32 v21, 3, v116
	s_delay_alu instid0(VALU_DEP_2) | instskip(SKIP_1) | instid1(SALU_CYCLE_1)
	v_cmp_ne_u32_e32 vcc_lo, 0x7c, v19
                                        ; implicit-def: $vgpr19
	s_and_saveexec_b32 s26, vcc_lo
	s_xor_b32 s26, exec_lo, s26
	s_cbranch_execz .LBB4_5182
; %bb.5179:                             ;   in Loop: Header=BB4_4780 Depth=2
	v_and_b32_e32 v19, 0xff, v116
	s_mov_b32 s27, exec_lo
	s_delay_alu instid0(VALU_DEP_1) | instskip(NEXT) | instid1(VALU_DEP_1)
	v_bfe_u32 v19, v19, 2, 5
	v_cmpx_eq_u32_e32 0, v19
	s_cbranch_execz .LBB4_5181
; %bb.5180:                             ;   in Loop: Header=BB4_4780 Depth=2
	v_clz_i32_u32_e32 v19, v21
	s_delay_alu instid0(VALU_DEP_1) | instskip(SKIP_1) | instid1(VALU_DEP_2)
	v_min_u32_e32 v19, 32, v19
	v_mov_b32_e32 v117, v55
	v_subrev_nc_u32_e32 v21, 29, v19
	v_sub_nc_u32_e32 v19, 30, v19
	s_delay_alu instid0(VALU_DEP_2) | instskip(NEXT) | instid1(VALU_DEP_1)
	v_lshlrev_b64_e32 v[40:41], v21, v[116:117]
	v_and_b32_e32 v21, 3, v40
.LBB4_5181:                             ;   in Loop: Header=BB4_4780 Depth=2
	s_or_b32 exec_lo, exec_lo, s27
	v_bfe_i32 v23, v116, 0, 16
                                        ; implicit-def: $vgpr116
	s_delay_alu instid0(VALU_DEP_1) | instskip(NEXT) | instid1(VALU_DEP_1)
	v_and_b32_e32 v23, 0x80000000, v23
	v_lshl_add_u32 v19, v19, 23, v23
	s_delay_alu instid0(VALU_DEP_1) | instskip(NEXT) | instid1(VALU_DEP_1)
	v_lshl_or_b32 v19, v21, 21, v19
                                        ; implicit-def: $vgpr21
	v_add_nc_u32_e32 v19, 0x38000000, v19
.LBB4_5182:                             ;   in Loop: Header=BB4_4780 Depth=2
	s_and_not1_saveexec_b32 s26, s26
; %bb.5183:                             ;   in Loop: Header=BB4_4780 Depth=2
	v_cmp_lt_i16_e32 vcc_lo, -1, v116
	v_cndmask_b32_e32 v19, 0xff800000, v109, vcc_lo
	v_cmp_eq_u32_e32 vcc_lo, 0, v21
	s_delay_alu instid0(VALU_DEP_2)
	v_cndmask_b32_e32 v19, 0x7f800001, v19, vcc_lo
; %bb.5184:                             ;   in Loop: Header=BB4_4780 Depth=2
	s_or_b32 exec_lo, exec_lo, s26
.LBB4_5185:                             ;   in Loop: Header=BB4_4780 Depth=2
	s_delay_alu instid0(SALU_CYCLE_1)
	s_or_b32 exec_lo, exec_lo, s25
.LBB4_5186:                             ;   in Loop: Header=BB4_4780 Depth=2
	s_delay_alu instid0(SALU_CYCLE_1) | instskip(NEXT) | instid1(SALU_CYCLE_1)
	s_or_b32 exec_lo, exec_lo, s7
	s_mov_b32 s7, exec_lo
	s_wait_loadcnt_dscnt 0x606
	v_cmpx_ne_u16_e32 0, v114
	s_cbranch_execz .LBB4_5196
; %bb.5187:                             ;   in Loop: Header=BB4_4780 Depth=2
	v_bfrev_b32_e32 v17, 1
	s_mov_b32 s25, exec_lo
	v_cmpx_ne_u16_e32 0xff80, v114
	s_cbranch_execz .LBB4_5195
; %bb.5188:                             ;   in Loop: Header=BB4_4780 Depth=2
	v_and_b32_e32 v17, 0x7c, v114
	v_and_b32_e32 v21, 3, v114
	s_delay_alu instid0(VALU_DEP_2) | instskip(SKIP_1) | instid1(SALU_CYCLE_1)
	v_cmp_ne_u32_e32 vcc_lo, 0x7c, v17
                                        ; implicit-def: $vgpr17
	s_and_saveexec_b32 s26, vcc_lo
	s_xor_b32 s26, exec_lo, s26
	s_cbranch_execz .LBB4_5192
; %bb.5189:                             ;   in Loop: Header=BB4_4780 Depth=2
	v_and_b32_e32 v17, 0xff, v114
	s_mov_b32 s27, exec_lo
	s_delay_alu instid0(VALU_DEP_1) | instskip(NEXT) | instid1(VALU_DEP_1)
	v_bfe_u32 v17, v17, 2, 5
	v_cmpx_eq_u32_e32 0, v17
	s_cbranch_execz .LBB4_5191
; %bb.5190:                             ;   in Loop: Header=BB4_4780 Depth=2
	v_clz_i32_u32_e32 v17, v21
	s_delay_alu instid0(VALU_DEP_1) | instskip(SKIP_1) | instid1(VALU_DEP_2)
	v_min_u32_e32 v17, 32, v17
	v_mov_b32_e32 v115, v55
	v_subrev_nc_u32_e32 v21, 29, v17
	v_sub_nc_u32_e32 v17, 30, v17
	s_delay_alu instid0(VALU_DEP_2) | instskip(NEXT) | instid1(VALU_DEP_1)
	v_lshlrev_b64_e32 v[116:117], v21, v[114:115]
	v_and_b32_e32 v21, 3, v116
.LBB4_5191:                             ;   in Loop: Header=BB4_4780 Depth=2
	s_or_b32 exec_lo, exec_lo, s27
	v_bfe_i32 v23, v114, 0, 16
                                        ; implicit-def: $vgpr114
	s_delay_alu instid0(VALU_DEP_1) | instskip(NEXT) | instid1(VALU_DEP_1)
	v_and_b32_e32 v23, 0x80000000, v23
	v_lshl_add_u32 v17, v17, 23, v23
	s_delay_alu instid0(VALU_DEP_1) | instskip(NEXT) | instid1(VALU_DEP_1)
	v_lshl_or_b32 v17, v21, 21, v17
                                        ; implicit-def: $vgpr21
	v_add_nc_u32_e32 v17, 0x38000000, v17
.LBB4_5192:                             ;   in Loop: Header=BB4_4780 Depth=2
	s_and_not1_saveexec_b32 s26, s26
; %bb.5193:                             ;   in Loop: Header=BB4_4780 Depth=2
	v_cmp_lt_i16_e32 vcc_lo, -1, v114
	v_cndmask_b32_e32 v17, 0xff800000, v109, vcc_lo
	v_cmp_eq_u32_e32 vcc_lo, 0, v21
	s_delay_alu instid0(VALU_DEP_2)
	v_cndmask_b32_e32 v17, 0x7f800001, v17, vcc_lo
; %bb.5194:                             ;   in Loop: Header=BB4_4780 Depth=2
	s_or_b32 exec_lo, exec_lo, s26
.LBB4_5195:                             ;   in Loop: Header=BB4_4780 Depth=2
	s_delay_alu instid0(SALU_CYCLE_1)
	s_or_b32 exec_lo, exec_lo, s25
.LBB4_5196:                             ;   in Loop: Header=BB4_4780 Depth=2
	s_delay_alu instid0(SALU_CYCLE_1) | instskip(NEXT) | instid1(VALU_DEP_1)
	s_or_b32 exec_lo, exec_lo, s7
	v_mul_f32_e32 v19, v19, v17
	v_mov_b32_e32 v115, v55
	s_delay_alu instid0(VALU_DEP_2) | instskip(SKIP_1) | instid1(VALU_DEP_2)
	v_and_b32_e32 v114, 0x7f800000, v19
	v_and_b32_e32 v54, 0x7fffff, v19
	v_cmp_ne_u64_e32 vcc_lo, 0x7f800000, v[114:115]
                                        ; implicit-def: $vgpr115
	s_and_saveexec_b32 s7, vcc_lo
	s_delay_alu instid0(SALU_CYCLE_1)
	s_xor_b32 s25, exec_lo, s7
	s_cbranch_execz .LBB4_5214
; %bb.5197:                             ;   in Loop: Header=BB4_4780 Depth=2
	v_and_b32_e32 v114, 0x7fffffff, v19
	v_dual_mov_b32 v115, v55 :: v_dual_lshrrev_b32 v17, 24, v19
	s_delay_alu instid0(VALU_DEP_1) | instskip(NEXT) | instid1(VALU_DEP_2)
	v_cmp_gt_u64_e32 vcc_lo, 0x47600001, v[114:115]
	v_and_b32_e32 v17, 0x80, v17
                                        ; implicit-def: $vgpr115
	s_and_saveexec_b32 s7, vcc_lo
	s_delay_alu instid0(SALU_CYCLE_1)
	s_xor_b32 s26, exec_lo, s7
	s_cbranch_execz .LBB4_5211
; %bb.5198:                             ;   in Loop: Header=BB4_4780 Depth=2
	v_mov_b32_e32 v115, 0
	s_mov_b32 s27, exec_lo
	v_cmpx_ne_u32_e32 0, v19
	s_cbranch_execz .LBB4_5210
; %bb.5199:                             ;   in Loop: Header=BB4_4780 Depth=2
	v_bfe_u32 v19, v19, 23, 8
	v_or_b32_e32 v25, 0x800000, v54
	s_delay_alu instid0(VALU_DEP_2) | instskip(SKIP_1) | instid1(VALU_DEP_2)
	v_sub_nc_u32_e32 v21, 0x71, v19
	v_cmp_gt_u32_e32 vcc_lo, 0x72, v19
	v_cndmask_b32_e32 v21, 0, v21, vcc_lo
	v_cmp_eq_u32_e32 vcc_lo, 0, v19
	s_delay_alu instid0(VALU_DEP_2) | instskip(NEXT) | instid1(VALU_DEP_1)
	v_cndmask_b32_e64 v21, v21, 0x70, vcc_lo
	v_dual_cndmask_b32 v54, v25, v54 :: v_dual_add_nc_u32 v23, 21, v21
	s_delay_alu instid0(VALU_DEP_1) | instskip(SKIP_1) | instid1(VALU_DEP_1)
	v_lshlrev_b64_e64 v[114:115], v23, -1
	v_add_nc_u32_e32 v23, 20, v21
	v_lshlrev_b64_e64 v[116:117], v23, 1
	s_delay_alu instid0(VALU_DEP_3) | instskip(NEXT) | instid1(VALU_DEP_4)
	v_bfi_b32 v41, v115, 0, 0
	v_bfi_b32 v40, v114, 0, v54
	v_lshrrev_b64 v[114:115], v21, v[54:55]
	s_delay_alu instid0(VALU_DEP_2) | instskip(NEXT) | instid1(VALU_DEP_2)
	v_cmp_eq_u64_e64 s7, v[40:41], v[116:117]
	v_mov_b64_e32 v[116:117], v[114:115]
	s_and_saveexec_b32 s28, s7
; %bb.5200:                             ;   in Loop: Header=BB4_4780 Depth=2
	v_bfe_u32 v54, v114, 21, 1
	s_delay_alu instid0(VALU_DEP_1) | instskip(NEXT) | instid1(VALU_DEP_1)
	v_add_nc_u64_e32 v[116:117], v[114:115], v[54:55]
	v_add_nc_u64_e32 v[116:117], -1, v[116:117]
; %bb.5201:                             ;   in Loop: Header=BB4_4780 Depth=2
	s_or_b32 exec_lo, exec_lo, s28
	v_add_nc_u32_e32 v19, 0xffffff81, v19
	v_lshrrev_b32_e32 v23, 23, v114
	s_mov_b32 s7, exec_lo
	s_delay_alu instid0(VALU_DEP_2) | instskip(NEXT) | instid1(VALU_DEP_1)
	v_cndmask_b32_e64 v19, v19, 0xffffff82, vcc_lo
	v_add3_u32 v21, v21, v19, v23
	v_and_b32_e32 v19, 0x1fffff, v116
	s_delay_alu instid0(VALU_DEP_1) | instskip(NEXT) | instid1(VALU_DEP_1)
	v_dual_add_nc_u32 v23, 14, v21 :: v_dual_add_nc_u32 v54, v19, v114
                                        ; implicit-def: $vgpr114_vgpr115
                                        ; implicit-def: $vgpr19
	v_cmpx_ne_u32_e32 0, v23
	s_xor_b32 s7, exec_lo, s7
; %bb.5202:                             ;   in Loop: Header=BB4_4780 Depth=2
	s_delay_alu instid0(VALU_DEP_2) | instskip(SKIP_2) | instid1(VALU_DEP_2)
	v_cmp_lt_u64_e32 vcc_lo, 0xffffff, v[54:55]
	v_add_nc_u32_e32 v19, 15, v21
	v_cndmask_b32_e64 v21, 0, 1, vcc_lo
	v_cndmask_b32_e32 v19, v23, v19, vcc_lo
	s_delay_alu instid0(VALU_DEP_2)
	v_lshrrev_b64 v[114:115], v21, v[54:55]
; %bb.5203:                             ;   in Loop: Header=BB4_4780 Depth=2
	s_and_not1_saveexec_b32 s7, s7
; %bb.5204:                             ;   in Loop: Header=BB4_4780 Depth=2
	v_mov_b64_e32 v[114:115], v[54:55]
	v_bfe_u32 v19, v54, 23, 1
; %bb.5205:                             ;   in Loop: Header=BB4_4780 Depth=2
	s_or_b32 exec_lo, exec_lo, s7
	s_delay_alu instid0(VALU_DEP_2) | instskip(NEXT) | instid1(VALU_DEP_2)
	v_lshrrev_b64 v[114:115], 21, v[114:115]
	v_cmp_gt_i32_e32 vcc_lo, 32, v19
	v_cmp_ne_u32_e64 s7, 0, v19
	s_delay_alu instid0(VALU_DEP_3) | instskip(NEXT) | instid1(VALU_DEP_1)
	v_dual_cndmask_b32 v115, 0, v115 :: v_dual_cndmask_b32 v114, 3, v114
	v_cmp_ne_u64_e32 vcc_lo, 0, v[114:115]
                                        ; implicit-def: $vgpr115
	s_or_b32 s7, s7, vcc_lo
	s_delay_alu instid0(SALU_CYCLE_1) | instskip(NEXT) | instid1(SALU_CYCLE_1)
	s_and_saveexec_b32 s28, s7
	s_xor_b32 s7, exec_lo, s28
; %bb.5206:                             ;   in Loop: Header=BB4_4780 Depth=2
	v_min_i32_e32 v19, 31, v19
	s_delay_alu instid0(VALU_DEP_1) | instskip(NEXT) | instid1(VALU_DEP_1)
	v_lshl_or_b32 v17, v19, 2, v17
	v_and_or_b32 v115, v114, 3, v17
                                        ; implicit-def: $vgpr17
; %bb.5207:                             ;   in Loop: Header=BB4_4780 Depth=2
	s_and_not1_saveexec_b32 s7, s7
; %bb.5208:                             ;   in Loop: Header=BB4_4780 Depth=2
	v_mov_b32_e32 v115, v17
; %bb.5209:                             ;   in Loop: Header=BB4_4780 Depth=2
	s_or_b32 exec_lo, exec_lo, s7
.LBB4_5210:                             ;   in Loop: Header=BB4_4780 Depth=2
	s_delay_alu instid0(SALU_CYCLE_1)
	s_or_b32 exec_lo, exec_lo, s27
                                        ; implicit-def: $vgpr17
.LBB4_5211:                             ;   in Loop: Header=BB4_4780 Depth=2
	s_and_not1_saveexec_b32 s7, s26
; %bb.5212:                             ;   in Loop: Header=BB4_4780 Depth=2
	v_or_b32_e32 v115, 0x7b, v17
; %bb.5213:                             ;   in Loop: Header=BB4_4780 Depth=2
	s_or_b32 exec_lo, exec_lo, s7
                                        ; implicit-def: $vgpr19
.LBB4_5214:                             ;   in Loop: Header=BB4_4780 Depth=2
	s_and_not1_saveexec_b32 s7, s25
	s_cbranch_execz .LBB4_5220
; %bb.5215:                             ;   in Loop: Header=BB4_4780 Depth=2
	s_mov_b32 s25, exec_lo
                                        ; implicit-def: $vgpr115
	v_cmpx_ne_u64_e32 0, v[54:55]
	s_xor_b32 s25, exec_lo, s25
; %bb.5216:                             ;   in Loop: Header=BB4_4780 Depth=2
	v_lshrrev_b32_e32 v17, 24, v19
                                        ; implicit-def: $vgpr19
	s_delay_alu instid0(VALU_DEP_1)
	v_or_b32_e32 v115, 0x7f, v17
; %bb.5217:                             ;   in Loop: Header=BB4_4780 Depth=2
	s_and_not1_saveexec_b32 s25, s25
; %bb.5218:                             ;   in Loop: Header=BB4_4780 Depth=2
	v_cmp_lt_i32_e32 vcc_lo, -1, v19
	v_cndmask_b32_e64 v115, -4, 0x7c, vcc_lo
; %bb.5219:                             ;   in Loop: Header=BB4_4780 Depth=2
	s_or_b32 exec_lo, exec_lo, s25
.LBB4_5220:                             ;   in Loop: Header=BB4_4780 Depth=2
	s_delay_alu instid0(SALU_CYCLE_1)
	s_or_b32 exec_lo, exec_lo, s7
	v_dual_mov_b32 v17, 0 :: v_dual_mov_b32 v19, 0
	s_mov_b32 s7, exec_lo
	v_cmpx_ne_u16_e32 0, v112
	s_cbranch_execz .LBB4_5230
; %bb.5221:                             ;   in Loop: Header=BB4_4780 Depth=2
	v_bfrev_b32_e32 v19, 1
	s_mov_b32 s25, exec_lo
	v_cmpx_ne_u16_e32 0xff80, v112
	s_cbranch_execz .LBB4_5229
; %bb.5222:                             ;   in Loop: Header=BB4_4780 Depth=2
	v_and_b32_e32 v19, 0x7c, v112
	v_and_b32_e32 v21, 3, v112
	s_delay_alu instid0(VALU_DEP_2) | instskip(SKIP_1) | instid1(SALU_CYCLE_1)
	v_cmp_ne_u32_e32 vcc_lo, 0x7c, v19
                                        ; implicit-def: $vgpr19
	s_and_saveexec_b32 s26, vcc_lo
	s_xor_b32 s26, exec_lo, s26
	s_cbranch_execz .LBB4_5226
; %bb.5223:                             ;   in Loop: Header=BB4_4780 Depth=2
	v_and_b32_e32 v19, 0xff, v112
	s_mov_b32 s27, exec_lo
	s_delay_alu instid0(VALU_DEP_1) | instskip(NEXT) | instid1(VALU_DEP_1)
	v_bfe_u32 v19, v19, 2, 5
	v_cmpx_eq_u32_e32 0, v19
	s_cbranch_execz .LBB4_5225
; %bb.5224:                             ;   in Loop: Header=BB4_4780 Depth=2
	v_clz_i32_u32_e32 v19, v21
	s_delay_alu instid0(VALU_DEP_1) | instskip(SKIP_1) | instid1(VALU_DEP_2)
	v_min_u32_e32 v19, 32, v19
	v_mov_b32_e32 v113, v55
	v_subrev_nc_u32_e32 v21, 29, v19
	v_sub_nc_u32_e32 v19, 30, v19
	s_delay_alu instid0(VALU_DEP_2) | instskip(NEXT) | instid1(VALU_DEP_1)
	v_lshlrev_b64_e32 v[116:117], v21, v[112:113]
	v_and_b32_e32 v21, 3, v116
.LBB4_5225:                             ;   in Loop: Header=BB4_4780 Depth=2
	s_or_b32 exec_lo, exec_lo, s27
	v_bfe_i32 v23, v112, 0, 16
                                        ; implicit-def: $vgpr112
	s_delay_alu instid0(VALU_DEP_1) | instskip(NEXT) | instid1(VALU_DEP_1)
	v_and_b32_e32 v23, 0x80000000, v23
	v_lshl_add_u32 v19, v19, 23, v23
	s_delay_alu instid0(VALU_DEP_1) | instskip(NEXT) | instid1(VALU_DEP_1)
	v_lshl_or_b32 v19, v21, 21, v19
                                        ; implicit-def: $vgpr21
	v_add_nc_u32_e32 v19, 0x38000000, v19
.LBB4_5226:                             ;   in Loop: Header=BB4_4780 Depth=2
	s_and_not1_saveexec_b32 s26, s26
; %bb.5227:                             ;   in Loop: Header=BB4_4780 Depth=2
	v_cmp_lt_i16_e32 vcc_lo, -1, v112
	v_cndmask_b32_e32 v19, 0xff800000, v109, vcc_lo
	v_cmp_eq_u32_e32 vcc_lo, 0, v21
	s_delay_alu instid0(VALU_DEP_2)
	v_cndmask_b32_e32 v19, 0x7f800001, v19, vcc_lo
; %bb.5228:                             ;   in Loop: Header=BB4_4780 Depth=2
	s_or_b32 exec_lo, exec_lo, s26
.LBB4_5229:                             ;   in Loop: Header=BB4_4780 Depth=2
	s_delay_alu instid0(SALU_CYCLE_1)
	s_or_b32 exec_lo, exec_lo, s25
.LBB4_5230:                             ;   in Loop: Header=BB4_4780 Depth=2
	s_delay_alu instid0(SALU_CYCLE_1) | instskip(NEXT) | instid1(SALU_CYCLE_1)
	s_or_b32 exec_lo, exec_lo, s7
	s_mov_b32 s7, exec_lo
	s_wait_loadcnt_dscnt 0x505
	v_cmpx_ne_u16_e32 0, v102
	s_cbranch_execz .LBB4_5240
; %bb.5231:                             ;   in Loop: Header=BB4_4780 Depth=2
	v_bfrev_b32_e32 v17, 1
	s_mov_b32 s25, exec_lo
	v_cmpx_ne_u16_e32 0xff80, v102
	s_cbranch_execz .LBB4_5239
; %bb.5232:                             ;   in Loop: Header=BB4_4780 Depth=2
	v_and_b32_e32 v17, 0x7c, v102
	v_and_b32_e32 v21, 3, v102
	s_delay_alu instid0(VALU_DEP_2) | instskip(SKIP_1) | instid1(SALU_CYCLE_1)
	v_cmp_ne_u32_e32 vcc_lo, 0x7c, v17
                                        ; implicit-def: $vgpr17
	s_and_saveexec_b32 s26, vcc_lo
	s_xor_b32 s26, exec_lo, s26
	s_cbranch_execz .LBB4_5236
; %bb.5233:                             ;   in Loop: Header=BB4_4780 Depth=2
	v_and_b32_e32 v17, 0xff, v102
	s_mov_b32 s27, exec_lo
	s_delay_alu instid0(VALU_DEP_1) | instskip(NEXT) | instid1(VALU_DEP_1)
	v_bfe_u32 v17, v17, 2, 5
	v_cmpx_eq_u32_e32 0, v17
	s_cbranch_execz .LBB4_5235
; %bb.5234:                             ;   in Loop: Header=BB4_4780 Depth=2
	v_clz_i32_u32_e32 v17, v21
	s_delay_alu instid0(VALU_DEP_1) | instskip(SKIP_1) | instid1(VALU_DEP_2)
	v_min_u32_e32 v17, 32, v17
	v_mov_b32_e32 v103, v55
	v_subrev_nc_u32_e32 v21, 29, v17
	v_sub_nc_u32_e32 v17, 30, v17
	s_delay_alu instid0(VALU_DEP_2) | instskip(NEXT) | instid1(VALU_DEP_1)
	v_lshlrev_b64_e32 v[112:113], v21, v[102:103]
	v_and_b32_e32 v21, 3, v112
.LBB4_5235:                             ;   in Loop: Header=BB4_4780 Depth=2
	s_or_b32 exec_lo, exec_lo, s27
	v_bfe_i32 v23, v102, 0, 16
                                        ; implicit-def: $vgpr102
	s_delay_alu instid0(VALU_DEP_1) | instskip(NEXT) | instid1(VALU_DEP_1)
	v_and_b32_e32 v23, 0x80000000, v23
	v_lshl_add_u32 v17, v17, 23, v23
	s_delay_alu instid0(VALU_DEP_1) | instskip(NEXT) | instid1(VALU_DEP_1)
	v_lshl_or_b32 v17, v21, 21, v17
                                        ; implicit-def: $vgpr21
	v_add_nc_u32_e32 v17, 0x38000000, v17
.LBB4_5236:                             ;   in Loop: Header=BB4_4780 Depth=2
	s_and_not1_saveexec_b32 s26, s26
; %bb.5237:                             ;   in Loop: Header=BB4_4780 Depth=2
	v_cmp_lt_i16_e32 vcc_lo, -1, v102
	v_cndmask_b32_e32 v17, 0xff800000, v109, vcc_lo
	v_cmp_eq_u32_e32 vcc_lo, 0, v21
	s_delay_alu instid0(VALU_DEP_2)
	v_cndmask_b32_e32 v17, 0x7f800001, v17, vcc_lo
; %bb.5238:                             ;   in Loop: Header=BB4_4780 Depth=2
	s_or_b32 exec_lo, exec_lo, s26
.LBB4_5239:                             ;   in Loop: Header=BB4_4780 Depth=2
	s_delay_alu instid0(SALU_CYCLE_1)
	s_or_b32 exec_lo, exec_lo, s25
.LBB4_5240:                             ;   in Loop: Header=BB4_4780 Depth=2
	s_delay_alu instid0(SALU_CYCLE_1) | instskip(NEXT) | instid1(VALU_DEP_1)
	s_or_b32 exec_lo, exec_lo, s7
	v_mul_f32_e32 v19, v19, v17
	v_mov_b32_e32 v103, v55
	s_delay_alu instid0(VALU_DEP_2) | instskip(SKIP_1) | instid1(VALU_DEP_2)
	v_and_b32_e32 v102, 0x7f800000, v19
	v_and_b32_e32 v54, 0x7fffff, v19
	v_cmp_ne_u64_e32 vcc_lo, 0x7f800000, v[102:103]
                                        ; implicit-def: $vgpr103
	s_and_saveexec_b32 s7, vcc_lo
	s_delay_alu instid0(SALU_CYCLE_1)
	s_xor_b32 s25, exec_lo, s7
	s_cbranch_execz .LBB4_5258
; %bb.5241:                             ;   in Loop: Header=BB4_4780 Depth=2
	v_and_b32_e32 v102, 0x7fffffff, v19
	v_dual_mov_b32 v103, v55 :: v_dual_lshrrev_b32 v17, 24, v19
	s_delay_alu instid0(VALU_DEP_1) | instskip(NEXT) | instid1(VALU_DEP_2)
	v_cmp_gt_u64_e32 vcc_lo, 0x47600001, v[102:103]
	v_and_b32_e32 v17, 0x80, v17
                                        ; implicit-def: $vgpr103
	s_and_saveexec_b32 s7, vcc_lo
	s_delay_alu instid0(SALU_CYCLE_1)
	s_xor_b32 s26, exec_lo, s7
	s_cbranch_execz .LBB4_5255
; %bb.5242:                             ;   in Loop: Header=BB4_4780 Depth=2
	v_mov_b32_e32 v103, 0
	s_mov_b32 s27, exec_lo
	v_cmpx_ne_u32_e32 0, v19
	s_cbranch_execz .LBB4_5254
; %bb.5243:                             ;   in Loop: Header=BB4_4780 Depth=2
	v_bfe_u32 v19, v19, 23, 8
	v_or_b32_e32 v25, 0x800000, v54
	s_delay_alu instid0(VALU_DEP_2) | instskip(SKIP_1) | instid1(VALU_DEP_2)
	v_sub_nc_u32_e32 v21, 0x71, v19
	v_cmp_gt_u32_e32 vcc_lo, 0x72, v19
	v_cndmask_b32_e32 v21, 0, v21, vcc_lo
	v_cmp_eq_u32_e32 vcc_lo, 0, v19
	s_delay_alu instid0(VALU_DEP_2) | instskip(NEXT) | instid1(VALU_DEP_1)
	v_cndmask_b32_e64 v21, v21, 0x70, vcc_lo
	v_dual_cndmask_b32 v54, v25, v54 :: v_dual_add_nc_u32 v23, 21, v21
	s_delay_alu instid0(VALU_DEP_1) | instskip(SKIP_1) | instid1(VALU_DEP_1)
	v_lshlrev_b64_e64 v[102:103], v23, -1
	v_add_nc_u32_e32 v23, 20, v21
	v_lshlrev_b64_e64 v[112:113], v23, 1
	s_delay_alu instid0(VALU_DEP_3) | instskip(NEXT) | instid1(VALU_DEP_4)
	v_bfi_b32 v117, v103, 0, 0
	v_bfi_b32 v116, v102, 0, v54
	v_lshrrev_b64 v[102:103], v21, v[54:55]
	s_delay_alu instid0(VALU_DEP_2) | instskip(NEXT) | instid1(VALU_DEP_2)
	v_cmp_eq_u64_e64 s7, v[116:117], v[112:113]
	v_mov_b64_e32 v[112:113], v[102:103]
	s_and_saveexec_b32 s28, s7
; %bb.5244:                             ;   in Loop: Header=BB4_4780 Depth=2
	v_bfe_u32 v54, v102, 21, 1
	s_delay_alu instid0(VALU_DEP_1) | instskip(NEXT) | instid1(VALU_DEP_1)
	v_add_nc_u64_e32 v[112:113], v[102:103], v[54:55]
	v_add_nc_u64_e32 v[112:113], -1, v[112:113]
; %bb.5245:                             ;   in Loop: Header=BB4_4780 Depth=2
	s_or_b32 exec_lo, exec_lo, s28
	v_add_nc_u32_e32 v19, 0xffffff81, v19
	v_lshrrev_b32_e32 v23, 23, v102
	s_mov_b32 s7, exec_lo
	s_delay_alu instid0(VALU_DEP_2) | instskip(NEXT) | instid1(VALU_DEP_1)
	v_cndmask_b32_e64 v19, v19, 0xffffff82, vcc_lo
	v_add3_u32 v21, v21, v19, v23
	v_and_b32_e32 v19, 0x1fffff, v112
	s_delay_alu instid0(VALU_DEP_1) | instskip(NEXT) | instid1(VALU_DEP_1)
	v_dual_add_nc_u32 v23, 14, v21 :: v_dual_add_nc_u32 v54, v19, v102
                                        ; implicit-def: $vgpr102_vgpr103
                                        ; implicit-def: $vgpr19
	v_cmpx_ne_u32_e32 0, v23
	s_xor_b32 s7, exec_lo, s7
; %bb.5246:                             ;   in Loop: Header=BB4_4780 Depth=2
	s_delay_alu instid0(VALU_DEP_2) | instskip(SKIP_2) | instid1(VALU_DEP_2)
	v_cmp_lt_u64_e32 vcc_lo, 0xffffff, v[54:55]
	v_add_nc_u32_e32 v19, 15, v21
	v_cndmask_b32_e64 v21, 0, 1, vcc_lo
	v_cndmask_b32_e32 v19, v23, v19, vcc_lo
	s_delay_alu instid0(VALU_DEP_2)
	v_lshrrev_b64 v[102:103], v21, v[54:55]
; %bb.5247:                             ;   in Loop: Header=BB4_4780 Depth=2
	s_and_not1_saveexec_b32 s7, s7
; %bb.5248:                             ;   in Loop: Header=BB4_4780 Depth=2
	v_mov_b64_e32 v[102:103], v[54:55]
	v_bfe_u32 v19, v54, 23, 1
; %bb.5249:                             ;   in Loop: Header=BB4_4780 Depth=2
	s_or_b32 exec_lo, exec_lo, s7
	s_delay_alu instid0(VALU_DEP_2) | instskip(NEXT) | instid1(VALU_DEP_2)
	v_lshrrev_b64 v[102:103], 21, v[102:103]
	v_cmp_gt_i32_e32 vcc_lo, 32, v19
	v_cmp_ne_u32_e64 s7, 0, v19
	s_delay_alu instid0(VALU_DEP_3) | instskip(NEXT) | instid1(VALU_DEP_1)
	v_dual_cndmask_b32 v103, 0, v103 :: v_dual_cndmask_b32 v102, 3, v102
	v_cmp_ne_u64_e32 vcc_lo, 0, v[102:103]
                                        ; implicit-def: $vgpr103
	s_or_b32 s7, s7, vcc_lo
	s_delay_alu instid0(SALU_CYCLE_1) | instskip(NEXT) | instid1(SALU_CYCLE_1)
	s_and_saveexec_b32 s28, s7
	s_xor_b32 s7, exec_lo, s28
; %bb.5250:                             ;   in Loop: Header=BB4_4780 Depth=2
	v_min_i32_e32 v19, 31, v19
	s_delay_alu instid0(VALU_DEP_1) | instskip(NEXT) | instid1(VALU_DEP_1)
	v_lshl_or_b32 v17, v19, 2, v17
	v_and_or_b32 v103, v102, 3, v17
                                        ; implicit-def: $vgpr17
; %bb.5251:                             ;   in Loop: Header=BB4_4780 Depth=2
	s_and_not1_saveexec_b32 s7, s7
; %bb.5252:                             ;   in Loop: Header=BB4_4780 Depth=2
	v_mov_b32_e32 v103, v17
; %bb.5253:                             ;   in Loop: Header=BB4_4780 Depth=2
	s_or_b32 exec_lo, exec_lo, s7
.LBB4_5254:                             ;   in Loop: Header=BB4_4780 Depth=2
	s_delay_alu instid0(SALU_CYCLE_1)
	s_or_b32 exec_lo, exec_lo, s27
                                        ; implicit-def: $vgpr17
.LBB4_5255:                             ;   in Loop: Header=BB4_4780 Depth=2
	s_and_not1_saveexec_b32 s7, s26
; %bb.5256:                             ;   in Loop: Header=BB4_4780 Depth=2
	v_or_b32_e32 v103, 0x7b, v17
; %bb.5257:                             ;   in Loop: Header=BB4_4780 Depth=2
	s_or_b32 exec_lo, exec_lo, s7
                                        ; implicit-def: $vgpr19
.LBB4_5258:                             ;   in Loop: Header=BB4_4780 Depth=2
	s_and_not1_saveexec_b32 s7, s25
	s_cbranch_execz .LBB4_5264
; %bb.5259:                             ;   in Loop: Header=BB4_4780 Depth=2
	s_mov_b32 s25, exec_lo
                                        ; implicit-def: $vgpr103
	v_cmpx_ne_u64_e32 0, v[54:55]
	s_xor_b32 s25, exec_lo, s25
; %bb.5260:                             ;   in Loop: Header=BB4_4780 Depth=2
	v_lshrrev_b32_e32 v17, 24, v19
                                        ; implicit-def: $vgpr19
	s_delay_alu instid0(VALU_DEP_1)
	v_or_b32_e32 v103, 0x7f, v17
; %bb.5261:                             ;   in Loop: Header=BB4_4780 Depth=2
	s_and_not1_saveexec_b32 s25, s25
; %bb.5262:                             ;   in Loop: Header=BB4_4780 Depth=2
	v_cmp_lt_i32_e32 vcc_lo, -1, v19
	v_cndmask_b32_e64 v103, -4, 0x7c, vcc_lo
; %bb.5263:                             ;   in Loop: Header=BB4_4780 Depth=2
	s_or_b32 exec_lo, exec_lo, s25
.LBB4_5264:                             ;   in Loop: Header=BB4_4780 Depth=2
	s_delay_alu instid0(SALU_CYCLE_1)
	s_or_b32 exec_lo, exec_lo, s7
	v_dual_mov_b32 v17, 0 :: v_dual_mov_b32 v19, 0
	s_mov_b32 s7, exec_lo
	v_cmpx_ne_u16_e32 0, v100
	s_cbranch_execz .LBB4_5274
; %bb.5265:                             ;   in Loop: Header=BB4_4780 Depth=2
	v_bfrev_b32_e32 v19, 1
	s_mov_b32 s25, exec_lo
	v_cmpx_ne_u16_e32 0xff80, v100
	s_cbranch_execz .LBB4_5273
; %bb.5266:                             ;   in Loop: Header=BB4_4780 Depth=2
	v_and_b32_e32 v19, 0x7c, v100
	v_and_b32_e32 v21, 3, v100
	s_delay_alu instid0(VALU_DEP_2) | instskip(SKIP_1) | instid1(SALU_CYCLE_1)
	v_cmp_ne_u32_e32 vcc_lo, 0x7c, v19
                                        ; implicit-def: $vgpr19
	s_and_saveexec_b32 s26, vcc_lo
	s_xor_b32 s26, exec_lo, s26
	s_cbranch_execz .LBB4_5270
; %bb.5267:                             ;   in Loop: Header=BB4_4780 Depth=2
	v_and_b32_e32 v19, 0xff, v100
	s_mov_b32 s27, exec_lo
	s_delay_alu instid0(VALU_DEP_1) | instskip(NEXT) | instid1(VALU_DEP_1)
	v_bfe_u32 v19, v19, 2, 5
	v_cmpx_eq_u32_e32 0, v19
	s_cbranch_execz .LBB4_5269
; %bb.5268:                             ;   in Loop: Header=BB4_4780 Depth=2
	v_clz_i32_u32_e32 v19, v21
	s_delay_alu instid0(VALU_DEP_1) | instskip(SKIP_1) | instid1(VALU_DEP_2)
	v_min_u32_e32 v19, 32, v19
	v_mov_b32_e32 v101, v55
	v_subrev_nc_u32_e32 v21, 29, v19
	v_sub_nc_u32_e32 v19, 30, v19
	s_delay_alu instid0(VALU_DEP_2) | instskip(NEXT) | instid1(VALU_DEP_1)
	v_lshlrev_b64_e32 v[112:113], v21, v[100:101]
	v_and_b32_e32 v21, 3, v112
.LBB4_5269:                             ;   in Loop: Header=BB4_4780 Depth=2
	s_or_b32 exec_lo, exec_lo, s27
	v_bfe_i32 v23, v100, 0, 16
                                        ; implicit-def: $vgpr100
	s_delay_alu instid0(VALU_DEP_1) | instskip(NEXT) | instid1(VALU_DEP_1)
	v_and_b32_e32 v23, 0x80000000, v23
	v_lshl_add_u32 v19, v19, 23, v23
	s_delay_alu instid0(VALU_DEP_1) | instskip(NEXT) | instid1(VALU_DEP_1)
	v_lshl_or_b32 v19, v21, 21, v19
                                        ; implicit-def: $vgpr21
	v_add_nc_u32_e32 v19, 0x38000000, v19
.LBB4_5270:                             ;   in Loop: Header=BB4_4780 Depth=2
	s_and_not1_saveexec_b32 s26, s26
; %bb.5271:                             ;   in Loop: Header=BB4_4780 Depth=2
	v_cmp_lt_i16_e32 vcc_lo, -1, v100
	v_cndmask_b32_e32 v19, 0xff800000, v109, vcc_lo
	v_cmp_eq_u32_e32 vcc_lo, 0, v21
	s_delay_alu instid0(VALU_DEP_2)
	v_cndmask_b32_e32 v19, 0x7f800001, v19, vcc_lo
; %bb.5272:                             ;   in Loop: Header=BB4_4780 Depth=2
	s_or_b32 exec_lo, exec_lo, s26
.LBB4_5273:                             ;   in Loop: Header=BB4_4780 Depth=2
	s_delay_alu instid0(SALU_CYCLE_1)
	s_or_b32 exec_lo, exec_lo, s25
.LBB4_5274:                             ;   in Loop: Header=BB4_4780 Depth=2
	s_delay_alu instid0(SALU_CYCLE_1) | instskip(NEXT) | instid1(SALU_CYCLE_1)
	s_or_b32 exec_lo, exec_lo, s7
	s_mov_b32 s7, exec_lo
	s_wait_loadcnt_dscnt 0x404
	v_cmpx_ne_u16_e32 0, v98
	s_cbranch_execz .LBB4_5284
; %bb.5275:                             ;   in Loop: Header=BB4_4780 Depth=2
	v_bfrev_b32_e32 v17, 1
	s_mov_b32 s25, exec_lo
	v_cmpx_ne_u16_e32 0xff80, v98
	s_cbranch_execz .LBB4_5283
; %bb.5276:                             ;   in Loop: Header=BB4_4780 Depth=2
	v_and_b32_e32 v17, 0x7c, v98
	v_and_b32_e32 v21, 3, v98
	s_delay_alu instid0(VALU_DEP_2) | instskip(SKIP_1) | instid1(SALU_CYCLE_1)
	v_cmp_ne_u32_e32 vcc_lo, 0x7c, v17
                                        ; implicit-def: $vgpr17
	s_and_saveexec_b32 s26, vcc_lo
	s_xor_b32 s26, exec_lo, s26
	s_cbranch_execz .LBB4_5280
; %bb.5277:                             ;   in Loop: Header=BB4_4780 Depth=2
	v_and_b32_e32 v17, 0xff, v98
	s_mov_b32 s27, exec_lo
	s_delay_alu instid0(VALU_DEP_1) | instskip(NEXT) | instid1(VALU_DEP_1)
	v_bfe_u32 v17, v17, 2, 5
	v_cmpx_eq_u32_e32 0, v17
	s_cbranch_execz .LBB4_5279
; %bb.5278:                             ;   in Loop: Header=BB4_4780 Depth=2
	v_clz_i32_u32_e32 v17, v21
	s_delay_alu instid0(VALU_DEP_1) | instskip(SKIP_1) | instid1(VALU_DEP_2)
	v_min_u32_e32 v17, 32, v17
	v_mov_b32_e32 v99, v55
	v_subrev_nc_u32_e32 v21, 29, v17
	v_sub_nc_u32_e32 v17, 30, v17
	s_delay_alu instid0(VALU_DEP_2) | instskip(NEXT) | instid1(VALU_DEP_1)
	v_lshlrev_b64_e32 v[100:101], v21, v[98:99]
	v_and_b32_e32 v21, 3, v100
.LBB4_5279:                             ;   in Loop: Header=BB4_4780 Depth=2
	s_or_b32 exec_lo, exec_lo, s27
	v_bfe_i32 v23, v98, 0, 16
                                        ; implicit-def: $vgpr98
	s_delay_alu instid0(VALU_DEP_1) | instskip(NEXT) | instid1(VALU_DEP_1)
	v_and_b32_e32 v23, 0x80000000, v23
	v_lshl_add_u32 v17, v17, 23, v23
	s_delay_alu instid0(VALU_DEP_1) | instskip(NEXT) | instid1(VALU_DEP_1)
	v_lshl_or_b32 v17, v21, 21, v17
                                        ; implicit-def: $vgpr21
	v_add_nc_u32_e32 v17, 0x38000000, v17
.LBB4_5280:                             ;   in Loop: Header=BB4_4780 Depth=2
	s_and_not1_saveexec_b32 s26, s26
; %bb.5281:                             ;   in Loop: Header=BB4_4780 Depth=2
	v_cmp_lt_i16_e32 vcc_lo, -1, v98
	v_cndmask_b32_e32 v17, 0xff800000, v109, vcc_lo
	v_cmp_eq_u32_e32 vcc_lo, 0, v21
	s_delay_alu instid0(VALU_DEP_2)
	v_cndmask_b32_e32 v17, 0x7f800001, v17, vcc_lo
; %bb.5282:                             ;   in Loop: Header=BB4_4780 Depth=2
	s_or_b32 exec_lo, exec_lo, s26
.LBB4_5283:                             ;   in Loop: Header=BB4_4780 Depth=2
	s_delay_alu instid0(SALU_CYCLE_1)
	s_or_b32 exec_lo, exec_lo, s25
.LBB4_5284:                             ;   in Loop: Header=BB4_4780 Depth=2
	s_delay_alu instid0(SALU_CYCLE_1) | instskip(NEXT) | instid1(VALU_DEP_1)
	s_or_b32 exec_lo, exec_lo, s7
	v_mul_f32_e32 v19, v19, v17
	v_mov_b32_e32 v99, v55
	s_delay_alu instid0(VALU_DEP_2) | instskip(SKIP_1) | instid1(VALU_DEP_2)
	v_and_b32_e32 v98, 0x7f800000, v19
	v_and_b32_e32 v54, 0x7fffff, v19
	v_cmp_ne_u64_e32 vcc_lo, 0x7f800000, v[98:99]
                                        ; implicit-def: $vgpr99
	s_and_saveexec_b32 s7, vcc_lo
	s_delay_alu instid0(SALU_CYCLE_1)
	s_xor_b32 s25, exec_lo, s7
	s_cbranch_execz .LBB4_5302
; %bb.5285:                             ;   in Loop: Header=BB4_4780 Depth=2
	v_and_b32_e32 v98, 0x7fffffff, v19
	v_dual_mov_b32 v99, v55 :: v_dual_lshrrev_b32 v17, 24, v19
	s_delay_alu instid0(VALU_DEP_1) | instskip(NEXT) | instid1(VALU_DEP_2)
	v_cmp_gt_u64_e32 vcc_lo, 0x47600001, v[98:99]
	v_and_b32_e32 v17, 0x80, v17
                                        ; implicit-def: $vgpr99
	s_and_saveexec_b32 s7, vcc_lo
	s_delay_alu instid0(SALU_CYCLE_1)
	s_xor_b32 s26, exec_lo, s7
	s_cbranch_execz .LBB4_5299
; %bb.5286:                             ;   in Loop: Header=BB4_4780 Depth=2
	v_mov_b32_e32 v99, 0
	s_mov_b32 s27, exec_lo
	v_cmpx_ne_u32_e32 0, v19
	s_cbranch_execz .LBB4_5298
; %bb.5287:                             ;   in Loop: Header=BB4_4780 Depth=2
	v_bfe_u32 v19, v19, 23, 8
	v_or_b32_e32 v25, 0x800000, v54
	s_delay_alu instid0(VALU_DEP_2) | instskip(SKIP_1) | instid1(VALU_DEP_2)
	v_sub_nc_u32_e32 v21, 0x71, v19
	v_cmp_gt_u32_e32 vcc_lo, 0x72, v19
	v_cndmask_b32_e32 v21, 0, v21, vcc_lo
	v_cmp_eq_u32_e32 vcc_lo, 0, v19
	s_delay_alu instid0(VALU_DEP_2) | instskip(NEXT) | instid1(VALU_DEP_1)
	v_cndmask_b32_e64 v21, v21, 0x70, vcc_lo
	v_dual_cndmask_b32 v54, v25, v54 :: v_dual_add_nc_u32 v23, 21, v21
	s_delay_alu instid0(VALU_DEP_1) | instskip(SKIP_1) | instid1(VALU_DEP_1)
	v_lshlrev_b64_e64 v[98:99], v23, -1
	v_add_nc_u32_e32 v23, 20, v21
	v_lshlrev_b64_e64 v[100:101], v23, 1
	s_delay_alu instid0(VALU_DEP_3) | instskip(NEXT) | instid1(VALU_DEP_4)
	v_bfi_b32 v113, v99, 0, 0
	v_bfi_b32 v112, v98, 0, v54
	v_lshrrev_b64 v[98:99], v21, v[54:55]
	s_delay_alu instid0(VALU_DEP_2) | instskip(NEXT) | instid1(VALU_DEP_2)
	v_cmp_eq_u64_e64 s7, v[112:113], v[100:101]
	v_mov_b64_e32 v[100:101], v[98:99]
	s_and_saveexec_b32 s28, s7
; %bb.5288:                             ;   in Loop: Header=BB4_4780 Depth=2
	v_bfe_u32 v54, v98, 21, 1
	s_delay_alu instid0(VALU_DEP_1) | instskip(NEXT) | instid1(VALU_DEP_1)
	v_add_nc_u64_e32 v[100:101], v[98:99], v[54:55]
	v_add_nc_u64_e32 v[100:101], -1, v[100:101]
; %bb.5289:                             ;   in Loop: Header=BB4_4780 Depth=2
	s_or_b32 exec_lo, exec_lo, s28
	v_add_nc_u32_e32 v19, 0xffffff81, v19
	v_lshrrev_b32_e32 v23, 23, v98
	s_mov_b32 s7, exec_lo
	s_delay_alu instid0(VALU_DEP_2) | instskip(NEXT) | instid1(VALU_DEP_1)
	v_cndmask_b32_e64 v19, v19, 0xffffff82, vcc_lo
	v_add3_u32 v21, v21, v19, v23
	v_and_b32_e32 v19, 0x1fffff, v100
	s_delay_alu instid0(VALU_DEP_1) | instskip(NEXT) | instid1(VALU_DEP_1)
	v_dual_add_nc_u32 v23, 14, v21 :: v_dual_add_nc_u32 v54, v19, v98
                                        ; implicit-def: $vgpr98_vgpr99
                                        ; implicit-def: $vgpr19
	v_cmpx_ne_u32_e32 0, v23
	s_xor_b32 s7, exec_lo, s7
; %bb.5290:                             ;   in Loop: Header=BB4_4780 Depth=2
	s_delay_alu instid0(VALU_DEP_2) | instskip(SKIP_2) | instid1(VALU_DEP_2)
	v_cmp_lt_u64_e32 vcc_lo, 0xffffff, v[54:55]
	v_add_nc_u32_e32 v19, 15, v21
	v_cndmask_b32_e64 v21, 0, 1, vcc_lo
	v_cndmask_b32_e32 v19, v23, v19, vcc_lo
	s_delay_alu instid0(VALU_DEP_2)
	v_lshrrev_b64 v[98:99], v21, v[54:55]
; %bb.5291:                             ;   in Loop: Header=BB4_4780 Depth=2
	s_and_not1_saveexec_b32 s7, s7
; %bb.5292:                             ;   in Loop: Header=BB4_4780 Depth=2
	v_mov_b64_e32 v[98:99], v[54:55]
	v_bfe_u32 v19, v54, 23, 1
; %bb.5293:                             ;   in Loop: Header=BB4_4780 Depth=2
	s_or_b32 exec_lo, exec_lo, s7
	s_delay_alu instid0(VALU_DEP_2) | instskip(NEXT) | instid1(VALU_DEP_2)
	v_lshrrev_b64 v[98:99], 21, v[98:99]
	v_cmp_gt_i32_e32 vcc_lo, 32, v19
	v_cmp_ne_u32_e64 s7, 0, v19
	s_delay_alu instid0(VALU_DEP_3) | instskip(NEXT) | instid1(VALU_DEP_1)
	v_dual_cndmask_b32 v99, 0, v99 :: v_dual_cndmask_b32 v98, 3, v98
	v_cmp_ne_u64_e32 vcc_lo, 0, v[98:99]
                                        ; implicit-def: $vgpr99
	s_or_b32 s7, s7, vcc_lo
	s_delay_alu instid0(SALU_CYCLE_1) | instskip(NEXT) | instid1(SALU_CYCLE_1)
	s_and_saveexec_b32 s28, s7
	s_xor_b32 s7, exec_lo, s28
; %bb.5294:                             ;   in Loop: Header=BB4_4780 Depth=2
	v_min_i32_e32 v19, 31, v19
	s_delay_alu instid0(VALU_DEP_1) | instskip(NEXT) | instid1(VALU_DEP_1)
	v_lshl_or_b32 v17, v19, 2, v17
	v_and_or_b32 v99, v98, 3, v17
                                        ; implicit-def: $vgpr17
; %bb.5295:                             ;   in Loop: Header=BB4_4780 Depth=2
	s_and_not1_saveexec_b32 s7, s7
; %bb.5296:                             ;   in Loop: Header=BB4_4780 Depth=2
	v_mov_b32_e32 v99, v17
; %bb.5297:                             ;   in Loop: Header=BB4_4780 Depth=2
	s_or_b32 exec_lo, exec_lo, s7
.LBB4_5298:                             ;   in Loop: Header=BB4_4780 Depth=2
	s_delay_alu instid0(SALU_CYCLE_1)
	s_or_b32 exec_lo, exec_lo, s27
                                        ; implicit-def: $vgpr17
.LBB4_5299:                             ;   in Loop: Header=BB4_4780 Depth=2
	s_and_not1_saveexec_b32 s7, s26
; %bb.5300:                             ;   in Loop: Header=BB4_4780 Depth=2
	v_or_b32_e32 v99, 0x7b, v17
; %bb.5301:                             ;   in Loop: Header=BB4_4780 Depth=2
	s_or_b32 exec_lo, exec_lo, s7
                                        ; implicit-def: $vgpr19
.LBB4_5302:                             ;   in Loop: Header=BB4_4780 Depth=2
	s_and_not1_saveexec_b32 s7, s25
	s_cbranch_execz .LBB4_5308
; %bb.5303:                             ;   in Loop: Header=BB4_4780 Depth=2
	s_mov_b32 s25, exec_lo
                                        ; implicit-def: $vgpr99
	v_cmpx_ne_u64_e32 0, v[54:55]
	s_xor_b32 s25, exec_lo, s25
; %bb.5304:                             ;   in Loop: Header=BB4_4780 Depth=2
	v_lshrrev_b32_e32 v17, 24, v19
                                        ; implicit-def: $vgpr19
	s_delay_alu instid0(VALU_DEP_1)
	v_or_b32_e32 v99, 0x7f, v17
; %bb.5305:                             ;   in Loop: Header=BB4_4780 Depth=2
	s_and_not1_saveexec_b32 s25, s25
; %bb.5306:                             ;   in Loop: Header=BB4_4780 Depth=2
	v_cmp_lt_i32_e32 vcc_lo, -1, v19
	v_cndmask_b32_e64 v99, -4, 0x7c, vcc_lo
; %bb.5307:                             ;   in Loop: Header=BB4_4780 Depth=2
	s_or_b32 exec_lo, exec_lo, s25
.LBB4_5308:                             ;   in Loop: Header=BB4_4780 Depth=2
	s_delay_alu instid0(SALU_CYCLE_1)
	s_or_b32 exec_lo, exec_lo, s7
	v_dual_mov_b32 v17, 0 :: v_dual_mov_b32 v19, 0
	s_mov_b32 s7, exec_lo
	v_cmpx_ne_u16_e32 0, v96
	s_cbranch_execz .LBB4_5318
; %bb.5309:                             ;   in Loop: Header=BB4_4780 Depth=2
	v_bfrev_b32_e32 v19, 1
	s_mov_b32 s25, exec_lo
	v_cmpx_ne_u16_e32 0xff80, v96
	s_cbranch_execz .LBB4_5317
; %bb.5310:                             ;   in Loop: Header=BB4_4780 Depth=2
	v_and_b32_e32 v19, 0x7c, v96
	v_and_b32_e32 v21, 3, v96
	s_delay_alu instid0(VALU_DEP_2) | instskip(SKIP_1) | instid1(SALU_CYCLE_1)
	v_cmp_ne_u32_e32 vcc_lo, 0x7c, v19
                                        ; implicit-def: $vgpr19
	s_and_saveexec_b32 s26, vcc_lo
	s_xor_b32 s26, exec_lo, s26
	s_cbranch_execz .LBB4_5314
; %bb.5311:                             ;   in Loop: Header=BB4_4780 Depth=2
	v_and_b32_e32 v19, 0xff, v96
	s_mov_b32 s27, exec_lo
	s_delay_alu instid0(VALU_DEP_1) | instskip(NEXT) | instid1(VALU_DEP_1)
	v_bfe_u32 v19, v19, 2, 5
	v_cmpx_eq_u32_e32 0, v19
	s_cbranch_execz .LBB4_5313
; %bb.5312:                             ;   in Loop: Header=BB4_4780 Depth=2
	v_clz_i32_u32_e32 v19, v21
	s_delay_alu instid0(VALU_DEP_1) | instskip(SKIP_1) | instid1(VALU_DEP_2)
	v_min_u32_e32 v19, 32, v19
	v_mov_b32_e32 v97, v55
	v_subrev_nc_u32_e32 v21, 29, v19
	v_sub_nc_u32_e32 v19, 30, v19
	s_delay_alu instid0(VALU_DEP_2) | instskip(NEXT) | instid1(VALU_DEP_1)
	v_lshlrev_b64_e32 v[100:101], v21, v[96:97]
	v_and_b32_e32 v21, 3, v100
.LBB4_5313:                             ;   in Loop: Header=BB4_4780 Depth=2
	s_or_b32 exec_lo, exec_lo, s27
	v_bfe_i32 v23, v96, 0, 16
                                        ; implicit-def: $vgpr96
	s_delay_alu instid0(VALU_DEP_1) | instskip(NEXT) | instid1(VALU_DEP_1)
	v_and_b32_e32 v23, 0x80000000, v23
	v_lshl_add_u32 v19, v19, 23, v23
	s_delay_alu instid0(VALU_DEP_1) | instskip(NEXT) | instid1(VALU_DEP_1)
	v_lshl_or_b32 v19, v21, 21, v19
                                        ; implicit-def: $vgpr21
	v_add_nc_u32_e32 v19, 0x38000000, v19
.LBB4_5314:                             ;   in Loop: Header=BB4_4780 Depth=2
	s_and_not1_saveexec_b32 s26, s26
; %bb.5315:                             ;   in Loop: Header=BB4_4780 Depth=2
	v_cmp_lt_i16_e32 vcc_lo, -1, v96
	v_cndmask_b32_e32 v19, 0xff800000, v109, vcc_lo
	v_cmp_eq_u32_e32 vcc_lo, 0, v21
	s_delay_alu instid0(VALU_DEP_2)
	v_cndmask_b32_e32 v19, 0x7f800001, v19, vcc_lo
; %bb.5316:                             ;   in Loop: Header=BB4_4780 Depth=2
	s_or_b32 exec_lo, exec_lo, s26
.LBB4_5317:                             ;   in Loop: Header=BB4_4780 Depth=2
	s_delay_alu instid0(SALU_CYCLE_1)
	s_or_b32 exec_lo, exec_lo, s25
.LBB4_5318:                             ;   in Loop: Header=BB4_4780 Depth=2
	s_delay_alu instid0(SALU_CYCLE_1) | instskip(NEXT) | instid1(SALU_CYCLE_1)
	s_or_b32 exec_lo, exec_lo, s7
	s_mov_b32 s7, exec_lo
	s_wait_loadcnt_dscnt 0x303
	v_cmpx_ne_u16_e32 0, v86
	s_cbranch_execz .LBB4_5328
; %bb.5319:                             ;   in Loop: Header=BB4_4780 Depth=2
	v_bfrev_b32_e32 v17, 1
	s_mov_b32 s25, exec_lo
	v_cmpx_ne_u16_e32 0xff80, v86
	s_cbranch_execz .LBB4_5327
; %bb.5320:                             ;   in Loop: Header=BB4_4780 Depth=2
	v_and_b32_e32 v17, 0x7c, v86
	v_and_b32_e32 v21, 3, v86
	s_delay_alu instid0(VALU_DEP_2) | instskip(SKIP_1) | instid1(SALU_CYCLE_1)
	v_cmp_ne_u32_e32 vcc_lo, 0x7c, v17
                                        ; implicit-def: $vgpr17
	s_and_saveexec_b32 s26, vcc_lo
	s_xor_b32 s26, exec_lo, s26
	s_cbranch_execz .LBB4_5324
; %bb.5321:                             ;   in Loop: Header=BB4_4780 Depth=2
	v_and_b32_e32 v17, 0xff, v86
	s_mov_b32 s27, exec_lo
	s_delay_alu instid0(VALU_DEP_1) | instskip(NEXT) | instid1(VALU_DEP_1)
	v_bfe_u32 v17, v17, 2, 5
	v_cmpx_eq_u32_e32 0, v17
	s_cbranch_execz .LBB4_5323
; %bb.5322:                             ;   in Loop: Header=BB4_4780 Depth=2
	v_clz_i32_u32_e32 v17, v21
	s_delay_alu instid0(VALU_DEP_1) | instskip(SKIP_1) | instid1(VALU_DEP_2)
	v_min_u32_e32 v17, 32, v17
	v_mov_b32_e32 v87, v55
	v_subrev_nc_u32_e32 v21, 29, v17
	v_sub_nc_u32_e32 v17, 30, v17
	s_delay_alu instid0(VALU_DEP_2) | instskip(NEXT) | instid1(VALU_DEP_1)
	v_lshlrev_b64_e32 v[96:97], v21, v[86:87]
	v_and_b32_e32 v21, 3, v96
.LBB4_5323:                             ;   in Loop: Header=BB4_4780 Depth=2
	s_or_b32 exec_lo, exec_lo, s27
	v_bfe_i32 v23, v86, 0, 16
                                        ; implicit-def: $vgpr86
	s_delay_alu instid0(VALU_DEP_1) | instskip(NEXT) | instid1(VALU_DEP_1)
	v_and_b32_e32 v23, 0x80000000, v23
	v_lshl_add_u32 v17, v17, 23, v23
	s_delay_alu instid0(VALU_DEP_1) | instskip(NEXT) | instid1(VALU_DEP_1)
	v_lshl_or_b32 v17, v21, 21, v17
                                        ; implicit-def: $vgpr21
	v_add_nc_u32_e32 v17, 0x38000000, v17
.LBB4_5324:                             ;   in Loop: Header=BB4_4780 Depth=2
	s_and_not1_saveexec_b32 s26, s26
; %bb.5325:                             ;   in Loop: Header=BB4_4780 Depth=2
	v_cmp_lt_i16_e32 vcc_lo, -1, v86
	v_cndmask_b32_e32 v17, 0xff800000, v109, vcc_lo
	v_cmp_eq_u32_e32 vcc_lo, 0, v21
	s_delay_alu instid0(VALU_DEP_2)
	v_cndmask_b32_e32 v17, 0x7f800001, v17, vcc_lo
; %bb.5326:                             ;   in Loop: Header=BB4_4780 Depth=2
	s_or_b32 exec_lo, exec_lo, s26
.LBB4_5327:                             ;   in Loop: Header=BB4_4780 Depth=2
	s_delay_alu instid0(SALU_CYCLE_1)
	s_or_b32 exec_lo, exec_lo, s25
.LBB4_5328:                             ;   in Loop: Header=BB4_4780 Depth=2
	s_delay_alu instid0(SALU_CYCLE_1) | instskip(NEXT) | instid1(VALU_DEP_1)
	s_or_b32 exec_lo, exec_lo, s7
	v_mul_f32_e32 v19, v19, v17
	v_mov_b32_e32 v87, v55
	s_delay_alu instid0(VALU_DEP_2) | instskip(SKIP_1) | instid1(VALU_DEP_2)
	v_and_b32_e32 v86, 0x7f800000, v19
	v_and_b32_e32 v54, 0x7fffff, v19
	v_cmp_ne_u64_e32 vcc_lo, 0x7f800000, v[86:87]
                                        ; implicit-def: $vgpr87
	s_and_saveexec_b32 s7, vcc_lo
	s_delay_alu instid0(SALU_CYCLE_1)
	s_xor_b32 s25, exec_lo, s7
	s_cbranch_execz .LBB4_5346
; %bb.5329:                             ;   in Loop: Header=BB4_4780 Depth=2
	v_and_b32_e32 v86, 0x7fffffff, v19
	v_dual_mov_b32 v87, v55 :: v_dual_lshrrev_b32 v17, 24, v19
	s_delay_alu instid0(VALU_DEP_1) | instskip(NEXT) | instid1(VALU_DEP_2)
	v_cmp_gt_u64_e32 vcc_lo, 0x47600001, v[86:87]
	v_and_b32_e32 v17, 0x80, v17
                                        ; implicit-def: $vgpr87
	s_and_saveexec_b32 s7, vcc_lo
	s_delay_alu instid0(SALU_CYCLE_1)
	s_xor_b32 s26, exec_lo, s7
	s_cbranch_execz .LBB4_5343
; %bb.5330:                             ;   in Loop: Header=BB4_4780 Depth=2
	v_mov_b32_e32 v87, 0
	s_mov_b32 s27, exec_lo
	v_cmpx_ne_u32_e32 0, v19
	s_cbranch_execz .LBB4_5342
; %bb.5331:                             ;   in Loop: Header=BB4_4780 Depth=2
	v_bfe_u32 v19, v19, 23, 8
	v_or_b32_e32 v25, 0x800000, v54
	s_delay_alu instid0(VALU_DEP_2) | instskip(SKIP_1) | instid1(VALU_DEP_2)
	v_sub_nc_u32_e32 v21, 0x71, v19
	v_cmp_gt_u32_e32 vcc_lo, 0x72, v19
	v_cndmask_b32_e32 v21, 0, v21, vcc_lo
	v_cmp_eq_u32_e32 vcc_lo, 0, v19
	s_delay_alu instid0(VALU_DEP_2) | instskip(NEXT) | instid1(VALU_DEP_1)
	v_cndmask_b32_e64 v21, v21, 0x70, vcc_lo
	v_dual_cndmask_b32 v54, v25, v54 :: v_dual_add_nc_u32 v23, 21, v21
	s_delay_alu instid0(VALU_DEP_1) | instskip(SKIP_1) | instid1(VALU_DEP_1)
	v_lshlrev_b64_e64 v[86:87], v23, -1
	v_add_nc_u32_e32 v23, 20, v21
	v_lshlrev_b64_e64 v[96:97], v23, 1
	s_delay_alu instid0(VALU_DEP_3) | instskip(NEXT) | instid1(VALU_DEP_4)
	v_bfi_b32 v101, v87, 0, 0
	v_bfi_b32 v100, v86, 0, v54
	v_lshrrev_b64 v[86:87], v21, v[54:55]
	s_delay_alu instid0(VALU_DEP_2) | instskip(NEXT) | instid1(VALU_DEP_2)
	v_cmp_eq_u64_e64 s7, v[100:101], v[96:97]
	v_mov_b64_e32 v[96:97], v[86:87]
	s_and_saveexec_b32 s28, s7
; %bb.5332:                             ;   in Loop: Header=BB4_4780 Depth=2
	v_bfe_u32 v54, v86, 21, 1
	s_delay_alu instid0(VALU_DEP_1) | instskip(NEXT) | instid1(VALU_DEP_1)
	v_add_nc_u64_e32 v[96:97], v[86:87], v[54:55]
	v_add_nc_u64_e32 v[96:97], -1, v[96:97]
; %bb.5333:                             ;   in Loop: Header=BB4_4780 Depth=2
	s_or_b32 exec_lo, exec_lo, s28
	v_add_nc_u32_e32 v19, 0xffffff81, v19
	v_lshrrev_b32_e32 v23, 23, v86
	s_mov_b32 s7, exec_lo
	s_delay_alu instid0(VALU_DEP_2) | instskip(NEXT) | instid1(VALU_DEP_1)
	v_cndmask_b32_e64 v19, v19, 0xffffff82, vcc_lo
	v_add3_u32 v21, v21, v19, v23
	v_and_b32_e32 v19, 0x1fffff, v96
	s_delay_alu instid0(VALU_DEP_1) | instskip(NEXT) | instid1(VALU_DEP_1)
	v_dual_add_nc_u32 v23, 14, v21 :: v_dual_add_nc_u32 v54, v19, v86
                                        ; implicit-def: $vgpr86_vgpr87
                                        ; implicit-def: $vgpr19
	v_cmpx_ne_u32_e32 0, v23
	s_xor_b32 s7, exec_lo, s7
; %bb.5334:                             ;   in Loop: Header=BB4_4780 Depth=2
	s_delay_alu instid0(VALU_DEP_2) | instskip(SKIP_2) | instid1(VALU_DEP_2)
	v_cmp_lt_u64_e32 vcc_lo, 0xffffff, v[54:55]
	v_add_nc_u32_e32 v19, 15, v21
	v_cndmask_b32_e64 v21, 0, 1, vcc_lo
	v_cndmask_b32_e32 v19, v23, v19, vcc_lo
	s_delay_alu instid0(VALU_DEP_2)
	v_lshrrev_b64 v[86:87], v21, v[54:55]
; %bb.5335:                             ;   in Loop: Header=BB4_4780 Depth=2
	s_and_not1_saveexec_b32 s7, s7
; %bb.5336:                             ;   in Loop: Header=BB4_4780 Depth=2
	v_mov_b64_e32 v[86:87], v[54:55]
	v_bfe_u32 v19, v54, 23, 1
; %bb.5337:                             ;   in Loop: Header=BB4_4780 Depth=2
	s_or_b32 exec_lo, exec_lo, s7
	s_delay_alu instid0(VALU_DEP_2) | instskip(NEXT) | instid1(VALU_DEP_2)
	v_lshrrev_b64 v[86:87], 21, v[86:87]
	v_cmp_gt_i32_e32 vcc_lo, 32, v19
	v_cmp_ne_u32_e64 s7, 0, v19
	s_delay_alu instid0(VALU_DEP_3) | instskip(NEXT) | instid1(VALU_DEP_1)
	v_dual_cndmask_b32 v87, 0, v87 :: v_dual_cndmask_b32 v86, 3, v86
	v_cmp_ne_u64_e32 vcc_lo, 0, v[86:87]
                                        ; implicit-def: $vgpr87
	s_or_b32 s7, s7, vcc_lo
	s_delay_alu instid0(SALU_CYCLE_1) | instskip(NEXT) | instid1(SALU_CYCLE_1)
	s_and_saveexec_b32 s28, s7
	s_xor_b32 s7, exec_lo, s28
; %bb.5338:                             ;   in Loop: Header=BB4_4780 Depth=2
	v_min_i32_e32 v19, 31, v19
	s_delay_alu instid0(VALU_DEP_1) | instskip(NEXT) | instid1(VALU_DEP_1)
	v_lshl_or_b32 v17, v19, 2, v17
	v_and_or_b32 v87, v86, 3, v17
                                        ; implicit-def: $vgpr17
; %bb.5339:                             ;   in Loop: Header=BB4_4780 Depth=2
	s_and_not1_saveexec_b32 s7, s7
; %bb.5340:                             ;   in Loop: Header=BB4_4780 Depth=2
	v_mov_b32_e32 v87, v17
; %bb.5341:                             ;   in Loop: Header=BB4_4780 Depth=2
	s_or_b32 exec_lo, exec_lo, s7
.LBB4_5342:                             ;   in Loop: Header=BB4_4780 Depth=2
	s_delay_alu instid0(SALU_CYCLE_1)
	s_or_b32 exec_lo, exec_lo, s27
                                        ; implicit-def: $vgpr17
.LBB4_5343:                             ;   in Loop: Header=BB4_4780 Depth=2
	s_and_not1_saveexec_b32 s7, s26
; %bb.5344:                             ;   in Loop: Header=BB4_4780 Depth=2
	v_or_b32_e32 v87, 0x7b, v17
; %bb.5345:                             ;   in Loop: Header=BB4_4780 Depth=2
	s_or_b32 exec_lo, exec_lo, s7
                                        ; implicit-def: $vgpr19
.LBB4_5346:                             ;   in Loop: Header=BB4_4780 Depth=2
	s_and_not1_saveexec_b32 s7, s25
	s_cbranch_execz .LBB4_5352
; %bb.5347:                             ;   in Loop: Header=BB4_4780 Depth=2
	s_mov_b32 s25, exec_lo
                                        ; implicit-def: $vgpr87
	v_cmpx_ne_u64_e32 0, v[54:55]
	s_xor_b32 s25, exec_lo, s25
; %bb.5348:                             ;   in Loop: Header=BB4_4780 Depth=2
	v_lshrrev_b32_e32 v17, 24, v19
                                        ; implicit-def: $vgpr19
	s_delay_alu instid0(VALU_DEP_1)
	v_or_b32_e32 v87, 0x7f, v17
; %bb.5349:                             ;   in Loop: Header=BB4_4780 Depth=2
	s_and_not1_saveexec_b32 s25, s25
; %bb.5350:                             ;   in Loop: Header=BB4_4780 Depth=2
	v_cmp_lt_i32_e32 vcc_lo, -1, v19
	v_cndmask_b32_e64 v87, -4, 0x7c, vcc_lo
; %bb.5351:                             ;   in Loop: Header=BB4_4780 Depth=2
	s_or_b32 exec_lo, exec_lo, s25
.LBB4_5352:                             ;   in Loop: Header=BB4_4780 Depth=2
	s_delay_alu instid0(SALU_CYCLE_1)
	s_or_b32 exec_lo, exec_lo, s7
	v_dual_mov_b32 v17, 0 :: v_dual_mov_b32 v19, 0
	s_mov_b32 s7, exec_lo
	v_cmpx_ne_u16_e32 0, v84
	s_cbranch_execz .LBB4_5362
; %bb.5353:                             ;   in Loop: Header=BB4_4780 Depth=2
	v_bfrev_b32_e32 v19, 1
	s_mov_b32 s25, exec_lo
	v_cmpx_ne_u16_e32 0xff80, v84
	s_cbranch_execz .LBB4_5361
; %bb.5354:                             ;   in Loop: Header=BB4_4780 Depth=2
	v_and_b32_e32 v19, 0x7c, v84
	v_and_b32_e32 v21, 3, v84
	s_delay_alu instid0(VALU_DEP_2) | instskip(SKIP_1) | instid1(SALU_CYCLE_1)
	v_cmp_ne_u32_e32 vcc_lo, 0x7c, v19
                                        ; implicit-def: $vgpr19
	s_and_saveexec_b32 s26, vcc_lo
	s_xor_b32 s26, exec_lo, s26
	s_cbranch_execz .LBB4_5358
; %bb.5355:                             ;   in Loop: Header=BB4_4780 Depth=2
	v_and_b32_e32 v19, 0xff, v84
	s_mov_b32 s27, exec_lo
	s_delay_alu instid0(VALU_DEP_1) | instskip(NEXT) | instid1(VALU_DEP_1)
	v_bfe_u32 v19, v19, 2, 5
	v_cmpx_eq_u32_e32 0, v19
	s_cbranch_execz .LBB4_5357
; %bb.5356:                             ;   in Loop: Header=BB4_4780 Depth=2
	v_clz_i32_u32_e32 v19, v21
	s_delay_alu instid0(VALU_DEP_1) | instskip(SKIP_1) | instid1(VALU_DEP_2)
	v_min_u32_e32 v19, 32, v19
	v_mov_b32_e32 v85, v55
	v_subrev_nc_u32_e32 v21, 29, v19
	v_sub_nc_u32_e32 v19, 30, v19
	s_delay_alu instid0(VALU_DEP_2) | instskip(NEXT) | instid1(VALU_DEP_1)
	v_lshlrev_b64_e32 v[96:97], v21, v[84:85]
	v_and_b32_e32 v21, 3, v96
.LBB4_5357:                             ;   in Loop: Header=BB4_4780 Depth=2
	s_or_b32 exec_lo, exec_lo, s27
	v_bfe_i32 v23, v84, 0, 16
                                        ; implicit-def: $vgpr84
	s_delay_alu instid0(VALU_DEP_1) | instskip(NEXT) | instid1(VALU_DEP_1)
	v_and_b32_e32 v23, 0x80000000, v23
	v_lshl_add_u32 v19, v19, 23, v23
	s_delay_alu instid0(VALU_DEP_1) | instskip(NEXT) | instid1(VALU_DEP_1)
	v_lshl_or_b32 v19, v21, 21, v19
                                        ; implicit-def: $vgpr21
	v_add_nc_u32_e32 v19, 0x38000000, v19
.LBB4_5358:                             ;   in Loop: Header=BB4_4780 Depth=2
	s_and_not1_saveexec_b32 s26, s26
; %bb.5359:                             ;   in Loop: Header=BB4_4780 Depth=2
	v_cmp_lt_i16_e32 vcc_lo, -1, v84
	v_cndmask_b32_e32 v19, 0xff800000, v109, vcc_lo
	v_cmp_eq_u32_e32 vcc_lo, 0, v21
	s_delay_alu instid0(VALU_DEP_2)
	v_cndmask_b32_e32 v19, 0x7f800001, v19, vcc_lo
; %bb.5360:                             ;   in Loop: Header=BB4_4780 Depth=2
	s_or_b32 exec_lo, exec_lo, s26
.LBB4_5361:                             ;   in Loop: Header=BB4_4780 Depth=2
	s_delay_alu instid0(SALU_CYCLE_1)
	s_or_b32 exec_lo, exec_lo, s25
.LBB4_5362:                             ;   in Loop: Header=BB4_4780 Depth=2
	s_delay_alu instid0(SALU_CYCLE_1) | instskip(NEXT) | instid1(SALU_CYCLE_1)
	s_or_b32 exec_lo, exec_lo, s7
	s_mov_b32 s7, exec_lo
	s_wait_loadcnt_dscnt 0x202
	v_cmpx_ne_u16_e32 0, v24
	s_cbranch_execz .LBB4_5372
; %bb.5363:                             ;   in Loop: Header=BB4_4780 Depth=2
	v_bfrev_b32_e32 v17, 1
	s_mov_b32 s25, exec_lo
	v_cmpx_ne_u16_e32 0xff80, v24
	s_cbranch_execz .LBB4_5371
; %bb.5364:                             ;   in Loop: Header=BB4_4780 Depth=2
	v_and_b32_e32 v17, 0x7c, v24
	v_and_b32_e32 v21, 3, v24
	s_delay_alu instid0(VALU_DEP_2) | instskip(SKIP_1) | instid1(SALU_CYCLE_1)
	v_cmp_ne_u32_e32 vcc_lo, 0x7c, v17
                                        ; implicit-def: $vgpr17
	s_and_saveexec_b32 s26, vcc_lo
	s_xor_b32 s26, exec_lo, s26
	s_cbranch_execz .LBB4_5368
; %bb.5365:                             ;   in Loop: Header=BB4_4780 Depth=2
	v_and_b32_e32 v17, 0xff, v24
	s_mov_b32 s27, exec_lo
	s_delay_alu instid0(VALU_DEP_1) | instskip(NEXT) | instid1(VALU_DEP_1)
	v_bfe_u32 v17, v17, 2, 5
	v_cmpx_eq_u32_e32 0, v17
	s_cbranch_execz .LBB4_5367
; %bb.5366:                             ;   in Loop: Header=BB4_4780 Depth=2
	v_clz_i32_u32_e32 v17, v21
	s_delay_alu instid0(VALU_DEP_1) | instskip(SKIP_1) | instid1(VALU_DEP_2)
	v_min_u32_e32 v17, 32, v17
	v_mov_b32_e32 v25, v55
	v_subrev_nc_u32_e32 v21, 29, v17
	v_sub_nc_u32_e32 v17, 30, v17
	s_delay_alu instid0(VALU_DEP_2) | instskip(NEXT) | instid1(VALU_DEP_1)
	v_lshlrev_b64_e32 v[84:85], v21, v[24:25]
	v_and_b32_e32 v21, 3, v84
.LBB4_5367:                             ;   in Loop: Header=BB4_4780 Depth=2
	s_or_b32 exec_lo, exec_lo, s27
	v_bfe_i32 v23, v24, 0, 16
                                        ; implicit-def: $vgpr24
	s_delay_alu instid0(VALU_DEP_1) | instskip(NEXT) | instid1(VALU_DEP_1)
	v_and_b32_e32 v23, 0x80000000, v23
	v_lshl_add_u32 v17, v17, 23, v23
	s_delay_alu instid0(VALU_DEP_1) | instskip(NEXT) | instid1(VALU_DEP_1)
	v_lshl_or_b32 v17, v21, 21, v17
                                        ; implicit-def: $vgpr21
	v_add_nc_u32_e32 v17, 0x38000000, v17
.LBB4_5368:                             ;   in Loop: Header=BB4_4780 Depth=2
	s_and_not1_saveexec_b32 s26, s26
; %bb.5369:                             ;   in Loop: Header=BB4_4780 Depth=2
	v_cmp_lt_i16_e32 vcc_lo, -1, v24
	v_cndmask_b32_e32 v17, 0xff800000, v109, vcc_lo
	v_cmp_eq_u32_e32 vcc_lo, 0, v21
	s_delay_alu instid0(VALU_DEP_2)
	v_cndmask_b32_e32 v17, 0x7f800001, v17, vcc_lo
; %bb.5370:                             ;   in Loop: Header=BB4_4780 Depth=2
	s_or_b32 exec_lo, exec_lo, s26
.LBB4_5371:                             ;   in Loop: Header=BB4_4780 Depth=2
	s_delay_alu instid0(SALU_CYCLE_1)
	s_or_b32 exec_lo, exec_lo, s25
.LBB4_5372:                             ;   in Loop: Header=BB4_4780 Depth=2
	s_delay_alu instid0(SALU_CYCLE_1) | instskip(NEXT) | instid1(VALU_DEP_1)
	s_or_b32 exec_lo, exec_lo, s7
	v_mul_f32_e32 v19, v19, v17
	v_mov_b32_e32 v25, v55
	s_delay_alu instid0(VALU_DEP_2) | instskip(SKIP_1) | instid1(VALU_DEP_2)
	v_and_b32_e32 v24, 0x7f800000, v19
	v_and_b32_e32 v54, 0x7fffff, v19
	v_cmp_ne_u64_e32 vcc_lo, 0x7f800000, v[24:25]
                                        ; implicit-def: $vgpr25
	s_and_saveexec_b32 s7, vcc_lo
	s_delay_alu instid0(SALU_CYCLE_1)
	s_xor_b32 s25, exec_lo, s7
	s_cbranch_execz .LBB4_5390
; %bb.5373:                             ;   in Loop: Header=BB4_4780 Depth=2
	v_and_b32_e32 v24, 0x7fffffff, v19
	v_dual_mov_b32 v25, v55 :: v_dual_lshrrev_b32 v17, 24, v19
	s_delay_alu instid0(VALU_DEP_1) | instskip(NEXT) | instid1(VALU_DEP_2)
	v_cmp_gt_u64_e32 vcc_lo, 0x47600001, v[24:25]
	v_and_b32_e32 v17, 0x80, v17
                                        ; implicit-def: $vgpr25
	s_and_saveexec_b32 s7, vcc_lo
	s_delay_alu instid0(SALU_CYCLE_1)
	s_xor_b32 s26, exec_lo, s7
	s_cbranch_execz .LBB4_5387
; %bb.5374:                             ;   in Loop: Header=BB4_4780 Depth=2
	v_mov_b32_e32 v25, 0
	s_mov_b32 s27, exec_lo
	v_cmpx_ne_u32_e32 0, v19
	s_cbranch_execz .LBB4_5386
; %bb.5375:                             ;   in Loop: Header=BB4_4780 Depth=2
	v_bfe_u32 v19, v19, 23, 8
	v_or_b32_e32 v84, 0x800000, v54
	s_delay_alu instid0(VALU_DEP_2) | instskip(SKIP_1) | instid1(VALU_DEP_2)
	v_sub_nc_u32_e32 v21, 0x71, v19
	v_cmp_gt_u32_e32 vcc_lo, 0x72, v19
	v_cndmask_b32_e32 v21, 0, v21, vcc_lo
	v_cmp_eq_u32_e32 vcc_lo, 0, v19
	s_delay_alu instid0(VALU_DEP_2) | instskip(NEXT) | instid1(VALU_DEP_1)
	v_cndmask_b32_e64 v21, v21, 0x70, vcc_lo
	v_dual_cndmask_b32 v54, v84, v54 :: v_dual_add_nc_u32 v23, 21, v21
	s_delay_alu instid0(VALU_DEP_1) | instskip(SKIP_1) | instid1(VALU_DEP_1)
	v_lshlrev_b64_e64 v[24:25], v23, -1
	v_add_nc_u32_e32 v23, 20, v21
	v_lshlrev_b64_e64 v[84:85], v23, 1
	s_delay_alu instid0(VALU_DEP_3) | instskip(NEXT) | instid1(VALU_DEP_4)
	v_bfi_b32 v97, v25, 0, 0
	v_bfi_b32 v96, v24, 0, v54
	v_lshrrev_b64 v[24:25], v21, v[54:55]
	s_delay_alu instid0(VALU_DEP_2) | instskip(NEXT) | instid1(VALU_DEP_2)
	v_cmp_eq_u64_e64 s7, v[96:97], v[84:85]
	v_mov_b64_e32 v[84:85], v[24:25]
	s_and_saveexec_b32 s28, s7
; %bb.5376:                             ;   in Loop: Header=BB4_4780 Depth=2
	v_bfe_u32 v54, v24, 21, 1
	s_delay_alu instid0(VALU_DEP_1) | instskip(NEXT) | instid1(VALU_DEP_1)
	v_add_nc_u64_e32 v[84:85], v[24:25], v[54:55]
	v_add_nc_u64_e32 v[84:85], -1, v[84:85]
; %bb.5377:                             ;   in Loop: Header=BB4_4780 Depth=2
	s_or_b32 exec_lo, exec_lo, s28
	v_add_nc_u32_e32 v19, 0xffffff81, v19
	v_lshrrev_b32_e32 v23, 23, v24
	s_mov_b32 s7, exec_lo
	s_delay_alu instid0(VALU_DEP_2) | instskip(NEXT) | instid1(VALU_DEP_1)
	v_cndmask_b32_e64 v19, v19, 0xffffff82, vcc_lo
	v_add3_u32 v21, v21, v19, v23
	v_and_b32_e32 v19, 0x1fffff, v84
	s_delay_alu instid0(VALU_DEP_1) | instskip(NEXT) | instid1(VALU_DEP_1)
	v_dual_add_nc_u32 v23, 14, v21 :: v_dual_add_nc_u32 v54, v19, v24
                                        ; implicit-def: $vgpr24_vgpr25
                                        ; implicit-def: $vgpr19
	v_cmpx_ne_u32_e32 0, v23
	s_xor_b32 s7, exec_lo, s7
; %bb.5378:                             ;   in Loop: Header=BB4_4780 Depth=2
	s_delay_alu instid0(VALU_DEP_2) | instskip(SKIP_2) | instid1(VALU_DEP_2)
	v_cmp_lt_u64_e32 vcc_lo, 0xffffff, v[54:55]
	v_add_nc_u32_e32 v19, 15, v21
	v_cndmask_b32_e64 v21, 0, 1, vcc_lo
	v_cndmask_b32_e32 v19, v23, v19, vcc_lo
	s_delay_alu instid0(VALU_DEP_2)
	v_lshrrev_b64 v[24:25], v21, v[54:55]
; %bb.5379:                             ;   in Loop: Header=BB4_4780 Depth=2
	s_and_not1_saveexec_b32 s7, s7
; %bb.5380:                             ;   in Loop: Header=BB4_4780 Depth=2
	v_mov_b64_e32 v[24:25], v[54:55]
	v_bfe_u32 v19, v54, 23, 1
; %bb.5381:                             ;   in Loop: Header=BB4_4780 Depth=2
	s_or_b32 exec_lo, exec_lo, s7
	s_delay_alu instid0(VALU_DEP_2) | instskip(NEXT) | instid1(VALU_DEP_2)
	v_lshrrev_b64 v[24:25], 21, v[24:25]
	v_cmp_gt_i32_e32 vcc_lo, 32, v19
	v_cmp_ne_u32_e64 s7, 0, v19
	s_delay_alu instid0(VALU_DEP_3) | instskip(NEXT) | instid1(VALU_DEP_1)
	v_dual_cndmask_b32 v25, 0, v25 :: v_dual_cndmask_b32 v24, 3, v24
	v_cmp_ne_u64_e32 vcc_lo, 0, v[24:25]
                                        ; implicit-def: $vgpr25
	s_or_b32 s7, s7, vcc_lo
	s_delay_alu instid0(SALU_CYCLE_1) | instskip(NEXT) | instid1(SALU_CYCLE_1)
	s_and_saveexec_b32 s28, s7
	s_xor_b32 s7, exec_lo, s28
; %bb.5382:                             ;   in Loop: Header=BB4_4780 Depth=2
	v_min_i32_e32 v19, 31, v19
	s_delay_alu instid0(VALU_DEP_1) | instskip(NEXT) | instid1(VALU_DEP_1)
	v_lshl_or_b32 v17, v19, 2, v17
	v_and_or_b32 v25, v24, 3, v17
                                        ; implicit-def: $vgpr17
; %bb.5383:                             ;   in Loop: Header=BB4_4780 Depth=2
	s_and_not1_saveexec_b32 s7, s7
; %bb.5384:                             ;   in Loop: Header=BB4_4780 Depth=2
	v_mov_b32_e32 v25, v17
; %bb.5385:                             ;   in Loop: Header=BB4_4780 Depth=2
	s_or_b32 exec_lo, exec_lo, s7
.LBB4_5386:                             ;   in Loop: Header=BB4_4780 Depth=2
	s_delay_alu instid0(SALU_CYCLE_1)
	s_or_b32 exec_lo, exec_lo, s27
                                        ; implicit-def: $vgpr17
.LBB4_5387:                             ;   in Loop: Header=BB4_4780 Depth=2
	s_and_not1_saveexec_b32 s7, s26
; %bb.5388:                             ;   in Loop: Header=BB4_4780 Depth=2
	v_or_b32_e32 v25, 0x7b, v17
; %bb.5389:                             ;   in Loop: Header=BB4_4780 Depth=2
	s_or_b32 exec_lo, exec_lo, s7
                                        ; implicit-def: $vgpr19
.LBB4_5390:                             ;   in Loop: Header=BB4_4780 Depth=2
	s_and_not1_saveexec_b32 s7, s25
	s_cbranch_execz .LBB4_5396
; %bb.5391:                             ;   in Loop: Header=BB4_4780 Depth=2
	s_mov_b32 s25, exec_lo
                                        ; implicit-def: $vgpr25
	v_cmpx_ne_u64_e32 0, v[54:55]
	s_xor_b32 s25, exec_lo, s25
; %bb.5392:                             ;   in Loop: Header=BB4_4780 Depth=2
	v_lshrrev_b32_e32 v17, 24, v19
                                        ; implicit-def: $vgpr19
	s_delay_alu instid0(VALU_DEP_1)
	v_or_b32_e32 v25, 0x7f, v17
; %bb.5393:                             ;   in Loop: Header=BB4_4780 Depth=2
	s_and_not1_saveexec_b32 s25, s25
; %bb.5394:                             ;   in Loop: Header=BB4_4780 Depth=2
	v_cmp_lt_i32_e32 vcc_lo, -1, v19
	v_cndmask_b32_e64 v25, -4, 0x7c, vcc_lo
; %bb.5395:                             ;   in Loop: Header=BB4_4780 Depth=2
	s_or_b32 exec_lo, exec_lo, s25
.LBB4_5396:                             ;   in Loop: Header=BB4_4780 Depth=2
	s_delay_alu instid0(SALU_CYCLE_1)
	s_or_b32 exec_lo, exec_lo, s7
	v_dual_mov_b32 v17, 0 :: v_dual_mov_b32 v19, 0
	s_mov_b32 s7, exec_lo
	v_cmpx_ne_u16_e32 0, v22
	s_cbranch_execz .LBB4_5406
; %bb.5397:                             ;   in Loop: Header=BB4_4780 Depth=2
	v_bfrev_b32_e32 v19, 1
	s_mov_b32 s25, exec_lo
	v_cmpx_ne_u16_e32 0xff80, v22
	s_cbranch_execz .LBB4_5405
; %bb.5398:                             ;   in Loop: Header=BB4_4780 Depth=2
	v_and_b32_e32 v19, 0x7c, v22
	v_and_b32_e32 v21, 3, v22
	s_delay_alu instid0(VALU_DEP_2) | instskip(SKIP_1) | instid1(SALU_CYCLE_1)
	v_cmp_ne_u32_e32 vcc_lo, 0x7c, v19
                                        ; implicit-def: $vgpr19
	s_and_saveexec_b32 s26, vcc_lo
	s_xor_b32 s26, exec_lo, s26
	s_cbranch_execz .LBB4_5402
; %bb.5399:                             ;   in Loop: Header=BB4_4780 Depth=2
	v_and_b32_e32 v19, 0xff, v22
	s_mov_b32 s27, exec_lo
	s_delay_alu instid0(VALU_DEP_1) | instskip(NEXT) | instid1(VALU_DEP_1)
	v_bfe_u32 v19, v19, 2, 5
	v_cmpx_eq_u32_e32 0, v19
	s_cbranch_execz .LBB4_5401
; %bb.5400:                             ;   in Loop: Header=BB4_4780 Depth=2
	v_clz_i32_u32_e32 v19, v21
	s_delay_alu instid0(VALU_DEP_1) | instskip(SKIP_1) | instid1(VALU_DEP_2)
	v_min_u32_e32 v19, 32, v19
	v_mov_b32_e32 v23, v55
	v_subrev_nc_u32_e32 v21, 29, v19
	v_sub_nc_u32_e32 v19, 30, v19
	s_delay_alu instid0(VALU_DEP_2) | instskip(NEXT) | instid1(VALU_DEP_1)
	v_lshlrev_b64_e32 v[84:85], v21, v[22:23]
	v_and_b32_e32 v21, 3, v84
.LBB4_5401:                             ;   in Loop: Header=BB4_4780 Depth=2
	s_or_b32 exec_lo, exec_lo, s27
	v_bfe_i32 v22, v22, 0, 16
	s_delay_alu instid0(VALU_DEP_1) | instskip(NEXT) | instid1(VALU_DEP_1)
	v_and_b32_e32 v22, 0x80000000, v22
	v_lshl_add_u32 v19, v19, 23, v22
                                        ; implicit-def: $vgpr22
	s_delay_alu instid0(VALU_DEP_1) | instskip(NEXT) | instid1(VALU_DEP_1)
	v_lshl_or_b32 v19, v21, 21, v19
                                        ; implicit-def: $vgpr21
	v_add_nc_u32_e32 v19, 0x38000000, v19
.LBB4_5402:                             ;   in Loop: Header=BB4_4780 Depth=2
	s_and_not1_saveexec_b32 s26, s26
; %bb.5403:                             ;   in Loop: Header=BB4_4780 Depth=2
	v_cmp_lt_i16_e32 vcc_lo, -1, v22
	v_cndmask_b32_e32 v19, 0xff800000, v109, vcc_lo
	v_cmp_eq_u32_e32 vcc_lo, 0, v21
	s_delay_alu instid0(VALU_DEP_2)
	v_cndmask_b32_e32 v19, 0x7f800001, v19, vcc_lo
; %bb.5404:                             ;   in Loop: Header=BB4_4780 Depth=2
	s_or_b32 exec_lo, exec_lo, s26
.LBB4_5405:                             ;   in Loop: Header=BB4_4780 Depth=2
	s_delay_alu instid0(SALU_CYCLE_1)
	s_or_b32 exec_lo, exec_lo, s25
.LBB4_5406:                             ;   in Loop: Header=BB4_4780 Depth=2
	s_delay_alu instid0(SALU_CYCLE_1) | instskip(NEXT) | instid1(SALU_CYCLE_1)
	s_or_b32 exec_lo, exec_lo, s7
	s_mov_b32 s7, exec_lo
	s_wait_loadcnt_dscnt 0x101
	v_cmpx_ne_u16_e32 0, v20
	s_cbranch_execz .LBB4_5416
; %bb.5407:                             ;   in Loop: Header=BB4_4780 Depth=2
	v_bfrev_b32_e32 v17, 1
	s_mov_b32 s25, exec_lo
	v_cmpx_ne_u16_e32 0xff80, v20
	s_cbranch_execz .LBB4_5415
; %bb.5408:                             ;   in Loop: Header=BB4_4780 Depth=2
	v_and_b32_e32 v17, 0x7c, v20
	v_and_b32_e32 v21, 3, v20
	s_delay_alu instid0(VALU_DEP_2) | instskip(SKIP_1) | instid1(SALU_CYCLE_1)
	v_cmp_ne_u32_e32 vcc_lo, 0x7c, v17
                                        ; implicit-def: $vgpr17
	s_and_saveexec_b32 s26, vcc_lo
	s_xor_b32 s26, exec_lo, s26
	s_cbranch_execz .LBB4_5412
; %bb.5409:                             ;   in Loop: Header=BB4_4780 Depth=2
	v_and_b32_e32 v17, 0xff, v20
	s_mov_b32 s27, exec_lo
	s_delay_alu instid0(VALU_DEP_1) | instskip(NEXT) | instid1(VALU_DEP_1)
	v_bfe_u32 v17, v17, 2, 5
	v_cmpx_eq_u32_e32 0, v17
	s_cbranch_execz .LBB4_5411
; %bb.5410:                             ;   in Loop: Header=BB4_4780 Depth=2
	v_clz_i32_u32_e32 v17, v21
	s_delay_alu instid0(VALU_DEP_1) | instskip(SKIP_1) | instid1(VALU_DEP_2)
	v_min_u32_e32 v17, 32, v17
	v_mov_b32_e32 v21, v55
	v_subrev_nc_u32_e32 v22, 29, v17
	v_sub_nc_u32_e32 v17, 30, v17
	s_delay_alu instid0(VALU_DEP_2) | instskip(NEXT) | instid1(VALU_DEP_1)
	v_lshlrev_b64_e32 v[22:23], v22, v[20:21]
	v_and_b32_e32 v21, 3, v22
.LBB4_5411:                             ;   in Loop: Header=BB4_4780 Depth=2
	s_or_b32 exec_lo, exec_lo, s27
	v_bfe_i32 v20, v20, 0, 16
	s_delay_alu instid0(VALU_DEP_1) | instskip(NEXT) | instid1(VALU_DEP_1)
	v_and_b32_e32 v20, 0x80000000, v20
	v_lshl_add_u32 v17, v17, 23, v20
                                        ; implicit-def: $vgpr20
	s_delay_alu instid0(VALU_DEP_1) | instskip(NEXT) | instid1(VALU_DEP_1)
	v_lshl_or_b32 v17, v21, 21, v17
                                        ; implicit-def: $vgpr21
	v_add_nc_u32_e32 v17, 0x38000000, v17
.LBB4_5412:                             ;   in Loop: Header=BB4_4780 Depth=2
	s_and_not1_saveexec_b32 s26, s26
; %bb.5413:                             ;   in Loop: Header=BB4_4780 Depth=2
	v_cmp_lt_i16_e32 vcc_lo, -1, v20
	v_cndmask_b32_e32 v17, 0xff800000, v109, vcc_lo
	v_cmp_eq_u32_e32 vcc_lo, 0, v21
	s_delay_alu instid0(VALU_DEP_2)
	v_cndmask_b32_e32 v17, 0x7f800001, v17, vcc_lo
; %bb.5414:                             ;   in Loop: Header=BB4_4780 Depth=2
	s_or_b32 exec_lo, exec_lo, s26
.LBB4_5415:                             ;   in Loop: Header=BB4_4780 Depth=2
	s_delay_alu instid0(SALU_CYCLE_1)
	s_or_b32 exec_lo, exec_lo, s25
.LBB4_5416:                             ;   in Loop: Header=BB4_4780 Depth=2
	s_delay_alu instid0(SALU_CYCLE_1) | instskip(NEXT) | instid1(VALU_DEP_1)
	s_or_b32 exec_lo, exec_lo, s7
	v_mul_f32_e32 v19, v19, v17
	v_mov_b32_e32 v21, v55
	s_delay_alu instid0(VALU_DEP_2) | instskip(SKIP_1) | instid1(VALU_DEP_2)
	v_and_b32_e32 v20, 0x7f800000, v19
	v_and_b32_e32 v54, 0x7fffff, v19
	v_cmp_ne_u64_e32 vcc_lo, 0x7f800000, v[20:21]
                                        ; implicit-def: $vgpr21
	s_and_saveexec_b32 s7, vcc_lo
	s_delay_alu instid0(SALU_CYCLE_1)
	s_xor_b32 s25, exec_lo, s7
	s_cbranch_execz .LBB4_5434
; %bb.5417:                             ;   in Loop: Header=BB4_4780 Depth=2
	v_and_b32_e32 v20, 0x7fffffff, v19
	v_dual_mov_b32 v21, v55 :: v_dual_lshrrev_b32 v17, 24, v19
	s_delay_alu instid0(VALU_DEP_1) | instskip(NEXT) | instid1(VALU_DEP_2)
	v_cmp_gt_u64_e32 vcc_lo, 0x47600001, v[20:21]
	v_and_b32_e32 v17, 0x80, v17
                                        ; implicit-def: $vgpr21
	s_and_saveexec_b32 s7, vcc_lo
	s_delay_alu instid0(SALU_CYCLE_1)
	s_xor_b32 s26, exec_lo, s7
	s_cbranch_execz .LBB4_5431
; %bb.5418:                             ;   in Loop: Header=BB4_4780 Depth=2
	v_mov_b32_e32 v21, 0
	s_mov_b32 s27, exec_lo
	v_cmpx_ne_u32_e32 0, v19
	s_cbranch_execz .LBB4_5430
; %bb.5419:                             ;   in Loop: Header=BB4_4780 Depth=2
	v_bfe_u32 v19, v19, 23, 8
	v_or_b32_e32 v22, 0x800000, v54
	s_delay_alu instid0(VALU_DEP_2) | instskip(SKIP_1) | instid1(VALU_DEP_2)
	v_sub_nc_u32_e32 v20, 0x71, v19
	v_cmp_gt_u32_e32 vcc_lo, 0x72, v19
	v_cndmask_b32_e32 v20, 0, v20, vcc_lo
	v_cmp_eq_u32_e32 vcc_lo, 0, v19
	v_cndmask_b32_e32 v54, v22, v54, vcc_lo
	s_delay_alu instid0(VALU_DEP_3) | instskip(NEXT) | instid1(VALU_DEP_1)
	v_cndmask_b32_e64 v24, v20, 0x70, vcc_lo
	v_dual_add_nc_u32 v20, 21, v24 :: v_dual_add_nc_u32 v23, 20, v24
	s_delay_alu instid0(VALU_DEP_1) | instskip(NEXT) | instid1(VALU_DEP_2)
	v_lshlrev_b64_e64 v[20:21], v20, -1
	v_lshlrev_b64_e64 v[22:23], v23, 1
	s_delay_alu instid0(VALU_DEP_2) | instskip(NEXT) | instid1(VALU_DEP_3)
	v_bfi_b32 v85, v21, 0, 0
	v_bfi_b32 v84, v20, 0, v54
	v_lshrrev_b64 v[20:21], v24, v[54:55]
	s_delay_alu instid0(VALU_DEP_2) | instskip(NEXT) | instid1(VALU_DEP_2)
	v_cmp_eq_u64_e64 s7, v[84:85], v[22:23]
	v_mov_b64_e32 v[22:23], v[20:21]
	s_and_saveexec_b32 s28, s7
; %bb.5420:                             ;   in Loop: Header=BB4_4780 Depth=2
	v_bfe_u32 v54, v20, 21, 1
	s_delay_alu instid0(VALU_DEP_1) | instskip(NEXT) | instid1(VALU_DEP_1)
	v_add_nc_u64_e32 v[22:23], v[20:21], v[54:55]
	v_add_nc_u64_e32 v[22:23], -1, v[22:23]
; %bb.5421:                             ;   in Loop: Header=BB4_4780 Depth=2
	s_or_b32 exec_lo, exec_lo, s28
	v_add_nc_u32_e32 v19, 0xffffff81, v19
	v_lshrrev_b32_e32 v21, 23, v20
	s_mov_b32 s7, exec_lo
	s_delay_alu instid0(VALU_DEP_2) | instskip(NEXT) | instid1(VALU_DEP_1)
	v_cndmask_b32_e64 v19, v19, 0xffffff82, vcc_lo
	v_add3_u32 v23, v24, v19, v21
	v_and_b32_e32 v19, 0x1fffff, v22
	s_delay_alu instid0(VALU_DEP_1) | instskip(NEXT) | instid1(VALU_DEP_1)
	v_dual_add_nc_u32 v22, 14, v23 :: v_dual_add_nc_u32 v54, v19, v20
                                        ; implicit-def: $vgpr20_vgpr21
                                        ; implicit-def: $vgpr19
	v_cmpx_ne_u32_e32 0, v22
	s_xor_b32 s7, exec_lo, s7
; %bb.5422:                             ;   in Loop: Header=BB4_4780 Depth=2
	s_delay_alu instid0(VALU_DEP_2) | instskip(SKIP_2) | instid1(VALU_DEP_2)
	v_cmp_lt_u64_e32 vcc_lo, 0xffffff, v[54:55]
	v_add_nc_u32_e32 v19, 15, v23
	v_cndmask_b32_e64 v20, 0, 1, vcc_lo
	v_cndmask_b32_e32 v19, v22, v19, vcc_lo
	s_delay_alu instid0(VALU_DEP_2)
	v_lshrrev_b64 v[20:21], v20, v[54:55]
; %bb.5423:                             ;   in Loop: Header=BB4_4780 Depth=2
	s_and_not1_saveexec_b32 s7, s7
; %bb.5424:                             ;   in Loop: Header=BB4_4780 Depth=2
	v_mov_b64_e32 v[20:21], v[54:55]
	v_bfe_u32 v19, v54, 23, 1
; %bb.5425:                             ;   in Loop: Header=BB4_4780 Depth=2
	s_or_b32 exec_lo, exec_lo, s7
	s_delay_alu instid0(VALU_DEP_2) | instskip(NEXT) | instid1(VALU_DEP_2)
	v_lshrrev_b64 v[20:21], 21, v[20:21]
	v_cmp_gt_i32_e32 vcc_lo, 32, v19
	v_cmp_ne_u32_e64 s7, 0, v19
	s_delay_alu instid0(VALU_DEP_3) | instskip(NEXT) | instid1(VALU_DEP_1)
	v_dual_cndmask_b32 v21, 0, v21 :: v_dual_cndmask_b32 v20, 3, v20
	v_cmp_ne_u64_e32 vcc_lo, 0, v[20:21]
                                        ; implicit-def: $vgpr21
	s_or_b32 s7, s7, vcc_lo
	s_delay_alu instid0(SALU_CYCLE_1) | instskip(NEXT) | instid1(SALU_CYCLE_1)
	s_and_saveexec_b32 s28, s7
	s_xor_b32 s7, exec_lo, s28
; %bb.5426:                             ;   in Loop: Header=BB4_4780 Depth=2
	v_min_i32_e32 v19, 31, v19
	s_delay_alu instid0(VALU_DEP_1) | instskip(NEXT) | instid1(VALU_DEP_1)
	v_lshl_or_b32 v17, v19, 2, v17
	v_and_or_b32 v21, v20, 3, v17
                                        ; implicit-def: $vgpr17
; %bb.5427:                             ;   in Loop: Header=BB4_4780 Depth=2
	s_and_not1_saveexec_b32 s7, s7
; %bb.5428:                             ;   in Loop: Header=BB4_4780 Depth=2
	v_mov_b32_e32 v21, v17
; %bb.5429:                             ;   in Loop: Header=BB4_4780 Depth=2
	s_or_b32 exec_lo, exec_lo, s7
.LBB4_5430:                             ;   in Loop: Header=BB4_4780 Depth=2
	s_delay_alu instid0(SALU_CYCLE_1)
	s_or_b32 exec_lo, exec_lo, s27
                                        ; implicit-def: $vgpr17
.LBB4_5431:                             ;   in Loop: Header=BB4_4780 Depth=2
	s_and_not1_saveexec_b32 s7, s26
; %bb.5432:                             ;   in Loop: Header=BB4_4780 Depth=2
	v_or_b32_e32 v21, 0x7b, v17
; %bb.5433:                             ;   in Loop: Header=BB4_4780 Depth=2
	s_or_b32 exec_lo, exec_lo, s7
                                        ; implicit-def: $vgpr19
.LBB4_5434:                             ;   in Loop: Header=BB4_4780 Depth=2
	s_and_not1_saveexec_b32 s7, s25
	s_cbranch_execz .LBB4_5440
; %bb.5435:                             ;   in Loop: Header=BB4_4780 Depth=2
	s_mov_b32 s25, exec_lo
                                        ; implicit-def: $vgpr21
	v_cmpx_ne_u64_e32 0, v[54:55]
	s_xor_b32 s25, exec_lo, s25
; %bb.5436:                             ;   in Loop: Header=BB4_4780 Depth=2
	v_lshrrev_b32_e32 v17, 24, v19
                                        ; implicit-def: $vgpr19
	s_delay_alu instid0(VALU_DEP_1)
	v_or_b32_e32 v21, 0x7f, v17
; %bb.5437:                             ;   in Loop: Header=BB4_4780 Depth=2
	s_and_not1_saveexec_b32 s25, s25
; %bb.5438:                             ;   in Loop: Header=BB4_4780 Depth=2
	v_cmp_lt_i32_e32 vcc_lo, -1, v19
	v_cndmask_b32_e64 v21, -4, 0x7c, vcc_lo
; %bb.5439:                             ;   in Loop: Header=BB4_4780 Depth=2
	s_or_b32 exec_lo, exec_lo, s25
.LBB4_5440:                             ;   in Loop: Header=BB4_4780 Depth=2
	s_delay_alu instid0(SALU_CYCLE_1)
	s_or_b32 exec_lo, exec_lo, s7
	v_dual_mov_b32 v17, 0 :: v_dual_mov_b32 v19, 0
	s_mov_b32 s7, exec_lo
	v_cmpx_ne_u16_e32 0, v18
	s_cbranch_execz .LBB4_5450
; %bb.5441:                             ;   in Loop: Header=BB4_4780 Depth=2
	v_bfrev_b32_e32 v19, 1
	s_mov_b32 s25, exec_lo
	v_cmpx_ne_u16_e32 0xff80, v18
	s_cbranch_execz .LBB4_5449
; %bb.5442:                             ;   in Loop: Header=BB4_4780 Depth=2
	v_and_b32_e32 v19, 0x7c, v18
	v_and_b32_e32 v20, 3, v18
	s_delay_alu instid0(VALU_DEP_2) | instskip(SKIP_1) | instid1(SALU_CYCLE_1)
	v_cmp_ne_u32_e32 vcc_lo, 0x7c, v19
                                        ; implicit-def: $vgpr19
	s_and_saveexec_b32 s26, vcc_lo
	s_xor_b32 s26, exec_lo, s26
	s_cbranch_execz .LBB4_5446
; %bb.5443:                             ;   in Loop: Header=BB4_4780 Depth=2
	v_and_b32_e32 v19, 0xff, v18
	s_mov_b32 s27, exec_lo
	s_delay_alu instid0(VALU_DEP_1) | instskip(NEXT) | instid1(VALU_DEP_1)
	v_bfe_u32 v19, v19, 2, 5
	v_cmpx_eq_u32_e32 0, v19
; %bb.5444:                             ;   in Loop: Header=BB4_4780 Depth=2
	v_clz_i32_u32_e32 v19, v20
	s_delay_alu instid0(VALU_DEP_1) | instskip(SKIP_1) | instid1(VALU_DEP_2)
	v_min_u32_e32 v20, 32, v19
	v_mov_b32_e32 v19, v55
	v_subrev_nc_u32_e32 v22, 29, v20
	s_delay_alu instid0(VALU_DEP_1) | instskip(NEXT) | instid1(VALU_DEP_1)
	v_lshlrev_b64_e32 v[22:23], v22, v[18:19]
	v_dual_sub_nc_u32 v19, 30, v20 :: v_dual_bitop2_b32 v20, 3, v22 bitop3:0x40
; %bb.5445:                             ;   in Loop: Header=BB4_4780 Depth=2
	s_or_b32 exec_lo, exec_lo, s27
	v_bfe_i32 v18, v18, 0, 16
	s_delay_alu instid0(VALU_DEP_1) | instskip(NEXT) | instid1(VALU_DEP_1)
	v_and_b32_e32 v18, 0x80000000, v18
	v_lshl_add_u32 v18, v19, 23, v18
	s_delay_alu instid0(VALU_DEP_1) | instskip(NEXT) | instid1(VALU_DEP_1)
	v_lshl_or_b32 v18, v20, 21, v18
                                        ; implicit-def: $vgpr20
	v_add_nc_u32_e32 v19, 0x38000000, v18
                                        ; implicit-def: $vgpr18
.LBB4_5446:                             ;   in Loop: Header=BB4_4780 Depth=2
	s_and_not1_saveexec_b32 s26, s26
; %bb.5447:                             ;   in Loop: Header=BB4_4780 Depth=2
	v_cmp_lt_i16_e32 vcc_lo, -1, v18
	v_cndmask_b32_e32 v18, 0xff800000, v109, vcc_lo
	v_cmp_eq_u32_e32 vcc_lo, 0, v20
	s_delay_alu instid0(VALU_DEP_2)
	v_cndmask_b32_e32 v19, 0x7f800001, v18, vcc_lo
; %bb.5448:                             ;   in Loop: Header=BB4_4780 Depth=2
	s_or_b32 exec_lo, exec_lo, s26
.LBB4_5449:                             ;   in Loop: Header=BB4_4780 Depth=2
	s_delay_alu instid0(SALU_CYCLE_1)
	s_or_b32 exec_lo, exec_lo, s25
.LBB4_5450:                             ;   in Loop: Header=BB4_4780 Depth=2
	s_delay_alu instid0(SALU_CYCLE_1) | instskip(NEXT) | instid1(SALU_CYCLE_1)
	s_or_b32 exec_lo, exec_lo, s7
	s_mov_b32 s7, exec_lo
	s_wait_loadcnt_dscnt 0x0
	v_cmpx_ne_u16_e32 0, v16
	s_cbranch_execz .LBB4_5460
; %bb.5451:                             ;   in Loop: Header=BB4_4780 Depth=2
	v_bfrev_b32_e32 v17, 1
	s_mov_b32 s25, exec_lo
	v_cmpx_ne_u16_e32 0xff80, v16
	s_cbranch_execz .LBB4_5459
; %bb.5452:                             ;   in Loop: Header=BB4_4780 Depth=2
	v_and_b32_e32 v17, 0x7c, v16
	v_and_b32_e32 v18, 3, v16
	s_delay_alu instid0(VALU_DEP_2) | instskip(SKIP_1) | instid1(SALU_CYCLE_1)
	v_cmp_ne_u32_e32 vcc_lo, 0x7c, v17
                                        ; implicit-def: $vgpr17
	s_and_saveexec_b32 s26, vcc_lo
	s_xor_b32 s26, exec_lo, s26
	s_cbranch_execz .LBB4_5456
; %bb.5453:                             ;   in Loop: Header=BB4_4780 Depth=2
	v_and_b32_e32 v17, 0xff, v16
	s_mov_b32 s27, exec_lo
	s_delay_alu instid0(VALU_DEP_1) | instskip(NEXT) | instid1(VALU_DEP_1)
	v_bfe_u32 v17, v17, 2, 5
	v_cmpx_eq_u32_e32 0, v17
	s_cbranch_execz .LBB4_5455
; %bb.5454:                             ;   in Loop: Header=BB4_4780 Depth=2
	v_clz_i32_u32_e32 v17, v18
	s_delay_alu instid0(VALU_DEP_1) | instskip(SKIP_1) | instid1(VALU_DEP_2)
	v_min_u32_e32 v18, 32, v17
	v_mov_b32_e32 v17, v55
	v_subrev_nc_u32_e32 v20, 29, v18
	s_delay_alu instid0(VALU_DEP_1) | instskip(SKIP_1) | instid1(VALU_DEP_2)
	v_lshlrev_b64_e32 v[22:23], v20, v[16:17]
	v_sub_nc_u32_e32 v17, 30, v18
	v_and_b32_e32 v18, 3, v22
.LBB4_5455:                             ;   in Loop: Header=BB4_4780 Depth=2
	s_or_b32 exec_lo, exec_lo, s27
	v_bfe_i32 v16, v16, 0, 16
	s_delay_alu instid0(VALU_DEP_1) | instskip(NEXT) | instid1(VALU_DEP_1)
	v_and_b32_e32 v16, 0x80000000, v16
	v_lshl_add_u32 v16, v17, 23, v16
	s_delay_alu instid0(VALU_DEP_1) | instskip(NEXT) | instid1(VALU_DEP_1)
	v_lshl_or_b32 v16, v18, 21, v16
                                        ; implicit-def: $vgpr18
	v_add_nc_u32_e32 v17, 0x38000000, v16
                                        ; implicit-def: $vgpr16
.LBB4_5456:                             ;   in Loop: Header=BB4_4780 Depth=2
	s_and_not1_saveexec_b32 s26, s26
; %bb.5457:                             ;   in Loop: Header=BB4_4780 Depth=2
	v_cmp_lt_i16_e32 vcc_lo, -1, v16
	v_cndmask_b32_e32 v16, 0xff800000, v109, vcc_lo
	v_cmp_eq_u32_e32 vcc_lo, 0, v18
	s_delay_alu instid0(VALU_DEP_2)
	v_cndmask_b32_e32 v17, 0x7f800001, v16, vcc_lo
; %bb.5458:                             ;   in Loop: Header=BB4_4780 Depth=2
	s_or_b32 exec_lo, exec_lo, s26
.LBB4_5459:                             ;   in Loop: Header=BB4_4780 Depth=2
	s_delay_alu instid0(SALU_CYCLE_1)
	s_or_b32 exec_lo, exec_lo, s25
.LBB4_5460:                             ;   in Loop: Header=BB4_4780 Depth=2
	s_delay_alu instid0(SALU_CYCLE_1) | instskip(NEXT) | instid1(VALU_DEP_1)
	s_or_b32 exec_lo, exec_lo, s7
	v_mul_f32_e32 v16, v19, v17
	v_mov_b32_e32 v19, v55
                                        ; implicit-def: $vgpr17
	s_mov_b32 s7, exec_lo
	s_delay_alu instid0(VALU_DEP_2) | instskip(SKIP_1) | instid1(VALU_DEP_2)
	v_and_b32_e32 v18, 0x7f800000, v16
	v_and_b32_e32 v54, 0x7fffff, v16
	v_cmpx_ne_u64_e32 0x7f800000, v[18:19]
	s_xor_b32 s25, exec_lo, s7
	s_cbranch_execz .LBB4_5478
; %bb.5461:                             ;   in Loop: Header=BB4_4780 Depth=2
	v_dual_mov_b32 v19, v55 :: v_dual_lshrrev_b32 v17, 24, v16
	v_and_b32_e32 v18, 0x7fffffff, v16
	s_mov_b32 s7, exec_lo
	s_delay_alu instid0(VALU_DEP_2) | instskip(NEXT) | instid1(VALU_DEP_2)
	v_and_b32_e32 v20, 0x80, v17
                                        ; implicit-def: $vgpr17
	v_cmpx_gt_u64_e32 0x47600001, v[18:19]
	s_xor_b32 s26, exec_lo, s7
	s_cbranch_execz .LBB4_5475
; %bb.5462:                             ;   in Loop: Header=BB4_4780 Depth=2
	v_mov_b32_e32 v17, 0
	s_mov_b32 s27, exec_lo
	v_cmpx_ne_u32_e32 0, v16
	s_cbranch_execz .LBB4_5474
; %bb.5463:                             ;   in Loop: Header=BB4_4780 Depth=2
	v_bfe_u32 v22, v16, 23, 8
	v_or_b32_e32 v18, 0x800000, v54
	s_delay_alu instid0(VALU_DEP_2) | instskip(SKIP_1) | instid1(VALU_DEP_2)
	v_sub_nc_u32_e32 v16, 0x71, v22
	v_cmp_gt_u32_e32 vcc_lo, 0x72, v22
	v_cndmask_b32_e32 v16, 0, v16, vcc_lo
	v_cmp_eq_u32_e32 vcc_lo, 0, v22
	s_delay_alu instid0(VALU_DEP_2) | instskip(NEXT) | instid1(VALU_DEP_1)
	v_cndmask_b32_e64 v23, v16, 0x70, vcc_lo
	v_dual_cndmask_b32 v54, v18, v54, vcc_lo :: v_dual_add_nc_u32 v16, 21, v23
	v_add_nc_u32_e32 v19, 20, v23
	s_delay_alu instid0(VALU_DEP_2) | instskip(NEXT) | instid1(VALU_DEP_2)
	v_lshlrev_b64_e64 v[16:17], v16, -1
	v_lshlrev_b64_e64 v[18:19], v19, 1
	s_delay_alu instid0(VALU_DEP_2) | instskip(NEXT) | instid1(VALU_DEP_3)
	v_bfi_b32 v85, v17, 0, 0
	v_bfi_b32 v84, v16, 0, v54
	v_lshrrev_b64 v[16:17], v23, v[54:55]
	s_delay_alu instid0(VALU_DEP_2) | instskip(NEXT) | instid1(VALU_DEP_2)
	v_cmp_eq_u64_e64 s7, v[84:85], v[18:19]
	v_mov_b64_e32 v[18:19], v[16:17]
	s_and_saveexec_b32 s28, s7
; %bb.5464:                             ;   in Loop: Header=BB4_4780 Depth=2
	v_bfe_u32 v54, v16, 21, 1
	s_delay_alu instid0(VALU_DEP_1) | instskip(NEXT) | instid1(VALU_DEP_1)
	v_add_nc_u64_e32 v[18:19], v[16:17], v[54:55]
	v_add_nc_u64_e32 v[18:19], -1, v[18:19]
; %bb.5465:                             ;   in Loop: Header=BB4_4780 Depth=2
	s_or_b32 exec_lo, exec_lo, s28
	v_add_nc_u32_e32 v17, 0xffffff81, v22
	v_lshrrev_b32_e32 v19, 23, v16
	s_mov_b32 s7, exec_lo
	s_delay_alu instid0(VALU_DEP_2) | instskip(NEXT) | instid1(VALU_DEP_1)
	v_cndmask_b32_e64 v17, v17, 0xffffff82, vcc_lo
	v_add3_u32 v19, v23, v17, v19
	v_and_b32_e32 v17, 0x1fffff, v18
                                        ; implicit-def: $vgpr18
	s_delay_alu instid0(VALU_DEP_1) | instskip(NEXT) | instid1(VALU_DEP_1)
	v_dual_add_nc_u32 v22, 14, v19 :: v_dual_add_nc_u32 v54, v17, v16
                                        ; implicit-def: $vgpr16_vgpr17
	v_cmpx_ne_u32_e32 0, v22
	s_xor_b32 s7, exec_lo, s7
; %bb.5466:                             ;   in Loop: Header=BB4_4780 Depth=2
	s_delay_alu instid0(VALU_DEP_2) | instskip(SKIP_1) | instid1(VALU_DEP_1)
	v_cmp_lt_u64_e32 vcc_lo, 0xffffff, v[54:55]
	v_add_nc_u32_e32 v16, 15, v19
	v_cndmask_b32_e32 v18, v22, v16, vcc_lo
	v_cndmask_b32_e64 v16, 0, 1, vcc_lo
	s_delay_alu instid0(VALU_DEP_1)
	v_lshrrev_b64 v[16:17], v16, v[54:55]
; %bb.5467:                             ;   in Loop: Header=BB4_4780 Depth=2
	s_and_not1_saveexec_b32 s7, s7
; %bb.5468:                             ;   in Loop: Header=BB4_4780 Depth=2
	v_mov_b64_e32 v[16:17], v[54:55]
	v_bfe_u32 v18, v54, 23, 1
; %bb.5469:                             ;   in Loop: Header=BB4_4780 Depth=2
	s_or_b32 exec_lo, exec_lo, s7
	s_delay_alu instid0(VALU_DEP_2) | instskip(NEXT) | instid1(VALU_DEP_2)
	v_lshrrev_b64 v[16:17], 21, v[16:17]
	v_cmp_gt_i32_e32 vcc_lo, 32, v18
	v_cmp_ne_u32_e64 s7, 0, v18
	s_delay_alu instid0(VALU_DEP_3) | instskip(NEXT) | instid1(VALU_DEP_1)
	v_dual_cndmask_b32 v17, 0, v17 :: v_dual_cndmask_b32 v16, 3, v16
	v_cmp_ne_u64_e32 vcc_lo, 0, v[16:17]
                                        ; implicit-def: $vgpr17
	s_or_b32 s7, s7, vcc_lo
	s_delay_alu instid0(SALU_CYCLE_1) | instskip(NEXT) | instid1(SALU_CYCLE_1)
	s_and_saveexec_b32 s28, s7
	s_xor_b32 s7, exec_lo, s28
; %bb.5470:                             ;   in Loop: Header=BB4_4780 Depth=2
	v_min_i32_e32 v17, 31, v18
	s_delay_alu instid0(VALU_DEP_1) | instskip(NEXT) | instid1(VALU_DEP_1)
	v_lshl_or_b32 v17, v17, 2, v20
                                        ; implicit-def: $vgpr20
	v_and_or_b32 v17, v16, 3, v17
; %bb.5471:                             ;   in Loop: Header=BB4_4780 Depth=2
	s_and_not1_saveexec_b32 s7, s7
; %bb.5472:                             ;   in Loop: Header=BB4_4780 Depth=2
	v_mov_b32_e32 v17, v20
; %bb.5473:                             ;   in Loop: Header=BB4_4780 Depth=2
	s_or_b32 exec_lo, exec_lo, s7
.LBB4_5474:                             ;   in Loop: Header=BB4_4780 Depth=2
	s_delay_alu instid0(SALU_CYCLE_1)
	s_or_b32 exec_lo, exec_lo, s27
                                        ; implicit-def: $vgpr20
.LBB4_5475:                             ;   in Loop: Header=BB4_4780 Depth=2
	s_and_not1_saveexec_b32 s7, s26
; %bb.5476:                             ;   in Loop: Header=BB4_4780 Depth=2
	v_or_b32_e32 v17, 0x7b, v20
; %bb.5477:                             ;   in Loop: Header=BB4_4780 Depth=2
	s_or_b32 exec_lo, exec_lo, s7
                                        ; implicit-def: $vgpr16
.LBB4_5478:                             ;   in Loop: Header=BB4_4780 Depth=2
	s_and_not1_saveexec_b32 s7, s25
	s_cbranch_execz .LBB4_4779
; %bb.5479:                             ;   in Loop: Header=BB4_4780 Depth=2
	s_mov_b32 s25, exec_lo
                                        ; implicit-def: $vgpr17
	v_cmpx_ne_u64_e32 0, v[54:55]
	s_xor_b32 s25, exec_lo, s25
; %bb.5480:                             ;   in Loop: Header=BB4_4780 Depth=2
	v_lshrrev_b32_e32 v16, 24, v16
	s_delay_alu instid0(VALU_DEP_1)
	v_or_b32_e32 v17, 0x7f, v16
                                        ; implicit-def: $vgpr16
; %bb.5481:                             ;   in Loop: Header=BB4_4780 Depth=2
	s_and_not1_saveexec_b32 s25, s25
	s_cbranch_execz .LBB4_4778
; %bb.5482:                             ;   in Loop: Header=BB4_4780 Depth=2
	v_cmp_lt_i32_e32 vcc_lo, -1, v16
	v_cndmask_b32_e64 v17, -4, 0x7c, vcc_lo
	s_branch .LBB4_4778
.LBB4_5483:                             ;   in Loop: Header=BB4_2835 Depth=1
	s_or_b32 exec_lo, exec_lo, s24
.LBB4_5484:                             ;   in Loop: Header=BB4_2835 Depth=1
	s_delay_alu instid0(SALU_CYCLE_1) | instskip(SKIP_1) | instid1(VALU_DEP_1)
	s_or_b32 exec_lo, exec_lo, s23
	v_and_b32_e32 v10, 0xfffffe00, v122
	v_cmp_ne_u32_e32 vcc_lo, v122, v10
	s_and_b32 exec_lo, exec_lo, vcc_lo
	s_cbranch_execz .LBB4_5532
; %bb.5485:                             ;   in Loop: Header=BB4_2835 Depth=1
	v_dual_add_nc_u32 v3, v123, v3 :: v_dual_lshlrev_b32 v0, 5, v0
	s_delay_alu instid0(VALU_DEP_1) | instskip(NEXT) | instid1(VALU_DEP_1)
	v_and_b32_e32 v3, 0xffffffe0, v3
	v_sub_nc_u32_e32 v3, v123, v3
	s_delay_alu instid0(VALU_DEP_1) | instskip(SKIP_1) | instid1(VALU_DEP_1)
	v_sub_nc_u32_e32 v3, v3, v0
	v_and_b32_e32 v0, 0x1ff, v122
	v_sub_nc_u32_e32 v0, v0, v3
	s_delay_alu instid0(VALU_DEP_1)
	v_cmp_lt_i32_e32 vcc_lo, 0, v0
	s_and_b32 exec_lo, exec_lo, vcc_lo
	s_cbranch_execz .LBB4_5532
; %bb.5486:                             ;   in Loop: Header=BB4_2835 Depth=1
	s_trap 2
	ds_load_b128 v[12:15], v0
	ds_load_b64 v[16:17], v0
	v_add3_u32 v18, v10, v30, v3
	s_mov_b32 s23, 0
	s_delay_alu instid0(VALU_DEP_1) | instskip(SKIP_1) | instid1(VALU_DEP_1)
	v_ashrrev_i32_e32 v19, 31, v18
	s_wait_dscnt 0x1
	v_add_nc_u64_e32 v[10:11], v[12:13], v[18:19]
	v_add_nc_u64_e32 v[12:13], v[14:15], v[18:19]
	s_wait_dscnt 0x0
	v_add_nc_u64_e32 v[14:15], v[16:17], v[18:19]
	s_branch .LBB4_5489
.LBB4_5487:                             ;   in Loop: Header=BB4_5489 Depth=2
	s_or_b32 exec_lo, exec_lo, s24
.LBB4_5488:                             ;   in Loop: Header=BB4_5489 Depth=2
	s_delay_alu instid0(SALU_CYCLE_1)
	s_or_b32 exec_lo, exec_lo, s7
	v_sub_nc_u32_e32 v0, v0, v64
	flat_store_b8 v[14:15], v17 th:TH_STORE_NT
	v_add_nc_u64_e32 v[10:11], v[10:11], v[64:65]
	v_add_nc_u64_e32 v[12:13], v[12:13], v[64:65]
	s_wait_xcnt 0x0
	v_add_nc_u64_e32 v[14:15], v[14:15], v[64:65]
	v_cmp_gt_i32_e32 vcc_lo, 1, v0
	s_or_b32 s23, vcc_lo, s23
	s_delay_alu instid0(SALU_CYCLE_1)
	s_and_not1_b32 exec_lo, exec_lo, s23
	s_cbranch_execz .LBB4_5532
.LBB4_5489:                             ;   Parent Loop BB4_2835 Depth=1
                                        ; =>  This Inner Loop Header: Depth=2
	flat_load_i8 v54, v[10:11] th:TH_LOAD_NT
	flat_load_i8 v16, v[12:13] th:TH_LOAD_NT
	v_dual_mov_b32 v3, 0 :: v_dual_mov_b32 v18, 0
	s_mov_b32 s7, exec_lo
	s_wait_loadcnt_dscnt 0x101
	s_wait_xcnt 0x0
	v_cmpx_ne_u16_e32 0, v54
	s_cbranch_execz .LBB4_5499
; %bb.5490:                             ;   in Loop: Header=BB4_5489 Depth=2
	v_bfrev_b32_e32 v18, 1
	s_mov_b32 s24, exec_lo
	v_cmpx_ne_u16_e32 0xff80, v54
	s_cbranch_execz .LBB4_5498
; %bb.5491:                             ;   in Loop: Header=BB4_5489 Depth=2
	v_and_b32_e32 v18, 0x7c, v54
	v_and_b32_e32 v17, 3, v54
	s_delay_alu instid0(VALU_DEP_2) | instskip(SKIP_1) | instid1(SALU_CYCLE_1)
	v_cmp_ne_u32_e32 vcc_lo, 0x7c, v18
                                        ; implicit-def: $vgpr18
	s_and_saveexec_b32 s25, vcc_lo
	s_xor_b32 s25, exec_lo, s25
	s_cbranch_execz .LBB4_5495
; %bb.5492:                             ;   in Loop: Header=BB4_5489 Depth=2
	v_and_b32_e32 v18, 0xff, v54
	s_mov_b32 s26, exec_lo
	s_delay_alu instid0(VALU_DEP_1) | instskip(NEXT) | instid1(VALU_DEP_1)
	v_bfe_u32 v18, v18, 2, 5
	v_cmpx_eq_u32_e32 0, v18
; %bb.5493:                             ;   in Loop: Header=BB4_5489 Depth=2
	v_clz_i32_u32_e32 v17, v17
	s_delay_alu instid0(VALU_DEP_1) | instskip(NEXT) | instid1(VALU_DEP_1)
	v_min_u32_e32 v17, 32, v17
	v_subrev_nc_u32_e32 v18, 29, v17
	s_delay_alu instid0(VALU_DEP_1) | instskip(NEXT) | instid1(VALU_DEP_1)
	v_lshlrev_b64_e32 v[20:21], v18, v[54:55]
	v_dual_sub_nc_u32 v18, 30, v17 :: v_dual_bitop2_b32 v17, 3, v20 bitop3:0x40
; %bb.5494:                             ;   in Loop: Header=BB4_5489 Depth=2
	s_or_b32 exec_lo, exec_lo, s26
	v_bfe_i32 v19, v54, 0, 16
	s_delay_alu instid0(VALU_DEP_1) | instskip(NEXT) | instid1(VALU_DEP_1)
	v_and_b32_e32 v19, 0x80000000, v19
	v_lshl_add_u32 v18, v18, 23, v19
	s_delay_alu instid0(VALU_DEP_1) | instskip(NEXT) | instid1(VALU_DEP_1)
	v_lshl_or_b32 v17, v17, 21, v18
	v_add_nc_u32_e32 v18, 0x38000000, v17
                                        ; implicit-def: $vgpr17
.LBB4_5495:                             ;   in Loop: Header=BB4_5489 Depth=2
	s_and_not1_saveexec_b32 s25, s25
; %bb.5496:                             ;   in Loop: Header=BB4_5489 Depth=2
	v_cmp_lt_i16_e32 vcc_lo, -1, v54
	v_cndmask_b32_e32 v18, 0xff800000, v109, vcc_lo
	v_cmp_eq_u32_e32 vcc_lo, 0, v17
	s_delay_alu instid0(VALU_DEP_2)
	v_cndmask_b32_e32 v18, 0x7f800001, v18, vcc_lo
; %bb.5497:                             ;   in Loop: Header=BB4_5489 Depth=2
	s_or_b32 exec_lo, exec_lo, s25
.LBB4_5498:                             ;   in Loop: Header=BB4_5489 Depth=2
	s_delay_alu instid0(SALU_CYCLE_1)
	s_or_b32 exec_lo, exec_lo, s24
.LBB4_5499:                             ;   in Loop: Header=BB4_5489 Depth=2
	s_delay_alu instid0(SALU_CYCLE_1) | instskip(NEXT) | instid1(SALU_CYCLE_1)
	s_or_b32 exec_lo, exec_lo, s7
	s_mov_b32 s7, exec_lo
	s_wait_loadcnt_dscnt 0x0
	v_cmpx_ne_u16_e32 0, v16
	s_cbranch_execz .LBB4_5509
; %bb.5500:                             ;   in Loop: Header=BB4_5489 Depth=2
	v_bfrev_b32_e32 v3, 1
	s_mov_b32 s24, exec_lo
	v_cmpx_ne_u16_e32 0xff80, v16
	s_cbranch_execz .LBB4_5508
; %bb.5501:                             ;   in Loop: Header=BB4_5489 Depth=2
	v_and_b32_e32 v3, 0x7c, v16
	v_and_b32_e32 v17, 3, v16
	s_delay_alu instid0(VALU_DEP_2) | instskip(SKIP_1) | instid1(SALU_CYCLE_1)
	v_cmp_ne_u32_e32 vcc_lo, 0x7c, v3
                                        ; implicit-def: $vgpr3
	s_and_saveexec_b32 s25, vcc_lo
	s_xor_b32 s25, exec_lo, s25
	s_cbranch_execz .LBB4_5505
; %bb.5502:                             ;   in Loop: Header=BB4_5489 Depth=2
	v_and_b32_e32 v3, 0xff, v16
	s_mov_b32 s26, exec_lo
	s_delay_alu instid0(VALU_DEP_1) | instskip(NEXT) | instid1(VALU_DEP_1)
	v_bfe_u32 v3, v3, 2, 5
	v_cmpx_eq_u32_e32 0, v3
	s_cbranch_execz .LBB4_5504
; %bb.5503:                             ;   in Loop: Header=BB4_5489 Depth=2
	v_clz_i32_u32_e32 v3, v17
	s_delay_alu instid0(VALU_DEP_1) | instskip(SKIP_1) | instid1(VALU_DEP_2)
	v_min_u32_e32 v3, 32, v3
	v_mov_b32_e32 v17, v55
	v_subrev_nc_u32_e32 v19, 29, v3
	v_sub_nc_u32_e32 v3, 30, v3
	s_delay_alu instid0(VALU_DEP_2) | instskip(NEXT) | instid1(VALU_DEP_1)
	v_lshlrev_b64_e32 v[20:21], v19, v[16:17]
	v_and_b32_e32 v17, 3, v20
.LBB4_5504:                             ;   in Loop: Header=BB4_5489 Depth=2
	s_or_b32 exec_lo, exec_lo, s26
	v_bfe_i32 v16, v16, 0, 16
	s_delay_alu instid0(VALU_DEP_1) | instskip(NEXT) | instid1(VALU_DEP_1)
	v_and_b32_e32 v16, 0x80000000, v16
	v_lshl_add_u32 v3, v3, 23, v16
                                        ; implicit-def: $vgpr16
	s_delay_alu instid0(VALU_DEP_1) | instskip(NEXT) | instid1(VALU_DEP_1)
	v_lshl_or_b32 v3, v17, 21, v3
                                        ; implicit-def: $vgpr17
	v_add_nc_u32_e32 v3, 0x38000000, v3
.LBB4_5505:                             ;   in Loop: Header=BB4_5489 Depth=2
	s_and_not1_saveexec_b32 s25, s25
; %bb.5506:                             ;   in Loop: Header=BB4_5489 Depth=2
	v_cmp_lt_i16_e32 vcc_lo, -1, v16
	v_cndmask_b32_e32 v3, 0xff800000, v109, vcc_lo
	v_cmp_eq_u32_e32 vcc_lo, 0, v17
	s_delay_alu instid0(VALU_DEP_2)
	v_cndmask_b32_e32 v3, 0x7f800001, v3, vcc_lo
; %bb.5507:                             ;   in Loop: Header=BB4_5489 Depth=2
	s_or_b32 exec_lo, exec_lo, s25
.LBB4_5508:                             ;   in Loop: Header=BB4_5489 Depth=2
	s_delay_alu instid0(SALU_CYCLE_1)
	s_or_b32 exec_lo, exec_lo, s24
.LBB4_5509:                             ;   in Loop: Header=BB4_5489 Depth=2
	s_delay_alu instid0(SALU_CYCLE_1) | instskip(NEXT) | instid1(VALU_DEP_1)
	s_or_b32 exec_lo, exec_lo, s7
	v_dual_mul_f32 v16, v18, v3 :: v_dual_mov_b32 v19, v55
                                        ; implicit-def: $vgpr17
	s_mov_b32 s7, exec_lo
	s_delay_alu instid0(VALU_DEP_1) | instskip(SKIP_1) | instid1(VALU_DEP_2)
	v_and_b32_e32 v18, 0x7f800000, v16
	v_and_b32_e32 v54, 0x7fffff, v16
	v_cmpx_ne_u64_e32 0x7f800000, v[18:19]
	s_xor_b32 s24, exec_lo, s7
	s_cbranch_execz .LBB4_5527
; %bb.5510:                             ;   in Loop: Header=BB4_5489 Depth=2
	v_dual_mov_b32 v19, v55 :: v_dual_lshrrev_b32 v3, 24, v16
	v_and_b32_e32 v18, 0x7fffffff, v16
                                        ; implicit-def: $vgpr17
	s_mov_b32 s7, exec_lo
	s_delay_alu instid0(VALU_DEP_2) | instskip(NEXT) | instid1(VALU_DEP_2)
	v_and_b32_e32 v3, 0x80, v3
	v_cmpx_gt_u64_e32 0x47600001, v[18:19]
	s_xor_b32 s25, exec_lo, s7
	s_cbranch_execz .LBB4_5524
; %bb.5511:                             ;   in Loop: Header=BB4_5489 Depth=2
	v_mov_b32_e32 v17, 0
	s_mov_b32 s26, exec_lo
	v_cmpx_ne_u32_e32 0, v16
	s_cbranch_execz .LBB4_5523
; %bb.5512:                             ;   in Loop: Header=BB4_5489 Depth=2
	v_bfe_u32 v20, v16, 23, 8
	v_or_b32_e32 v18, 0x800000, v54
	s_delay_alu instid0(VALU_DEP_2) | instskip(SKIP_1) | instid1(VALU_DEP_2)
	v_sub_nc_u32_e32 v16, 0x71, v20
	v_cmp_gt_u32_e32 vcc_lo, 0x72, v20
	v_cndmask_b32_e32 v16, 0, v16, vcc_lo
	v_cmp_eq_u32_e32 vcc_lo, 0, v20
	s_delay_alu instid0(VALU_DEP_2) | instskip(NEXT) | instid1(VALU_DEP_1)
	v_cndmask_b32_e64 v21, v16, 0x70, vcc_lo
	v_dual_cndmask_b32 v54, v18, v54, vcc_lo :: v_dual_add_nc_u32 v16, 21, v21
	v_add_nc_u32_e32 v19, 20, v21
	s_delay_alu instid0(VALU_DEP_2) | instskip(NEXT) | instid1(VALU_DEP_2)
	v_lshlrev_b64_e64 v[16:17], v16, -1
	v_lshlrev_b64_e64 v[18:19], v19, 1
	s_delay_alu instid0(VALU_DEP_2) | instskip(NEXT) | instid1(VALU_DEP_3)
	v_bfi_b32 v23, v17, 0, 0
	v_bfi_b32 v22, v16, 0, v54
	v_lshrrev_b64 v[16:17], v21, v[54:55]
	s_delay_alu instid0(VALU_DEP_2) | instskip(NEXT) | instid1(VALU_DEP_2)
	v_cmp_eq_u64_e64 s7, v[22:23], v[18:19]
	v_mov_b64_e32 v[18:19], v[16:17]
	s_and_saveexec_b32 s27, s7
; %bb.5513:                             ;   in Loop: Header=BB4_5489 Depth=2
	v_bfe_u32 v54, v16, 21, 1
	s_delay_alu instid0(VALU_DEP_1) | instskip(NEXT) | instid1(VALU_DEP_1)
	v_add_nc_u64_e32 v[18:19], v[16:17], v[54:55]
	v_add_nc_u64_e32 v[18:19], -1, v[18:19]
; %bb.5514:                             ;   in Loop: Header=BB4_5489 Depth=2
	s_or_b32 exec_lo, exec_lo, s27
	v_add_nc_u32_e32 v17, 0xffffff81, v20
	v_lshrrev_b32_e32 v19, 23, v16
	s_mov_b32 s7, exec_lo
	s_delay_alu instid0(VALU_DEP_2) | instskip(NEXT) | instid1(VALU_DEP_1)
	v_cndmask_b32_e64 v17, v17, 0xffffff82, vcc_lo
	v_add3_u32 v19, v21, v17, v19
	v_and_b32_e32 v17, 0x1fffff, v18
                                        ; implicit-def: $vgpr18
	s_delay_alu instid0(VALU_DEP_1) | instskip(NEXT) | instid1(VALU_DEP_1)
	v_dual_add_nc_u32 v20, 14, v19 :: v_dual_add_nc_u32 v54, v17, v16
                                        ; implicit-def: $vgpr16_vgpr17
	v_cmpx_ne_u32_e32 0, v20
	s_xor_b32 s7, exec_lo, s7
; %bb.5515:                             ;   in Loop: Header=BB4_5489 Depth=2
	s_delay_alu instid0(VALU_DEP_2) | instskip(SKIP_1) | instid1(VALU_DEP_1)
	v_cmp_lt_u64_e32 vcc_lo, 0xffffff, v[54:55]
	v_add_nc_u32_e32 v16, 15, v19
	v_cndmask_b32_e32 v18, v20, v16, vcc_lo
	v_cndmask_b32_e64 v16, 0, 1, vcc_lo
	s_delay_alu instid0(VALU_DEP_1)
	v_lshrrev_b64 v[16:17], v16, v[54:55]
; %bb.5516:                             ;   in Loop: Header=BB4_5489 Depth=2
	s_and_not1_saveexec_b32 s7, s7
; %bb.5517:                             ;   in Loop: Header=BB4_5489 Depth=2
	v_mov_b64_e32 v[16:17], v[54:55]
	v_bfe_u32 v18, v54, 23, 1
; %bb.5518:                             ;   in Loop: Header=BB4_5489 Depth=2
	s_or_b32 exec_lo, exec_lo, s7
	s_delay_alu instid0(VALU_DEP_2) | instskip(NEXT) | instid1(VALU_DEP_2)
	v_lshrrev_b64 v[16:17], 21, v[16:17]
	v_cmp_gt_i32_e32 vcc_lo, 32, v18
	v_cmp_ne_u32_e64 s7, 0, v18
	s_delay_alu instid0(VALU_DEP_3) | instskip(NEXT) | instid1(VALU_DEP_1)
	v_dual_cndmask_b32 v17, 0, v17 :: v_dual_cndmask_b32 v16, 3, v16
	v_cmp_ne_u64_e32 vcc_lo, 0, v[16:17]
                                        ; implicit-def: $vgpr17
	s_or_b32 s7, s7, vcc_lo
	s_delay_alu instid0(SALU_CYCLE_1) | instskip(NEXT) | instid1(SALU_CYCLE_1)
	s_and_saveexec_b32 s27, s7
	s_xor_b32 s7, exec_lo, s27
; %bb.5519:                             ;   in Loop: Header=BB4_5489 Depth=2
	v_min_i32_e32 v17, 31, v18
	s_delay_alu instid0(VALU_DEP_1) | instskip(NEXT) | instid1(VALU_DEP_1)
	v_lshl_or_b32 v3, v17, 2, v3
	v_and_or_b32 v17, v16, 3, v3
                                        ; implicit-def: $vgpr3
; %bb.5520:                             ;   in Loop: Header=BB4_5489 Depth=2
	s_and_not1_saveexec_b32 s7, s7
; %bb.5521:                             ;   in Loop: Header=BB4_5489 Depth=2
	v_mov_b32_e32 v17, v3
; %bb.5522:                             ;   in Loop: Header=BB4_5489 Depth=2
	s_or_b32 exec_lo, exec_lo, s7
.LBB4_5523:                             ;   in Loop: Header=BB4_5489 Depth=2
	s_delay_alu instid0(SALU_CYCLE_1)
	s_or_b32 exec_lo, exec_lo, s26
                                        ; implicit-def: $vgpr3
.LBB4_5524:                             ;   in Loop: Header=BB4_5489 Depth=2
	s_and_not1_saveexec_b32 s7, s25
; %bb.5525:                             ;   in Loop: Header=BB4_5489 Depth=2
	v_or_b32_e32 v17, 0x7b, v3
; %bb.5526:                             ;   in Loop: Header=BB4_5489 Depth=2
	s_or_b32 exec_lo, exec_lo, s7
                                        ; implicit-def: $vgpr16
.LBB4_5527:                             ;   in Loop: Header=BB4_5489 Depth=2
	s_and_not1_saveexec_b32 s7, s24
	s_cbranch_execz .LBB4_5488
; %bb.5528:                             ;   in Loop: Header=BB4_5489 Depth=2
	s_mov_b32 s24, exec_lo
                                        ; implicit-def: $vgpr17
	v_cmpx_ne_u64_e32 0, v[54:55]
	s_xor_b32 s24, exec_lo, s24
; %bb.5529:                             ;   in Loop: Header=BB4_5489 Depth=2
	v_lshrrev_b32_e32 v3, 24, v16
                                        ; implicit-def: $vgpr16
	s_delay_alu instid0(VALU_DEP_1)
	v_or_b32_e32 v17, 0x7f, v3
; %bb.5530:                             ;   in Loop: Header=BB4_5489 Depth=2
	s_and_not1_saveexec_b32 s24, s24
	s_cbranch_execz .LBB4_5487
; %bb.5531:                             ;   in Loop: Header=BB4_5489 Depth=2
	v_cmp_lt_i32_e32 vcc_lo, -1, v16
	v_cndmask_b32_e64 v17, -4, 0x7c, vcc_lo
	s_branch .LBB4_5487
.LBB4_5532:                             ;   in Loop: Header=BB4_2835 Depth=1
	s_or_b32 exec_lo, exec_lo, s10
	v_cmp_ne_u32_e64 s7, 0, v111
	s_and_saveexec_b32 s10, s2
	s_cbranch_execz .LBB4_5551
.LBB4_5533:                             ;   in Loop: Header=BB4_2835 Depth=1
	s_and_saveexec_b32 s23, s3
	s_delay_alu instid0(SALU_CYCLE_1)
	s_xor_b32 s23, exec_lo, s23
	s_cbranch_execz .LBB4_5548
; %bb.5534:                             ;   in Loop: Header=BB4_2835 Depth=1
	s_and_saveexec_b32 s24, s4
	s_cbranch_execz .LBB4_5547
; %bb.5535:                             ;   in Loop: Header=BB4_2835 Depth=1
	s_mov_b32 s26, exec_lo
	s_mov_b32 s25, exec_lo
	v_mbcnt_lo_u32_b32 v0, s26, 0
	global_wb scope:SCOPE_DEV
	s_wait_storecnt 0x0
	s_wait_loadcnt_dscnt 0x0
	global_inv scope:SCOPE_DEV
	v_cmpx_eq_u32_e32 0, v0
	s_cbranch_execz .LBB4_5537
; %bb.5536:                             ;   in Loop: Header=BB4_2835 Depth=1
	s_bcnt1_i32_b32 s26, s26
	s_delay_alu instid0(SALU_CYCLE_1)
	v_mov_b32_e32 v54, s26
	s_wait_loadcnt 0x0
	ds_add_u64 v0, v[54:55]
	s_trap 2
.LBB4_5537:                             ;   in Loop: Header=BB4_2835 Depth=1
	s_or_b32 exec_lo, exec_lo, s25
	s_trap 2
	ds_load_b64 v[10:11], v0
	s_wait_dscnt 0x0
	v_add_nc_u64_e32 v[48:49], v[48:49], v[52:53]
	s_mov_b32 s25, exec_lo
	s_delay_alu instid0(VALU_DEP_1)
	v_cmpx_lt_u64_e64 v[10:11], v[48:49]
	s_cbranch_execz .LBB4_5546
; %bb.5538:                             ;   in Loop: Header=BB4_2835 Depth=1
	s_mov_b32 s26, 0
	s_mov_b32 s29, 0
                                        ; implicit-def: $sgpr27
                                        ; implicit-def: $sgpr28
	s_branch .LBB4_5540
.LBB4_5539:                             ;   in Loop: Header=BB4_5540 Depth=2
	s_or_b32 exec_lo, exec_lo, s41
	s_delay_alu instid0(SALU_CYCLE_1) | instskip(NEXT) | instid1(SALU_CYCLE_1)
	s_and_b32 s40, exec_lo, s42
	s_or_b32 s26, s40, s26
	s_and_not1_b32 s27, s27, exec_lo
	s_and_b32 s40, s28, exec_lo
	s_delay_alu instid0(SALU_CYCLE_1)
	s_or_b32 s27, s27, s40
	s_and_not1_b32 exec_lo, exec_lo, s26
	s_cbranch_execz .LBB4_5544
.LBB4_5540:                             ;   Parent Loop BB4_2835 Depth=1
                                        ; =>  This Inner Loop Header: Depth=2
	s_add_co_i32 s29, s29, 1
	s_delay_alu instid0(SALU_CYCLE_1) | instskip(SKIP_1) | instid1(SALU_CYCLE_1)
	s_cmp_lg_u32 s29, 0x2710
	s_cselect_b32 s40, -1, 0
	s_and_b32 vcc_lo, exec_lo, s40
	s_cbranch_vccz .LBB4_5542
; %bb.5541:                             ;   in Loop: Header=BB4_5540 Depth=2
	s_mov_b32 s42, -1
	s_or_b32 s28, s28, exec_lo
	s_and_saveexec_b32 s41, s40
	s_cbranch_execz .LBB4_5539
	s_branch .LBB4_5543
.LBB4_5542:                             ;   in Loop: Header=BB4_5540 Depth=2
	s_trap 2
	ds_load_b64 v[10:11], v0
	s_and_not1_b32 s40, s40, exec_lo
	s_mov_b32 s29, 0
	s_wait_loadcnt_dscnt 0x0
	flat_load_b32 v0, v[10:11] scope:SCOPE_SYS
	s_wait_loadcnt_dscnt 0x0
	global_inv scope:SCOPE_SYS
	v_cmp_eq_u32_e32 vcc_lo, 0, v0
	s_and_b32 s41, vcc_lo, exec_lo
	s_delay_alu instid0(SALU_CYCLE_1)
	s_or_b32 s40, s40, s41
	s_mov_b32 s42, -1
	s_or_b32 s28, s28, exec_lo
	s_and_saveexec_b32 s41, s40
	s_cbranch_execz .LBB4_5539
.LBB4_5543:                             ;   in Loop: Header=BB4_5540 Depth=2
	s_sleep 1
	s_trap 2
	ds_load_b64 v[10:11], v0
	s_wait_dscnt 0x0
	s_and_not1_b32 s28, s28, exec_lo
	v_cmp_ge_u64_e32 vcc_lo, v[10:11], v[48:49]
	s_or_not1_b32 s42, vcc_lo, exec_lo
	s_branch .LBB4_5539
.LBB4_5544:                             ;   in Loop: Header=BB4_2835 Depth=1
	s_or_b32 exec_lo, exec_lo, s26
	s_and_saveexec_b32 s26, s27
	s_delay_alu instid0(SALU_CYCLE_1)
	s_xor_b32 s26, exec_lo, s26
	s_cbranch_execz .LBB4_5546
; %bb.5545:                             ;   in Loop: Header=BB4_2835 Depth=1
	ds_store_b32 v0, v108
	s_trap 2
.LBB4_5546:                             ;   in Loop: Header=BB4_2835 Depth=1
	s_or_b32 exec_lo, exec_lo, s25
	;;#ASMSTART
	s_wakeup
	;;#ASMEND
.LBB4_5547:                             ;   in Loop: Header=BB4_2835 Depth=1
	s_or_b32 exec_lo, exec_lo, s24
.LBB4_5548:                             ;   in Loop: Header=BB4_2835 Depth=1
	s_and_not1_saveexec_b32 s23, s23
	s_cbranch_execz .LBB4_5550
; %bb.5549:                             ;   in Loop: Header=BB4_2835 Depth=1
	global_wb scope:SCOPE_DEV
	s_wait_storecnt 0x0
	s_wait_loadcnt_dscnt 0x0
	global_inv scope:SCOPE_DEV
	s_barrier_signal -1
	s_barrier_wait -1
.LBB4_5550:                             ;   in Loop: Header=BB4_2835 Depth=1
	s_or_b32 exec_lo, exec_lo, s23
.LBB4_5551:                             ;   in Loop: Header=BB4_2835 Depth=1
	s_delay_alu instid0(SALU_CYCLE_1) | instskip(SKIP_1) | instid1(VALU_DEP_1)
	s_or_b32 exec_lo, exec_lo, s10
	v_and_b32_e32 v0, 16, v120
	v_cmp_ne_u32_e32 vcc_lo, 0, v0
	s_and_b32 s10, vcc_lo, s7
	s_delay_alu instid0(SALU_CYCLE_1)
	s_and_saveexec_b32 s7, s10
	s_cbranch_execz .LBB4_5553
; %bb.5552:                             ;   in Loop: Header=BB4_2835 Depth=1
	global_wb scope:SCOPE_SYS
	s_wait_storecnt 0x0
	s_wait_loadcnt_dscnt 0x0
	global_inv scope:SCOPE_SYS
.LBB4_5553:                             ;   in Loop: Header=BB4_2835 Depth=1
	s_or_b32 exec_lo, exec_lo, s7
	v_and_b32_e32 v0, 32, v120
	s_mov_b32 s7, exec_lo
	s_delay_alu instid0(VALU_DEP_1)
	v_cmpx_ne_u32_e32 0, v0
	s_cbranch_execz .LBB4_5555
; %bb.5554:                             ;   in Loop: Header=BB4_2835 Depth=1
	v_add_nc_u64_e32 v[8:9], 1, v[8:9]
	global_wb scope:SCOPE_SYS
	s_wait_storecnt 0x0
	s_wait_loadcnt_dscnt 0x0
	flat_store_b64 v[32:33], v[8:9] scope:SCOPE_SYS
.LBB4_5555:                             ;   in Loop: Header=BB4_2835 Depth=1
	s_wait_xcnt 0x0
	s_or_b32 exec_lo, exec_lo, s7
	v_mov_b32_e32 v0, v83
.LBB4_5556:                             ;   in Loop: Header=BB4_2835 Depth=1
	s_or_b32 exec_lo, exec_lo, s22
	s_and_saveexec_b32 s10, s21
	s_cbranch_execz .LBB4_2834
; %bb.5557:                             ;   in Loop: Header=BB4_2835 Depth=1
	v_and_b32_e32 v3, 4, v120
	s_mov_b32 s21, exec_lo
	s_delay_alu instid0(VALU_DEP_1)
	v_cmpx_ne_u32_e32 0, v3
	s_cbranch_execz .LBB4_5579
; %bb.5558:                             ;   in Loop: Header=BB4_2835 Depth=1
	v_add_nc_u64_e32 v[10:11], 1, v[8:9]
	s_mov_b32 s22, exec_lo
	s_wait_loadcnt 0x0
	s_delay_alu instid0(VALU_DEP_1)
	v_cmpx_lt_u64_e64 v[38:39], v[10:11]
	s_cbranch_execz .LBB4_5570
; %bb.5559:                             ;   in Loop: Header=BB4_2835 Depth=1
	v_and_b32_e32 v3, 64, v120
	s_mov_b32 s23, 0
	s_mov_b32 s27, 0
                                        ; implicit-def: $sgpr24
                                        ; implicit-def: $sgpr25
                                        ; implicit-def: $sgpr26
	s_delay_alu instid0(VALU_DEP_1)
	v_cmp_eq_u32_e32 vcc_lo, 0, v3
	s_branch .LBB4_5563
.LBB4_5560:                             ;   in Loop: Header=BB4_5563 Depth=2
	s_wait_loadcnt_dscnt 0x0
	v_cmp_ge_u64_e64 s7, v[38:39], v[10:11]
	s_or_b32 s40, s40, exec_lo
	s_or_not1_b32 s29, s7, exec_lo
.LBB4_5561:                             ;   in Loop: Header=BB4_5563 Depth=2
	s_or_b32 exec_lo, exec_lo, s42
	s_delay_alu instid0(SALU_CYCLE_1)
	s_and_not1_b32 s7, s26, exec_lo
	s_and_b32 s26, s40, exec_lo
	s_and_not1_b32 s25, s25, exec_lo
	s_and_b32 s29, s29, exec_lo
	s_or_b32 s26, s7, s26
	s_or_b32 s25, s25, s29
.LBB4_5562:                             ;   in Loop: Header=BB4_5563 Depth=2
	s_or_b32 exec_lo, exec_lo, s28
	s_delay_alu instid0(SALU_CYCLE_1) | instskip(NEXT) | instid1(SALU_CYCLE_1)
	s_and_b32 s7, exec_lo, s25
	s_or_b32 s23, s7, s23
	s_and_not1_b32 s7, s24, exec_lo
	s_and_b32 s24, s26, exec_lo
	s_delay_alu instid0(SALU_CYCLE_1)
	s_or_b32 s24, s7, s24
	s_and_not1_b32 exec_lo, exec_lo, s23
	s_cbranch_execz .LBB4_5567
.LBB4_5563:                             ;   Parent Loop BB4_2835 Depth=1
                                        ; =>  This Inner Loop Header: Depth=2
	s_sleep 1
	s_wait_loadcnt_dscnt 0x0
	flat_load_b64 v[38:39], v[32:33] scope:SCOPE_SYS
	s_or_b32 s26, s26, exec_lo
	s_or_b32 s25, s25, exec_lo
                                        ; implicit-def: $vgpr3
	s_wait_xcnt 0x0
	s_and_saveexec_b32 s28, vcc_lo
	s_cbranch_execz .LBB4_5562
; %bb.5564:                             ;   in Loop: Header=BB4_5563 Depth=2
	s_cmp_lt_i32 s27, 0x270f
	s_mov_b32 s29, -1
	s_cselect_b32 s41, -1, 0
	s_cmp_gt_i32 s27, 0x270e
	s_cbranch_scc0 .LBB4_5566
; %bb.5565:                             ;   in Loop: Header=BB4_5563 Depth=2
	s_trap 2
	ds_load_b64 v[12:13], v0
	s_and_not1_b32 s27, s41, exec_lo
	s_mov_b32 s40, 0
	s_wait_storecnt 0x0
	s_wait_loadcnt_dscnt 0x0
	flat_load_b32 v3, v[12:13] scope:SCOPE_SYS
	s_wait_loadcnt_dscnt 0x0
	global_inv scope:SCOPE_SYS
	v_cmp_eq_u32_e64 s7, 0, v3
	s_and_b32 s7, s7, exec_lo
	s_delay_alu instid0(SALU_CYCLE_1)
	s_or_b32 s41, s27, s7
	s_mov_b32 s27, 0
	s_and_saveexec_b32 s42, s41
	s_cbranch_execz .LBB4_5561
	s_branch .LBB4_5560
.LBB4_5566:                             ;   in Loop: Header=BB4_5563 Depth=2
	s_add_co_i32 s27, s27, 1
	s_mov_b32 s40, -1
                                        ; implicit-def: $vgpr3
	s_and_saveexec_b32 s42, s41
	s_cbranch_execz .LBB4_5561
	s_branch .LBB4_5560
.LBB4_5567:                             ;   in Loop: Header=BB4_2835 Depth=1
	s_or_b32 exec_lo, exec_lo, s23
	s_xor_b32 s7, s24, -1
	s_delay_alu instid0(SALU_CYCLE_1) | instskip(NEXT) | instid1(SALU_CYCLE_1)
	s_and_saveexec_b32 s23, s7
	s_xor_b32 s7, exec_lo, s23
	s_cbranch_execz .LBB4_5569
; %bb.5568:                             ;   in Loop: Header=BB4_2835 Depth=1
	v_or_b32_e32 v120, 64, v120
	s_wait_storecnt 0x0
	s_wait_loadcnt_dscnt 0x0
	ds_store_b32 v0, v3
	s_trap 2
.LBB4_5569:                             ;   in Loop: Header=BB4_2835 Depth=1
	s_or_b32 exec_lo, exec_lo, s7
.LBB4_5570:                             ;   in Loop: Header=BB4_2835 Depth=1
	s_delay_alu instid0(SALU_CYCLE_1)
	s_or_b32 exec_lo, exec_lo, s22
	v_and_b32_e32 v3, 0x100, v120
	v_and_b32_e32 v54, 7, v8
	s_mov_b32 s7, -1
	s_mov_b32 s22, exec_lo
	;;#ASMSTART
	s_wakeup
	;;#ASMEND
                                        ; implicit-def: $vgpr8_vgpr9
	v_cmpx_ne_u32_e32 0, v3
	s_cbranch_execz .LBB4_5574
; %bb.5571:                             ;   in Loop: Header=BB4_2835 Depth=1
	v_mad_nc_u64_u32 v[12:13], v54, 24, v[6:7]
	s_mov_b32 s23, exec_lo
                                        ; implicit-def: $vgpr8_vgpr9
	flat_load_b32 v3, v[12:13]
	s_wait_loadcnt_dscnt 0x0
	v_cmp_ne_u32_e32 vcc_lo, 1, v3
	s_wait_xcnt 0x0
	v_cmpx_eq_u32_e32 1, v3
	s_cbranch_execz .LBB4_5573
; %bb.5572:                             ;   in Loop: Header=BB4_2835 Depth=1
	flat_load_b32 v8, v[12:13] offset:4 scope:SCOPE_SYS
	s_wait_loadcnt_dscnt 0x0
	v_ashrrev_i32_e32 v9, 31, v8
.LBB4_5573:                             ;   in Loop: Header=BB4_2835 Depth=1
	s_wait_xcnt 0x0
	s_or_b32 exec_lo, exec_lo, s23
	s_delay_alu instid0(SALU_CYCLE_1)
	s_or_not1_b32 s7, vcc_lo, exec_lo
.LBB4_5574:                             ;   in Loop: Header=BB4_2835 Depth=1
	s_or_b32 exec_lo, exec_lo, s22
	s_and_saveexec_b32 s22, s7
; %bb.5575:                             ;   in Loop: Header=BB4_2835 Depth=1
	v_mul_u64_e32 v[8:9], v[54:55], v[34:35]
; %bb.5576:                             ;   in Loop: Header=BB4_2835 Depth=1
	s_or_b32 exec_lo, exec_lo, s22
	s_delay_alu instid0(VALU_DEP_1)
	v_add_nc_u64_e32 v[8:9], v[36:37], v[8:9]
	v_and_b32_e32 v3, 0x2000, v120
	s_mov_b32 s7, exec_lo
	ds_store_b64 v0, v[8:9] offset:728
	v_cmpx_ne_u32_e32 0, v3
	s_cbranch_execz .LBB4_5578
; %bb.5577:                             ;   in Loop: Header=BB4_2835 Depth=1
	ds_load_b64 v[8:9], v0 offset:872
	s_wait_dscnt 0x0
	v_add_nc_u64_e32 v[8:9], 1, v[8:9]
	ds_store_b64 v0, v[8:9] offset:872
.LBB4_5578:                             ;   in Loop: Header=BB4_2835 Depth=1
	s_or_b32 exec_lo, exec_lo, s7
	v_mov_b64_e32 v[8:9], v[10:11]
.LBB4_5579:                             ;   in Loop: Header=BB4_2835 Depth=1
	s_or_b32 exec_lo, exec_lo, s21
	s_and_saveexec_b32 s7, s2
	s_cbranch_execz .LBB4_5598
; %bb.5580:                             ;   in Loop: Header=BB4_2835 Depth=1
	s_and_saveexec_b32 s21, s3
	s_delay_alu instid0(SALU_CYCLE_1)
	s_xor_b32 s21, exec_lo, s21
	s_cbranch_execz .LBB4_5595
; %bb.5581:                             ;   in Loop: Header=BB4_2835 Depth=1
	s_and_saveexec_b32 s22, s4
	s_cbranch_execz .LBB4_5594
; %bb.5582:                             ;   in Loop: Header=BB4_2835 Depth=1
	s_mov_b32 s24, exec_lo
	s_mov_b32 s23, exec_lo
	v_mbcnt_lo_u32_b32 v3, s24, 0
	global_wb scope:SCOPE_DEV
	s_wait_storecnt 0x0
	s_wait_loadcnt_dscnt 0x0
	global_inv scope:SCOPE_DEV
	v_cmpx_eq_u32_e32 0, v3
	s_cbranch_execz .LBB4_5584
; %bb.5583:                             ;   in Loop: Header=BB4_2835 Depth=1
	s_bcnt1_i32_b32 s24, s24
	s_delay_alu instid0(SALU_CYCLE_1)
	v_mov_b32_e32 v54, s24
	s_wait_loadcnt 0x0
	ds_add_u64 v0, v[54:55]
	s_trap 2
.LBB4_5584:                             ;   in Loop: Header=BB4_2835 Depth=1
	s_or_b32 exec_lo, exec_lo, s23
	s_trap 2
	ds_load_b64 v[10:11], v0
	s_wait_dscnt 0x0
	v_add_nc_u64_e32 v[48:49], v[48:49], v[52:53]
	s_mov_b32 s23, exec_lo
	s_delay_alu instid0(VALU_DEP_1)
	v_cmpx_lt_u64_e64 v[10:11], v[48:49]
	s_cbranch_execz .LBB4_5593
; %bb.5585:                             ;   in Loop: Header=BB4_2835 Depth=1
	s_mov_b32 s24, 0
	s_mov_b32 s27, 0
                                        ; implicit-def: $sgpr25
                                        ; implicit-def: $sgpr26
	s_branch .LBB4_5587
.LBB4_5586:                             ;   in Loop: Header=BB4_5587 Depth=2
	s_or_b32 exec_lo, exec_lo, s29
	s_delay_alu instid0(SALU_CYCLE_1) | instskip(NEXT) | instid1(SALU_CYCLE_1)
	s_and_b32 s28, exec_lo, s40
	s_or_b32 s24, s28, s24
	s_and_not1_b32 s25, s25, exec_lo
	s_and_b32 s28, s26, exec_lo
	s_delay_alu instid0(SALU_CYCLE_1)
	s_or_b32 s25, s25, s28
	s_and_not1_b32 exec_lo, exec_lo, s24
	s_cbranch_execz .LBB4_5591
.LBB4_5587:                             ;   Parent Loop BB4_2835 Depth=1
                                        ; =>  This Inner Loop Header: Depth=2
	s_add_co_i32 s27, s27, 1
	s_delay_alu instid0(SALU_CYCLE_1) | instskip(SKIP_1) | instid1(SALU_CYCLE_1)
	s_cmp_lg_u32 s27, 0x2710
	s_cselect_b32 s28, -1, 0
	s_and_b32 vcc_lo, exec_lo, s28
	s_cbranch_vccz .LBB4_5589
; %bb.5588:                             ;   in Loop: Header=BB4_5587 Depth=2
	s_mov_b32 s40, -1
	s_or_b32 s26, s26, exec_lo
	s_and_saveexec_b32 s29, s28
	s_cbranch_execz .LBB4_5586
	s_branch .LBB4_5590
.LBB4_5589:                             ;   in Loop: Header=BB4_5587 Depth=2
	s_trap 2
	ds_load_b64 v[10:11], v0
	s_and_not1_b32 s28, s28, exec_lo
	s_mov_b32 s27, 0
	s_wait_loadcnt_dscnt 0x0
	flat_load_b32 v3, v[10:11] scope:SCOPE_SYS
	s_wait_loadcnt_dscnt 0x0
	global_inv scope:SCOPE_SYS
	v_cmp_eq_u32_e32 vcc_lo, 0, v3
	s_and_b32 s29, vcc_lo, exec_lo
	s_delay_alu instid0(SALU_CYCLE_1)
	s_or_b32 s28, s28, s29
	s_mov_b32 s40, -1
	s_or_b32 s26, s26, exec_lo
	s_and_saveexec_b32 s29, s28
	s_cbranch_execz .LBB4_5586
.LBB4_5590:                             ;   in Loop: Header=BB4_5587 Depth=2
	s_sleep 1
	s_trap 2
	ds_load_b64 v[10:11], v0
	s_wait_dscnt 0x0
	s_and_not1_b32 s26, s26, exec_lo
	v_cmp_ge_u64_e32 vcc_lo, v[10:11], v[48:49]
	s_or_not1_b32 s40, vcc_lo, exec_lo
	s_branch .LBB4_5586
.LBB4_5591:                             ;   in Loop: Header=BB4_2835 Depth=1
	s_or_b32 exec_lo, exec_lo, s24
	s_and_saveexec_b32 s24, s25
	s_delay_alu instid0(SALU_CYCLE_1)
	s_xor_b32 s24, exec_lo, s24
	s_cbranch_execz .LBB4_5593
; %bb.5592:                             ;   in Loop: Header=BB4_2835 Depth=1
	ds_store_b32 v0, v108
	s_trap 2
.LBB4_5593:                             ;   in Loop: Header=BB4_2835 Depth=1
	s_or_b32 exec_lo, exec_lo, s23
	;;#ASMSTART
	s_wakeup
	;;#ASMEND
.LBB4_5594:                             ;   in Loop: Header=BB4_2835 Depth=1
	s_or_b32 exec_lo, exec_lo, s22
.LBB4_5595:                             ;   in Loop: Header=BB4_2835 Depth=1
	s_and_not1_saveexec_b32 s21, s21
	s_cbranch_execz .LBB4_5597
; %bb.5596:                             ;   in Loop: Header=BB4_2835 Depth=1
	global_wb scope:SCOPE_DEV
	s_wait_storecnt 0x0
	s_wait_loadcnt_dscnt 0x0
	global_inv scope:SCOPE_DEV
	s_barrier_signal -1
	s_barrier_wait -1
.LBB4_5597:                             ;   in Loop: Header=BB4_2835 Depth=1
	s_or_b32 exec_lo, exec_lo, s21
.LBB4_5598:                             ;   in Loop: Header=BB4_2835 Depth=1
	s_delay_alu instid0(SALU_CYCLE_1) | instskip(SKIP_3) | instid1(VALU_DEP_1)
	s_or_b32 exec_lo, exec_lo, s7
	s_trap 2
	ds_load_b32 v3, v0
	v_sub_nc_u32_e32 v0, v82, v0
	v_min_i32_e32 v0, v83, v0
	s_delay_alu instid0(VALU_DEP_1) | instskip(SKIP_4) | instid1(VALU_DEP_1)
	v_cmp_lt_i32_e32 vcc_lo, 0, v0
	s_wait_dscnt 0x0
	v_readfirstlane_b32 s7, v3
	v_and_b32_e32 v3, 16, v120
	s_cmp_eq_u32 s7, 0
	v_cmp_ne_u32_e64 s7, 0, v3
	s_cselect_b32 s21, -1, 0
	s_delay_alu instid0(SALU_CYCLE_1) | instskip(NEXT) | instid1(SALU_CYCLE_1)
	s_and_b32 s21, vcc_lo, s21
	s_and_b32 s21, s7, s21
	s_delay_alu instid0(SALU_CYCLE_1)
	s_and_saveexec_b32 s7, s21
	s_cbranch_execz .LBB4_5600
; %bb.5599:                             ;   in Loop: Header=BB4_2835 Depth=1
	global_wb scope:SCOPE_SYS
	s_wait_loadcnt 0x0
	s_wait_storecnt 0x0
	global_inv scope:SCOPE_SYS
.LBB4_5600:                             ;   in Loop: Header=BB4_2835 Depth=1
	s_or_b32 exec_lo, exec_lo, s7
	v_and_b32_e32 v0, 32, v120
	s_mov_b32 s7, exec_lo
	s_delay_alu instid0(VALU_DEP_1)
	v_cmpx_ne_u32_e32 0, v0
	s_cbranch_execz .LBB4_2833
; %bb.5601:                             ;   in Loop: Header=BB4_2835 Depth=1
	v_add_nc_u64_e32 v[8:9], 1, v[8:9]
	global_wb scope:SCOPE_SYS
	s_wait_loadcnt 0x0
	s_wait_storecnt 0x0
	flat_store_b64 v[32:33], v[8:9] scope:SCOPE_SYS
	s_branch .LBB4_2833
.LBB4_5602:
	s_or_b32 exec_lo, exec_lo, s18
.LBB4_5603:
	s_delay_alu instid0(SALU_CYCLE_1)
	s_or_b32 exec_lo, exec_lo, s17
.LBB4_5604:
	s_delay_alu instid0(SALU_CYCLE_1)
	s_or_b32 exec_lo, exec_lo, s11
                                        ; implicit-def: $vgpr26_vgpr27
                                        ; implicit-def: $vgpr4_vgpr5
                                        ; implicit-def: $vgpr52_vgpr53
                                        ; implicit-def: $vgpr34
                                        ; implicit-def: $vgpr38_vgpr39
                                        ; implicit-def: $vgpr36_vgpr37
                                        ; implicit-def: $vgpr32_vgpr33
                                        ; implicit-def: $vgpr121
                                        ; implicit-def: $vgpr15
                                        ; implicit-def: $vgpr50_vgpr51
.LBB4_5605:
	s_and_not1_saveexec_b32 s11, s16
	s_cbranch_execz .LBB4_5779
; %bb.5606:
	v_mov_b64_e32 v[48:49], 0
	s_mov_b32 s12, exec_lo
	v_cmpx_ne_u64_e32 0, v[4:5]
	s_cbranch_execz .LBB4_5778
; %bb.5607:
	v_dual_ashrrev_i32 v0, 31, v121 :: v_dual_ashrrev_i32 v35, 31, v34
	s_ashr_i32 s4, s15, 31
	v_cmp_eq_u32_e32 vcc_lo, 32, v1
	v_mov_b64_e32 v[16:17], 0
	s_delay_alu instid0(VALU_DEP_3) | instskip(SKIP_3) | instid1(VALU_DEP_3)
	v_dual_lshrrev_b32 v0, 27, v0 :: v_dual_bitop2_b32 v11, 31, v31 bitop3:0x40
	s_lshr_b32 s5, s4, 24
	v_cmp_ne_u64_e64 s4, 0, v[52:53]
	v_mov_b64_e32 v[24:25], 0
	v_dual_add_nc_u32 v0, v121, v0 :: v_dual_lshrrev_b32 v10, 5, v1
	v_mov_b32_e32 v13, 0
	v_mov_b64_e32 v[48:49], 0
	v_cmp_ge_i32_e64 s1, v121, v1
	s_delay_alu instid0(VALU_DEP_4) | instskip(SKIP_4) | instid1(VALU_DEP_4)
	v_and_b32_e32 v3, 0xffffffe0, v0
	v_ashrrev_i32_e32 v0, 5, v0
	v_cmp_ne_u32_e64 s2, 32, v1
	v_cmp_ne_u32_e64 s3, v1, v2
	v_and_b32_e32 v14, 0x1fe0, v1
	v_dual_sub_nc_u32 v3, v121, v3 :: v_dual_lshlrev_b32 v12, 11, v0
	s_add_co_i32 s15, s15, s5
	v_cmp_eq_u32_e64 s5, 0, v11
	v_dual_mov_b32 v11, v13 :: v_dual_lshlrev_b32 v18, 11, v10
	s_delay_alu instid0(VALU_DEP_3)
	v_lshl_add_u32 v20, v3, 4, v12
	v_dual_mov_b32 v19, v13 :: v_dual_lshlrev_b32 v22, 9, v10
	v_mov_b32_e32 v23, v13
	v_cmp_gt_i32_e64 s6, 1, v3
	v_cmp_lt_i32_e64 s7, v3, v15
	v_dual_ashrrev_i32 v21, 31, v20 :: v_dual_mov_b32 v15, v13
	v_mov_b32_e32 v30, 1
	s_ashr_i32 s15, s15, 8
	s_mov_b32 s13, 0
	s_xor_b32 s16, vcc_lo, -1
	s_trap 2
	s_branch .LBB4_5611
.LBB4_5608:                             ;   in Loop: Header=BB4_5611 Depth=1
	s_wait_xcnt 0x0
	s_or_b32 exec_lo, exec_lo, s17
	v_add_nc_u64_e32 v[8:9], 1, v[8:9]
	global_wb scope:SCOPE_SYS
	s_wait_storecnt 0x0
	s_wait_loadcnt_dscnt 0x0
	flat_store_b64 v[32:33], v[8:9] scope:SCOPE_SYS
.LBB4_5609:                             ;   in Loop: Header=BB4_5611 Depth=1
	s_wait_xcnt 0x0
	s_or_b32 exec_lo, exec_lo, s10
.LBB4_5610:                             ;   in Loop: Header=BB4_5611 Depth=1
	s_delay_alu instid0(SALU_CYCLE_1) | instskip(SKIP_1) | instid1(VALU_DEP_1)
	s_or_b32 exec_lo, exec_lo, s18
	v_add_nc_u64_e32 v[24:25], v[24:25], v[50:51]
	v_cmp_ge_u64_e32 vcc_lo, v[24:25], v[4:5]
	s_or_b32 s13, vcc_lo, s13
	s_delay_alu instid0(SALU_CYCLE_1)
	s_and_not1_b32 exec_lo, exec_lo, s13
	s_cbranch_execz .LBB4_5777
.LBB4_5611:                             ; =>This Loop Header: Depth=1
                                        ;     Child Loop BB4_5620 Depth 2
                                        ;     Child Loop BB4_5644 Depth 2
                                        ;     Child Loop BB4_5663 Depth 2
                                        ;     Child Loop BB4_5685 Depth 2
                                        ;     Child Loop BB4_5690 Depth 2
                                        ;     Child Loop BB4_5698 Depth 2
                                        ;     Child Loop BB4_5703 Depth 2
                                        ;     Child Loop BB4_5712 Depth 2
                                        ;     Child Loop BB4_5737 Depth 2
                                        ;     Child Loop BB4_5761 Depth 2
	v_sub_nc_u64_e32 v[54:55], v[4:5], v[24:25]
	s_delay_alu instid0(VALU_DEP_1) | instskip(NEXT) | instid1(VALU_DEP_1)
	v_min_u64 v[54:55], v[50:51], v[54:55]
	v_add_nc_u32_e32 v12, 15, v54
	s_delay_alu instid0(VALU_DEP_2) | instskip(NEXT) | instid1(VALU_DEP_2)
	v_cmp_eq_u64_e32 vcc_lo, 0, v[54:55]
	v_and_b32_e32 v12, 0x7ffffff0, v12
	s_or_b32 s17, s1, vcc_lo
	s_delay_alu instid0(SALU_CYCLE_1) | instskip(NEXT) | instid1(VALU_DEP_1)
	s_xor_b32 s10, s17, -1
	v_dual_mov_b32 v12, 0 :: v_dual_max_i32 v64, s15, v12
	s_and_saveexec_b32 s18, s10
	s_cbranch_execz .LBB4_5730
; %bb.5612:                             ;   in Loop: Header=BB4_5611 Depth=1
	s_and_saveexec_b32 s10, s0
	s_cbranch_execz .LBB4_5614
; %bb.5613:                             ;   in Loop: Header=BB4_5611 Depth=1
	s_trap 2
	ds_load_b64 v[66:67], v0
	s_wait_dscnt 0x0
	v_add_nc_u64_e32 v[66:67], v[66:67], v[26:27]
	s_delay_alu instid0(VALU_DEP_1)
	v_add_nc_u64_e32 v[66:67], v[66:67], v[24:25]
	ds_store_b64 v0, v[66:67]
	ds_store_b64 v0, v[16:17]
.LBB4_5614:                             ;   in Loop: Header=BB4_5611 Depth=1
	s_or_b32 exec_lo, exec_lo, s10
	v_and_b32_e32 v12, 8, v120
	v_min_u32_e32 v64, v64, v54
	s_mov_b32 s19, exec_lo
	s_delay_alu instid0(VALU_DEP_2)
	v_cmpx_ne_u32_e32 0, v12
	s_cbranch_execz .LBB4_5636
; %bb.5615:                             ;   in Loop: Header=BB4_5611 Depth=1
	s_wait_loadcnt 0x0
	v_add_nc_u64_e32 v[68:69], 8, v[38:39]
	v_add_nc_u64_e32 v[66:67], 1, v[8:9]
	s_mov_b32 s20, exec_lo
	s_delay_alu instid0(VALU_DEP_1)
	v_cmpx_lt_u64_e64 v[68:69], v[66:67]
	s_cbranch_execz .LBB4_5627
; %bb.5616:                             ;   in Loop: Header=BB4_5611 Depth=1
	v_and_b32_e32 v9, 64, v120
	s_mov_b32 s21, 0
	s_mov_b32 s25, 0
                                        ; implicit-def: $sgpr22
                                        ; implicit-def: $sgpr23
                                        ; implicit-def: $sgpr24
	s_delay_alu instid0(VALU_DEP_1)
	v_cmp_eq_u32_e32 vcc_lo, 0, v9
	s_branch .LBB4_5620
.LBB4_5617:                             ;   in Loop: Header=BB4_5620 Depth=2
	s_wait_loadcnt_dscnt 0x0
	v_add_nc_u64_e32 v[68:69], 8, v[38:39]
	s_or_b32 s28, s28, exec_lo
	s_delay_alu instid0(VALU_DEP_1)
	v_cmp_ge_u64_e64 s10, v[68:69], v[66:67]
	s_or_not1_b32 s27, s10, exec_lo
.LBB4_5618:                             ;   in Loop: Header=BB4_5620 Depth=2
	s_or_b32 exec_lo, exec_lo, s40
	s_delay_alu instid0(SALU_CYCLE_1)
	s_and_not1_b32 s10, s24, exec_lo
	s_and_b32 s24, s28, exec_lo
	s_and_not1_b32 s23, s23, exec_lo
	s_and_b32 s27, s27, exec_lo
	s_or_b32 s24, s10, s24
	s_or_b32 s23, s23, s27
.LBB4_5619:                             ;   in Loop: Header=BB4_5620 Depth=2
	s_or_b32 exec_lo, exec_lo, s26
	s_delay_alu instid0(SALU_CYCLE_1) | instskip(NEXT) | instid1(SALU_CYCLE_1)
	s_and_b32 s10, exec_lo, s23
	s_or_b32 s21, s10, s21
	s_and_not1_b32 s10, s22, exec_lo
	s_and_b32 s22, s24, exec_lo
	s_delay_alu instid0(SALU_CYCLE_1)
	s_or_b32 s22, s10, s22
	s_and_not1_b32 exec_lo, exec_lo, s21
	s_cbranch_execz .LBB4_5624
.LBB4_5620:                             ;   Parent Loop BB4_5611 Depth=1
                                        ; =>  This Inner Loop Header: Depth=2
	s_sleep 1
	s_wait_loadcnt_dscnt 0x0
	flat_load_b64 v[38:39], v[32:33] scope:SCOPE_SYS
	s_or_b32 s24, s24, exec_lo
	s_or_b32 s23, s23, exec_lo
                                        ; implicit-def: $vgpr9
	s_wait_xcnt 0x0
	s_and_saveexec_b32 s26, vcc_lo
	s_cbranch_execz .LBB4_5619
; %bb.5621:                             ;   in Loop: Header=BB4_5620 Depth=2
	s_cmp_lt_i32 s25, 0x270f
	s_mov_b32 s27, -1
	s_cselect_b32 s29, -1, 0
	s_cmp_gt_i32 s25, 0x270e
	s_cbranch_scc0 .LBB4_5623
; %bb.5622:                             ;   in Loop: Header=BB4_5620 Depth=2
	s_trap 2
	ds_load_b64 v[68:69], v0
	s_and_not1_b32 s25, s29, exec_lo
	s_mov_b32 s28, 0
	s_wait_storecnt 0x0
	s_wait_loadcnt_dscnt 0x0
	flat_load_b32 v9, v[68:69] scope:SCOPE_SYS
	s_wait_loadcnt_dscnt 0x0
	global_inv scope:SCOPE_SYS
	v_cmp_eq_u32_e64 s10, 0, v9
	s_and_b32 s10, s10, exec_lo
	s_delay_alu instid0(SALU_CYCLE_1)
	s_or_b32 s29, s25, s10
	s_mov_b32 s25, 0
	s_and_saveexec_b32 s40, s29
	s_cbranch_execz .LBB4_5618
	s_branch .LBB4_5617
.LBB4_5623:                             ;   in Loop: Header=BB4_5620 Depth=2
	s_add_co_i32 s25, s25, 1
	s_mov_b32 s28, -1
                                        ; implicit-def: $vgpr9
	s_and_saveexec_b32 s40, s29
	s_cbranch_execz .LBB4_5618
	s_branch .LBB4_5617
.LBB4_5624:                             ;   in Loop: Header=BB4_5611 Depth=1
	s_or_b32 exec_lo, exec_lo, s21
	s_xor_b32 s10, s22, -1
	s_delay_alu instid0(SALU_CYCLE_1) | instskip(NEXT) | instid1(SALU_CYCLE_1)
	s_and_saveexec_b32 s21, s10
	s_xor_b32 s10, exec_lo, s21
	s_cbranch_execz .LBB4_5626
; %bb.5625:                             ;   in Loop: Header=BB4_5611 Depth=1
	v_or_b32_e32 v120, 64, v120
	s_wait_storecnt 0x0
	s_wait_loadcnt_dscnt 0x0
	ds_store_b32 v0, v9
	s_trap 2
.LBB4_5626:                             ;   in Loop: Header=BB4_5611 Depth=1
	s_or_b32 exec_lo, exec_lo, s10
.LBB4_5627:                             ;   in Loop: Header=BB4_5611 Depth=1
	s_delay_alu instid0(SALU_CYCLE_1) | instskip(SKIP_4) | instid1(VALU_DEP_2)
	s_or_b32 exec_lo, exec_lo, s20
	v_and_b32_e32 v9, 0x100, v120
	v_and_b32_e32 v12, 7, v8
	s_mov_b32 s10, -1
	;;#ASMSTART
	s_wakeup
	;;#ASMEND
	v_cmp_ne_u32_e32 vcc_lo, 0, v9
                                        ; implicit-def: $vgpr8_vgpr9
	s_and_saveexec_b32 s20, vcc_lo
	s_cbranch_execz .LBB4_5631
; %bb.5628:                             ;   in Loop: Header=BB4_5611 Depth=1
	v_mad_nc_u64_u32 v[68:69], v12, 24, v[6:7]
	v_mov_b32_e32 v65, v13
	s_clause 0x1
	flat_load_b32 v8, v[68:69]
	flat_store_b64 v[68:69], v[64:65] offset:8
	s_wait_loadcnt_dscnt 0x1
	v_cmp_eq_u32_e64 s10, 1, v8
	v_cmp_ne_u32_e32 vcc_lo, 1, v8
                                        ; implicit-def: $vgpr8_vgpr9
	s_wait_xcnt 0x0
	s_and_saveexec_b32 s21, s10
	s_cbranch_execz .LBB4_5630
; %bb.5629:                             ;   in Loop: Header=BB4_5611 Depth=1
	flat_load_b32 v8, v[68:69] offset:4 scope:SCOPE_SYS
	s_wait_loadcnt_dscnt 0x0
	v_ashrrev_i32_e32 v9, 31, v8
.LBB4_5630:                             ;   in Loop: Header=BB4_5611 Depth=1
	s_wait_xcnt 0x0
	s_or_b32 exec_lo, exec_lo, s21
	s_delay_alu instid0(SALU_CYCLE_1)
	s_or_not1_b32 s10, vcc_lo, exec_lo
.LBB4_5631:                             ;   in Loop: Header=BB4_5611 Depth=1
	s_or_b32 exec_lo, exec_lo, s20
	s_and_saveexec_b32 s20, s10
; %bb.5632:                             ;   in Loop: Header=BB4_5611 Depth=1
	v_mul_u64_e32 v[8:9], v[12:13], v[34:35]
; %bb.5633:                             ;   in Loop: Header=BB4_5611 Depth=1
	s_or_b32 exec_lo, exec_lo, s20
	s_delay_alu instid0(VALU_DEP_1)
	v_add_nc_u64_e32 v[8:9], v[36:37], v[8:9]
	v_and_b32_e32 v12, 0x2000, v120
	s_mov_b32 s10, exec_lo
	ds_store_b64 v0, v[8:9] offset:784
	v_cmpx_ne_u32_e32 0, v12
	s_cbranch_execz .LBB4_5635
; %bb.5634:                             ;   in Loop: Header=BB4_5611 Depth=1
	ds_load_b64 v[8:9], v0 offset:872
	s_wait_dscnt 0x0
	v_add_nc_u64_e32 v[8:9], 1, v[8:9]
	ds_store_b64 v0, v[8:9] offset:872
.LBB4_5635:                             ;   in Loop: Header=BB4_5611 Depth=1
	s_or_b32 exec_lo, exec_lo, s10
	v_mov_b64_e32 v[8:9], v[66:67]
.LBB4_5636:                             ;   in Loop: Header=BB4_5611 Depth=1
	s_or_b32 exec_lo, exec_lo, s19
	s_and_saveexec_b32 s10, s2
	s_cbranch_execz .LBB4_5655
; %bb.5637:                             ;   in Loop: Header=BB4_5611 Depth=1
	s_and_saveexec_b32 s19, s3
	s_delay_alu instid0(SALU_CYCLE_1)
	s_xor_b32 s19, exec_lo, s19
	s_cbranch_execz .LBB4_5652
; %bb.5638:                             ;   in Loop: Header=BB4_5611 Depth=1
	s_and_saveexec_b32 s20, s5
	s_cbranch_execz .LBB4_5651
; %bb.5639:                             ;   in Loop: Header=BB4_5611 Depth=1
	s_mov_b32 s22, exec_lo
	s_mov_b32 s21, exec_lo
	v_mbcnt_lo_u32_b32 v12, s22, 0
	global_wb scope:SCOPE_DEV
	s_wait_storecnt 0x0
	s_wait_loadcnt_dscnt 0x0
	global_inv scope:SCOPE_DEV
	v_cmpx_eq_u32_e32 0, v12
	s_cbranch_execz .LBB4_5641
; %bb.5640:                             ;   in Loop: Header=BB4_5611 Depth=1
	s_bcnt1_i32_b32 s22, s22
	s_delay_alu instid0(SALU_CYCLE_1)
	v_mov_b32_e32 v12, s22
	s_wait_loadcnt 0x0
	ds_add_u64 v0, v[12:13]
	s_trap 2
.LBB4_5641:                             ;   in Loop: Header=BB4_5611 Depth=1
	s_or_b32 exec_lo, exec_lo, s21
	s_trap 2
	ds_load_b64 v[66:67], v0
	s_wait_dscnt 0x0
	v_add_nc_u64_e32 v[48:49], v[48:49], v[10:11]
	s_mov_b32 s21, exec_lo
	s_delay_alu instid0(VALU_DEP_1)
	v_cmpx_lt_u64_e64 v[66:67], v[48:49]
	s_cbranch_execz .LBB4_5650
; %bb.5642:                             ;   in Loop: Header=BB4_5611 Depth=1
	s_mov_b32 s22, 0
	s_mov_b32 s25, 0
                                        ; implicit-def: $sgpr23
                                        ; implicit-def: $sgpr24
	s_branch .LBB4_5644
.LBB4_5643:                             ;   in Loop: Header=BB4_5644 Depth=2
	s_or_b32 exec_lo, exec_lo, s27
	s_delay_alu instid0(SALU_CYCLE_1) | instskip(NEXT) | instid1(SALU_CYCLE_1)
	s_and_b32 s26, exec_lo, s28
	s_or_b32 s22, s26, s22
	s_and_not1_b32 s23, s23, exec_lo
	s_and_b32 s26, s24, exec_lo
	s_delay_alu instid0(SALU_CYCLE_1)
	s_or_b32 s23, s23, s26
	s_and_not1_b32 exec_lo, exec_lo, s22
	s_cbranch_execz .LBB4_5648
.LBB4_5644:                             ;   Parent Loop BB4_5611 Depth=1
                                        ; =>  This Inner Loop Header: Depth=2
	s_add_co_i32 s25, s25, 1
	s_delay_alu instid0(SALU_CYCLE_1) | instskip(SKIP_1) | instid1(SALU_CYCLE_1)
	s_cmp_lg_u32 s25, 0x2710
	s_cselect_b32 s26, -1, 0
	s_and_b32 vcc_lo, exec_lo, s26
	s_cbranch_vccz .LBB4_5646
; %bb.5645:                             ;   in Loop: Header=BB4_5644 Depth=2
	s_mov_b32 s28, -1
	s_or_b32 s24, s24, exec_lo
	s_and_saveexec_b32 s27, s26
	s_cbranch_execz .LBB4_5643
	s_branch .LBB4_5647
.LBB4_5646:                             ;   in Loop: Header=BB4_5644 Depth=2
	s_trap 2
	ds_load_b64 v[66:67], v0
	s_and_not1_b32 s26, s26, exec_lo
	s_mov_b32 s25, 0
	s_wait_loadcnt_dscnt 0x0
	flat_load_b32 v12, v[66:67] scope:SCOPE_SYS
	s_wait_loadcnt_dscnt 0x0
	global_inv scope:SCOPE_SYS
	v_cmp_eq_u32_e32 vcc_lo, 0, v12
	s_and_b32 s27, vcc_lo, exec_lo
	s_delay_alu instid0(SALU_CYCLE_1)
	s_or_b32 s26, s26, s27
	s_mov_b32 s28, -1
	s_or_b32 s24, s24, exec_lo
	s_and_saveexec_b32 s27, s26
	s_cbranch_execz .LBB4_5643
.LBB4_5647:                             ;   in Loop: Header=BB4_5644 Depth=2
	s_sleep 1
	s_trap 2
	ds_load_b64 v[66:67], v0
	s_wait_dscnt 0x0
	s_and_not1_b32 s24, s24, exec_lo
	v_cmp_ge_u64_e32 vcc_lo, v[66:67], v[48:49]
	s_or_not1_b32 s28, vcc_lo, exec_lo
	s_branch .LBB4_5643
.LBB4_5648:                             ;   in Loop: Header=BB4_5611 Depth=1
	s_or_b32 exec_lo, exec_lo, s22
	s_and_saveexec_b32 s22, s23
	s_delay_alu instid0(SALU_CYCLE_1)
	s_xor_b32 s22, exec_lo, s22
	s_cbranch_execz .LBB4_5650
; %bb.5649:                             ;   in Loop: Header=BB4_5611 Depth=1
	ds_store_b32 v0, v30
	s_trap 2
.LBB4_5650:                             ;   in Loop: Header=BB4_5611 Depth=1
	s_or_b32 exec_lo, exec_lo, s21
	;;#ASMSTART
	s_wakeup
	;;#ASMEND
.LBB4_5651:                             ;   in Loop: Header=BB4_5611 Depth=1
	s_or_b32 exec_lo, exec_lo, s20
.LBB4_5652:                             ;   in Loop: Header=BB4_5611 Depth=1
	s_and_not1_saveexec_b32 s19, s19
	s_cbranch_execz .LBB4_5654
; %bb.5653:                             ;   in Loop: Header=BB4_5611 Depth=1
	global_wb scope:SCOPE_DEV
	s_wait_storecnt 0x0
	s_wait_loadcnt_dscnt 0x0
	global_inv scope:SCOPE_DEV
	s_barrier_signal -1
	s_barrier_wait -1
.LBB4_5654:                             ;   in Loop: Header=BB4_5611 Depth=1
	s_or_b32 exec_lo, exec_lo, s19
.LBB4_5655:                             ;   in Loop: Header=BB4_5611 Depth=1
	s_delay_alu instid0(SALU_CYCLE_1) | instskip(SKIP_3) | instid1(VALU_DEP_1)
	s_or_b32 exec_lo, exec_lo, s10
	s_trap 2
	ds_load_b32 v55, v0
	v_and_b32_e32 v12, 0x4000, v120
	v_cmp_ne_u32_e32 vcc_lo, 0, v12
	s_and_b32 s19, s16, vcc_lo
	s_delay_alu instid0(SALU_CYCLE_1)
	s_and_saveexec_b32 s10, s19
	s_cbranch_execz .LBB4_5674
; %bb.5656:                             ;   in Loop: Header=BB4_5611 Depth=1
	s_and_saveexec_b32 s19, s3
	s_delay_alu instid0(SALU_CYCLE_1)
	s_xor_b32 s19, exec_lo, s19
	s_cbranch_execz .LBB4_5671
; %bb.5657:                             ;   in Loop: Header=BB4_5611 Depth=1
	s_and_saveexec_b32 s20, s5
	s_cbranch_execz .LBB4_5670
; %bb.5658:                             ;   in Loop: Header=BB4_5611 Depth=1
	s_mov_b32 s22, exec_lo
	s_mov_b32 s21, exec_lo
	v_mbcnt_lo_u32_b32 v12, s22, 0
	global_wb scope:SCOPE_DEV
	s_wait_storecnt 0x0
	s_wait_loadcnt_dscnt 0x0
	global_inv scope:SCOPE_DEV
	v_cmpx_eq_u32_e32 0, v12
	s_cbranch_execz .LBB4_5660
; %bb.5659:                             ;   in Loop: Header=BB4_5611 Depth=1
	s_bcnt1_i32_b32 s22, s22
	s_delay_alu instid0(SALU_CYCLE_1)
	v_mov_b32_e32 v12, s22
	s_wait_loadcnt 0x0
	ds_add_u64 v0, v[12:13]
	s_trap 2
.LBB4_5660:                             ;   in Loop: Header=BB4_5611 Depth=1
	s_or_b32 exec_lo, exec_lo, s21
	s_trap 2
	ds_load_b64 v[66:67], v0
	s_wait_dscnt 0x0
	v_add_nc_u64_e32 v[48:49], v[48:49], v[10:11]
	s_mov_b32 s21, exec_lo
	s_delay_alu instid0(VALU_DEP_1)
	v_cmpx_lt_u64_e64 v[66:67], v[48:49]
	s_cbranch_execz .LBB4_5669
; %bb.5661:                             ;   in Loop: Header=BB4_5611 Depth=1
	s_mov_b32 s22, 0
	s_mov_b32 s25, 0
                                        ; implicit-def: $sgpr23
                                        ; implicit-def: $sgpr24
	s_branch .LBB4_5663
.LBB4_5662:                             ;   in Loop: Header=BB4_5663 Depth=2
	s_or_b32 exec_lo, exec_lo, s27
	s_delay_alu instid0(SALU_CYCLE_1) | instskip(NEXT) | instid1(SALU_CYCLE_1)
	s_and_b32 s26, exec_lo, s28
	s_or_b32 s22, s26, s22
	s_and_not1_b32 s23, s23, exec_lo
	s_and_b32 s26, s24, exec_lo
	s_delay_alu instid0(SALU_CYCLE_1)
	s_or_b32 s23, s23, s26
	s_and_not1_b32 exec_lo, exec_lo, s22
	s_cbranch_execz .LBB4_5667
.LBB4_5663:                             ;   Parent Loop BB4_5611 Depth=1
                                        ; =>  This Inner Loop Header: Depth=2
	s_add_co_i32 s25, s25, 1
	s_delay_alu instid0(SALU_CYCLE_1) | instskip(SKIP_1) | instid1(SALU_CYCLE_1)
	s_cmp_lg_u32 s25, 0x2710
	s_cselect_b32 s26, -1, 0
	s_and_b32 vcc_lo, exec_lo, s26
	s_cbranch_vccz .LBB4_5665
; %bb.5664:                             ;   in Loop: Header=BB4_5663 Depth=2
	s_mov_b32 s28, -1
	s_or_b32 s24, s24, exec_lo
	s_and_saveexec_b32 s27, s26
	s_cbranch_execz .LBB4_5662
	s_branch .LBB4_5666
.LBB4_5665:                             ;   in Loop: Header=BB4_5663 Depth=2
	s_trap 2
	ds_load_b64 v[66:67], v0
	s_and_not1_b32 s26, s26, exec_lo
	s_mov_b32 s25, 0
	s_wait_loadcnt_dscnt 0x0
	flat_load_b32 v12, v[66:67] scope:SCOPE_SYS
	s_wait_loadcnt_dscnt 0x0
	global_inv scope:SCOPE_SYS
	v_cmp_eq_u32_e32 vcc_lo, 0, v12
	s_and_b32 s27, vcc_lo, exec_lo
	s_delay_alu instid0(SALU_CYCLE_1)
	s_or_b32 s26, s26, s27
	s_mov_b32 s28, -1
	s_or_b32 s24, s24, exec_lo
	s_and_saveexec_b32 s27, s26
	s_cbranch_execz .LBB4_5662
.LBB4_5666:                             ;   in Loop: Header=BB4_5663 Depth=2
	s_sleep 1
	s_trap 2
	ds_load_b64 v[66:67], v0
	s_wait_dscnt 0x0
	s_and_not1_b32 s24, s24, exec_lo
	v_cmp_ge_u64_e32 vcc_lo, v[66:67], v[48:49]
	s_or_not1_b32 s28, vcc_lo, exec_lo
	s_branch .LBB4_5662
.LBB4_5667:                             ;   in Loop: Header=BB4_5611 Depth=1
	s_or_b32 exec_lo, exec_lo, s22
	s_and_saveexec_b32 s22, s23
	s_delay_alu instid0(SALU_CYCLE_1)
	s_xor_b32 s22, exec_lo, s22
	s_cbranch_execz .LBB4_5669
; %bb.5668:                             ;   in Loop: Header=BB4_5611 Depth=1
	ds_store_b32 v0, v30
	s_trap 2
.LBB4_5669:                             ;   in Loop: Header=BB4_5611 Depth=1
	s_or_b32 exec_lo, exec_lo, s21
	;;#ASMSTART
	s_wakeup
	;;#ASMEND
.LBB4_5670:                             ;   in Loop: Header=BB4_5611 Depth=1
	s_or_b32 exec_lo, exec_lo, s20
.LBB4_5671:                             ;   in Loop: Header=BB4_5611 Depth=1
	s_and_not1_saveexec_b32 s19, s19
	s_cbranch_execz .LBB4_5673
; %bb.5672:                             ;   in Loop: Header=BB4_5611 Depth=1
	global_wb scope:SCOPE_DEV
	s_wait_storecnt 0x0
	s_wait_loadcnt_dscnt 0x0
	global_inv scope:SCOPE_DEV
	s_barrier_signal -1
	s_barrier_wait -1
.LBB4_5673:                             ;   in Loop: Header=BB4_5611 Depth=1
	s_or_b32 exec_lo, exec_lo, s19
.LBB4_5674:                             ;   in Loop: Header=BB4_5611 Depth=1
	s_delay_alu instid0(SALU_CYCLE_1)
	s_or_b32 exec_lo, exec_lo, s10
	s_trap 2
	ds_load_b64 v[66:67], v0
	s_wait_dscnt 0x0
	v_cmp_eq_u64_e32 vcc_lo, 0, v[66:67]
	s_cbranch_vccnz .LBB4_5682
; %bb.5675:                             ;   in Loop: Header=BB4_5611 Depth=1
	s_trap 2
	ds_load_b64 v[68:69], v0
	s_wait_dscnt 0x0
	v_cmp_eq_u64_e32 vcc_lo, 0, v[68:69]
	s_cbranch_vccnz .LBB4_5682
; %bb.5676:                             ;   in Loop: Header=BB4_5611 Depth=1
	s_mov_b32 s10, -1
	s_and_saveexec_b32 s19, s6
	s_cbranch_execz .LBB4_5678
; %bb.5677:                             ;   in Loop: Header=BB4_5611 Depth=1
	ds_load_b32 v12, v0 offset:720
	s_wait_dscnt 0x0
	v_and_b32_e32 v12, 15, v12
	s_delay_alu instid0(VALU_DEP_1)
	v_cmp_eq_u32_e32 vcc_lo, 0, v12
	s_or_not1_b32 s10, vcc_lo, exec_lo
.LBB4_5678:                             ;   in Loop: Header=BB4_5611 Depth=1
	s_or_b32 exec_lo, exec_lo, s19
	s_and_saveexec_b32 s19, s7
	s_cbranch_execz .LBB4_5680
; %bb.5679:                             ;   in Loop: Header=BB4_5611 Depth=1
	ds_load_b32 v12, v0 offset:784
	s_wait_dscnt 0x0
	v_and_b32_e32 v12, 15, v12
	s_delay_alu instid0(VALU_DEP_1) | instskip(SKIP_3) | instid1(SALU_CYCLE_1)
	v_cmp_eq_u32_e32 vcc_lo, 0, v12
	s_and_b32 s20, s10, vcc_lo
	s_and_not1_b32 s10, s10, exec_lo
	s_and_b32 s20, s20, exec_lo
	s_or_b32 s10, s10, s20
.LBB4_5680:                             ;   in Loop: Header=BB4_5611 Depth=1
	s_or_b32 exec_lo, exec_lo, s19
	v_cmp_eq_u32_e32 vcc_lo, 0, v55
	s_xor_b32 s10, s10, -1
	v_mov_b32_e32 v70, v0
	v_cndmask_b32_e64 v65, 0, 1, s10
	s_mov_b32 s20, -1
	v_dual_cndmask_b32 v12, 0, v64 :: v_dual_mov_b32 v55, 0
	v_mov_b32_e32 v80, v121
	s_delay_alu instid0(VALU_DEP_3) | instskip(NEXT) | instid1(VALU_DEP_3)
	v_cmp_ne_u32_e32 vcc_lo, 0, v65
	v_mov_b32_e32 v65, v12
	s_cbranch_vccz .LBB4_5683
; %bb.5681:                             ;   in Loop: Header=BB4_5611 Depth=1
	s_and_saveexec_b32 s10, s20
	s_cbranch_execnz .LBB4_5696
	s_branch .LBB4_5704
.LBB4_5682:                             ;   in Loop: Header=BB4_5611 Depth=1
	s_mov_b32 s10, 0
	s_and_saveexec_b32 s19, s2
	s_cbranch_execnz .LBB4_5705
	s_branch .LBB4_5723
.LBB4_5683:                             ;   in Loop: Header=BB4_5611 Depth=1
	v_lshrrev_b32_e32 v55, 11, v12
	s_mov_b32 s10, exec_lo
	s_delay_alu instid0(VALU_DEP_1) | instskip(NEXT) | instid1(VALU_DEP_1)
	v_sub_nc_u32_e32 v82, v55, v0
	v_cmpx_lt_i32_e32 0, v82
	s_cbranch_execz .LBB4_5687
; %bb.5684:                             ;   in Loop: Header=BB4_5611 Depth=1
	v_mov_b64_e32 v[70:71], v[68:69]
	v_mov_b64_e32 v[80:81], v[66:67]
	s_mov_b32 s19, 0
.LBB4_5685:                             ;   Parent Loop BB4_5611 Depth=1
                                        ; =>  This Inner Loop Header: Depth=2
	s_delay_alu instid0(VALU_DEP_1) | instskip(SKIP_1) | instid1(VALU_DEP_4)
	v_add_nc_u64_e32 v[112:113], v[20:21], v[80:81]
	v_sub_nc_u32_e32 v82, v82, v10
	v_add_nc_u64_e32 v[116:117], v[20:21], v[70:71]
	v_add_nc_u64_e32 v[80:81], v[80:81], v[18:19]
	;; [unrolled: 1-line block ×3, first 2 shown]
	s_clause 0x3
	global_load_b128 v[84:87], v[112:113], off th:TH_LOAD_NT
	global_load_b128 v[96:99], v[112:113], off offset:512 th:TH_LOAD_NT
	global_load_b128 v[100:103], v[112:113], off offset:1024 th:TH_LOAD_NT
	global_load_b128 v[112:115], v[112:113], off offset:1536 th:TH_LOAD_NT
	v_cmp_gt_i32_e32 vcc_lo, 1, v82
	s_wait_loadcnt 0x3
	global_store_b128 v[116:117], v[84:87], off th:TH_STORE_NT
	s_wait_loadcnt 0x2
	global_store_b128 v[116:117], v[96:99], off offset:512 th:TH_STORE_NT
	s_wait_loadcnt 0x1
	global_store_b128 v[116:117], v[100:103], off offset:1024 th:TH_STORE_NT
	;; [unrolled: 2-line block ×3, first 2 shown]
	s_or_b32 s19, vcc_lo, s19
	s_wait_xcnt 0x0
	s_and_not1_b32 exec_lo, exec_lo, s19
	s_cbranch_execnz .LBB4_5685
; %bb.5686:                             ;   in Loop: Header=BB4_5611 Depth=1
	s_or_b32 exec_lo, exec_lo, s19
.LBB4_5687:                             ;   in Loop: Header=BB4_5611 Depth=1
	s_delay_alu instid0(SALU_CYCLE_1) | instskip(SKIP_4) | instid1(VALU_DEP_2)
	s_or_b32 exec_lo, exec_lo, s10
	v_and_b32_e32 v71, 0x3ffff800, v12
	v_mov_b32_e32 v55, 0
	s_mov_b32 s20, 0
	s_mov_b32 s19, exec_lo
                                        ; implicit-def: $vgpr65
                                        ; implicit-def: $vgpr80
                                        ; implicit-def: $vgpr70
	v_cmpx_ne_u32_e64 v12, v71
	s_cbranch_execz .LBB4_5695
; %bb.5688:                             ;   in Loop: Header=BB4_5611 Depth=1
	v_lshlrev_b32_e32 v55, 5, v82
	v_bfe_u32 v83, v12, 9, 2
	v_and_b32_e32 v82, 0x7ff, v12
	s_mov_b32 s20, exec_lo
	s_delay_alu instid0(VALU_DEP_3) | instskip(NEXT) | instid1(VALU_DEP_1)
	v_sub_nc_u32_e32 v55, v3, v55
	v_ashrrev_i32_e32 v65, 31, v55
	s_delay_alu instid0(VALU_DEP_1) | instskip(NEXT) | instid1(VALU_DEP_1)
	v_lshrrev_b32_e32 v65, 27, v65
	v_add_nc_u32_e32 v65, v55, v65
	s_delay_alu instid0(VALU_DEP_1) | instskip(NEXT) | instid1(VALU_DEP_1)
	v_and_b32_e32 v70, 0xffffffe0, v65
	v_dual_ashrrev_i32 v80, 5, v65 :: v_dual_sub_nc_u32 v81, v55, v70
	v_and_b32_e32 v55, 0x1ff, v12
	s_delay_alu instid0(VALU_DEP_1) | instskip(SKIP_1) | instid1(VALU_DEP_4)
	v_cmp_lt_u32_e32 vcc_lo, 15, v55
	v_add_co_ci_u32_e64 v83, null, 0, v83, vcc_lo
	v_lshlrev_b32_e32 v65, 4, v81
	s_delay_alu instid0(VALU_DEP_1) | instskip(NEXT) | instid1(VALU_DEP_1)
	v_lshl_add_u32 v70, v80, 9, v65
	v_dual_sub_nc_u32 v65, v82, v70 :: v_dual_sub_nc_u32 v82, v83, v80
	s_delay_alu instid0(VALU_DEP_1)
	v_cmpx_lt_i32_e32 15, v65
	s_cbranch_execz .LBB4_5692
; %bb.5689:                             ;   in Loop: Header=BB4_5611 Depth=1
	v_add_nc_u32_e32 v70, v70, v71
	s_mov_b32 s21, 0
	s_delay_alu instid0(VALU_DEP_1)
	v_ashrrev_i32_e32 v71, 31, v70
.LBB4_5690:                             ;   Parent Loop BB4_5611 Depth=1
                                        ; =>  This Inner Loop Header: Depth=2
	s_delay_alu instid0(VALU_DEP_1) | instskip(SKIP_4) | instid1(VALU_DEP_4)
	v_add_nc_u64_e32 v[84:85], v[66:67], v[70:71]
	v_sub_nc_u32_e32 v65, v65, v22
	v_add_nc_u64_e32 v[96:97], v[68:69], v[70:71]
	v_add_nc_u64_e32 v[70:71], v[70:71], v[22:23]
	v_sub_nc_u32_e32 v82, v82, v10
	v_cmp_gt_i32_e64 s10, 16, v65
	global_load_b128 v[84:87], v[84:85], off th:TH_LOAD_NT
	s_or_b32 s21, s10, s21
	s_wait_loadcnt 0x0
	global_store_b128 v[96:97], v[84:87], off th:TH_STORE_NT
	s_wait_xcnt 0x0
	s_and_not1_b32 exec_lo, exec_lo, s21
	s_cbranch_execnz .LBB4_5690
; %bb.5691:                             ;   in Loop: Header=BB4_5611 Depth=1
	s_or_b32 exec_lo, exec_lo, s21
.LBB4_5692:                             ;   in Loop: Header=BB4_5611 Depth=1
	s_delay_alu instid0(SALU_CYCLE_1) | instskip(SKIP_3) | instid1(VALU_DEP_1)
	s_or_b32 exec_lo, exec_lo, s20
	v_and_b32_e32 v65, 15, v12
	s_mov_b32 s20, 0
	s_mov_b32 s21, exec_lo
                                        ; implicit-def: $vgpr80
                                        ; implicit-def: $vgpr70
	v_dual_cndmask_b32 v65, v55, v65, vcc_lo :: v_dual_mov_b32 v55, 0
	s_delay_alu instid0(VALU_DEP_1)
	v_cmpx_ne_u32_e32 0, v65
	s_cbranch_execz .LBB4_5694
; %bb.5693:                             ;   in Loop: Header=BB4_5611 Depth=1
	v_cmp_lt_i32_e64 s10, 0, v82
	v_and_b32_e32 v70, 0x1f0, v12
	s_mov_b32 s20, exec_lo
	v_cndmask_b32_e64 v55, 0, v10, s10
	s_delay_alu instid0(VALU_DEP_2) | instskip(NEXT) | instid1(VALU_DEP_2)
	v_cndmask_b32_e32 v70, 0, v70, vcc_lo
	v_sub_nc_u32_e32 v55, v55, v82
	s_delay_alu instid0(VALU_DEP_1) | instskip(NEXT) | instid1(VALU_DEP_1)
	v_lshl_add_u32 v80, v55, 5, v81
	v_ashrrev_i32_e32 v55, 31, v80
	s_delay_alu instid0(VALU_DEP_1) | instskip(NEXT) | instid1(VALU_DEP_1)
	v_lshrrev_b32_e32 v55, 27, v55
	v_add_nc_u32_e32 v71, v80, v55
	v_and_or_b32 v55, 0x3ffffe00, v12, v70
	s_delay_alu instid0(VALU_DEP_2)
	v_ashrrev_i32_e32 v70, 5, v71
.LBB4_5694:                             ;   in Loop: Header=BB4_5611 Depth=1
	s_or_b32 exec_lo, exec_lo, s21
	s_delay_alu instid0(SALU_CYCLE_1)
	s_and_b32 s20, s20, exec_lo
.LBB4_5695:                             ;   in Loop: Header=BB4_5611 Depth=1
	s_or_b32 exec_lo, exec_lo, s19
	s_and_saveexec_b32 s10, s20
	s_cbranch_execz .LBB4_5704
.LBB4_5696:                             ;   in Loop: Header=BB4_5611 Depth=1
	v_lshrrev_b32_e32 v71, 9, v65
	s_mov_b32 s19, exec_lo
	s_delay_alu instid0(VALU_DEP_1) | instskip(NEXT) | instid1(VALU_DEP_1)
	v_dual_sub_nc_u32 v81, v71, v70 :: v_dual_ashrrev_i32 v71, 31, v80
	v_lshrrev_b32_e32 v82, 27, v71
	s_delay_alu instid0(VALU_DEP_2)
	v_cmpx_lt_i32_e32 0, v81
	s_cbranch_execz .LBB4_5700
; %bb.5697:                             ;   in Loop: Header=BB4_5611 Depth=1
	s_delay_alu instid0(VALU_DEP_2) | instskip(SKIP_2) | instid1(VALU_DEP_2)
	v_add_nc_u32_e32 v71, v80, v82
	s_mov_b32 s20, 0
	v_lshlrev_b32_e32 v70, 9, v70
	v_and_b32_e32 v71, 0xffffffe0, v71
	s_delay_alu instid0(VALU_DEP_1) | instskip(NEXT) | instid1(VALU_DEP_1)
	v_sub_nc_u32_e32 v71, v80, v71
	v_add3_u32 v70, v55, v71, v70
	s_delay_alu instid0(VALU_DEP_1)
	v_ashrrev_i32_e32 v71, 31, v70
.LBB4_5698:                             ;   Parent Loop BB4_5611 Depth=1
                                        ; =>  This Inner Loop Header: Depth=2
	s_delay_alu instid0(VALU_DEP_1)
	v_add_nc_u64_e32 v[84:85], v[70:71], v[66:67]
	v_sub_nc_u32_e32 v81, v81, v10
	v_add_nc_u64_e32 v[66:67], v[66:67], v[22:23]
	s_clause 0xf
	flat_load_u8 v83, v[84:85] th:TH_LOAD_NT
	flat_load_u8 v86, v[84:85] offset:32 th:TH_LOAD_NT
	flat_load_u8 v87, v[84:85] offset:64 th:TH_LOAD_NT
	;; [unrolled: 1-line block ×15, first 2 shown]
	s_wait_xcnt 0x0
	v_add_nc_u64_e32 v[84:85], v[70:71], v[68:69]
	v_add_nc_u64_e32 v[68:69], v[68:69], v[22:23]
	v_cmp_gt_i32_e32 vcc_lo, 1, v81
	s_wait_loadcnt_dscnt 0xf0f
	flat_store_b8 v[84:85], v83 th:TH_STORE_NT
	s_wait_loadcnt_dscnt 0xe0f
	flat_store_b8 v[84:85], v86 offset:32 th:TH_STORE_NT
	s_wait_loadcnt_dscnt 0xd0f
	flat_store_b8 v[84:85], v87 offset:64 th:TH_STORE_NT
	s_wait_loadcnt_dscnt 0xc0f
	flat_store_b8 v[84:85], v96 offset:96 th:TH_STORE_NT
	s_wait_loadcnt_dscnt 0xb0f
	flat_store_b8 v[84:85], v97 offset:128 th:TH_STORE_NT
	s_wait_loadcnt_dscnt 0xa0f
	flat_store_b8 v[84:85], v98 offset:160 th:TH_STORE_NT
	s_wait_loadcnt_dscnt 0x90f
	flat_store_b8 v[84:85], v99 offset:192 th:TH_STORE_NT
	s_wait_loadcnt_dscnt 0x80f
	flat_store_b8 v[84:85], v100 offset:224 th:TH_STORE_NT
	s_wait_loadcnt_dscnt 0x70f
	flat_store_b8 v[84:85], v101 offset:256 th:TH_STORE_NT
	s_wait_loadcnt_dscnt 0x60f
	flat_store_b8 v[84:85], v102 offset:288 th:TH_STORE_NT
	s_wait_loadcnt_dscnt 0x50f
	flat_store_b8 v[84:85], v103 offset:320 th:TH_STORE_NT
	s_wait_loadcnt_dscnt 0x40f
	flat_store_b8 v[84:85], v112 offset:352 th:TH_STORE_NT
	s_wait_loadcnt_dscnt 0x30f
	flat_store_b8 v[84:85], v113 offset:384 th:TH_STORE_NT
	s_wait_loadcnt_dscnt 0x20f
	flat_store_b8 v[84:85], v114 offset:416 th:TH_STORE_NT
	s_wait_loadcnt_dscnt 0x10f
	flat_store_b8 v[84:85], v115 offset:448 th:TH_STORE_NT
	s_wait_loadcnt_dscnt 0xf
	flat_store_b8 v[84:85], v116 offset:480 th:TH_STORE_NT
	s_or_b32 s20, vcc_lo, s20
	s_wait_xcnt 0x0
	s_and_not1_b32 exec_lo, exec_lo, s20
	s_cbranch_execnz .LBB4_5698
; %bb.5699:                             ;   in Loop: Header=BB4_5611 Depth=1
	s_or_b32 exec_lo, exec_lo, s20
.LBB4_5700:                             ;   in Loop: Header=BB4_5611 Depth=1
	s_delay_alu instid0(SALU_CYCLE_1) | instskip(SKIP_1) | instid1(VALU_DEP_1)
	s_or_b32 exec_lo, exec_lo, s19
	v_and_b32_e32 v68, 0xfffffe00, v65
	v_cmp_ne_u32_e32 vcc_lo, v65, v68
	s_and_b32 exec_lo, exec_lo, vcc_lo
	s_cbranch_execz .LBB4_5704
; %bb.5701:                             ;   in Loop: Header=BB4_5611 Depth=1
	v_dual_add_nc_u32 v66, v80, v82 :: v_dual_lshlrev_b32 v67, 5, v81
	v_and_b32_e32 v65, 0x1ff, v65
	s_delay_alu instid0(VALU_DEP_2) | instskip(NEXT) | instid1(VALU_DEP_1)
	v_and_b32_e32 v66, 0xffffffe0, v66
	v_sub_nc_u32_e32 v66, v80, v66
	s_delay_alu instid0(VALU_DEP_1) | instskip(NEXT) | instid1(VALU_DEP_1)
	v_sub_nc_u32_e32 v69, v66, v67
	v_sub_nc_u32_e32 v65, v65, v69
	s_delay_alu instid0(VALU_DEP_1)
	v_cmp_lt_i32_e32 vcc_lo, 0, v65
	s_and_b32 exec_lo, exec_lo, vcc_lo
	s_cbranch_execz .LBB4_5704
; %bb.5702:                             ;   in Loop: Header=BB4_5611 Depth=1
	s_trap 2
	ds_load_b64 v[66:67], v0
	v_add3_u32 v68, v68, v55, v69
	s_mov_b32 s19, 0
	s_delay_alu instid0(VALU_DEP_1)
	v_ashrrev_i32_e32 v69, 31, v68
.LBB4_5703:                             ;   Parent Loop BB4_5611 Depth=1
                                        ; =>  This Inner Loop Header: Depth=2
	s_wait_dscnt 0x0
	s_delay_alu instid0(VALU_DEP_1) | instskip(SKIP_2) | instid1(VALU_DEP_2)
	v_add_nc_u64_e32 v[70:71], v[66:67], v[68:69]
	v_sub_nc_u32_e32 v65, v65, v14
	v_add_nc_u64_e32 v[68:69], v[68:69], v[14:15]
	v_cmp_gt_i32_e32 vcc_lo, 1, v65
	flat_load_u8 v55, v[70:71] th:TH_LOAD_NT
	s_or_b32 s19, vcc_lo, s19
	s_wait_loadcnt_dscnt 0x0
	flat_store_b8 v[70:71], v55 th:TH_STORE_NT
	s_wait_xcnt 0x0
	s_and_not1_b32 exec_lo, exec_lo, s19
	s_cbranch_execnz .LBB4_5703
.LBB4_5704:                             ;   in Loop: Header=BB4_5611 Depth=1
	s_or_b32 exec_lo, exec_lo, s10
	v_cmp_ne_u32_e64 s10, 0, v12
	s_and_saveexec_b32 s19, s2
	s_cbranch_execz .LBB4_5723
.LBB4_5705:                             ;   in Loop: Header=BB4_5611 Depth=1
	s_and_saveexec_b32 s20, s3
	s_delay_alu instid0(SALU_CYCLE_1)
	s_xor_b32 s20, exec_lo, s20
	s_cbranch_execz .LBB4_5720
; %bb.5706:                             ;   in Loop: Header=BB4_5611 Depth=1
	s_and_saveexec_b32 s21, s5
	s_cbranch_execz .LBB4_5719
; %bb.5707:                             ;   in Loop: Header=BB4_5611 Depth=1
	s_mov_b32 s23, exec_lo
	s_mov_b32 s22, exec_lo
	v_mbcnt_lo_u32_b32 v12, s23, 0
	global_wb scope:SCOPE_DEV
	s_wait_storecnt 0x0
	s_wait_loadcnt_dscnt 0x0
	global_inv scope:SCOPE_DEV
	v_cmpx_eq_u32_e32 0, v12
	s_cbranch_execz .LBB4_5709
; %bb.5708:                             ;   in Loop: Header=BB4_5611 Depth=1
	s_bcnt1_i32_b32 s23, s23
	s_delay_alu instid0(SALU_CYCLE_1)
	v_mov_b32_e32 v12, s23
	s_wait_loadcnt 0x0
	ds_add_u64 v0, v[12:13]
	s_trap 2
.LBB4_5709:                             ;   in Loop: Header=BB4_5611 Depth=1
	s_or_b32 exec_lo, exec_lo, s22
	s_trap 2
	ds_load_b64 v[66:67], v0
	s_wait_dscnt 0x0
	v_add_nc_u64_e32 v[48:49], v[48:49], v[10:11]
	s_mov_b32 s22, exec_lo
	s_delay_alu instid0(VALU_DEP_1)
	v_cmpx_lt_u64_e64 v[66:67], v[48:49]
	s_cbranch_execz .LBB4_5718
; %bb.5710:                             ;   in Loop: Header=BB4_5611 Depth=1
	s_mov_b32 s23, 0
	s_mov_b32 s26, 0
                                        ; implicit-def: $sgpr24
                                        ; implicit-def: $sgpr25
	s_branch .LBB4_5712
.LBB4_5711:                             ;   in Loop: Header=BB4_5712 Depth=2
	s_or_b32 exec_lo, exec_lo, s28
	s_delay_alu instid0(SALU_CYCLE_1) | instskip(NEXT) | instid1(SALU_CYCLE_1)
	s_and_b32 s27, exec_lo, s29
	s_or_b32 s23, s27, s23
	s_and_not1_b32 s24, s24, exec_lo
	s_and_b32 s27, s25, exec_lo
	s_delay_alu instid0(SALU_CYCLE_1)
	s_or_b32 s24, s24, s27
	s_and_not1_b32 exec_lo, exec_lo, s23
	s_cbranch_execz .LBB4_5716
.LBB4_5712:                             ;   Parent Loop BB4_5611 Depth=1
                                        ; =>  This Inner Loop Header: Depth=2
	s_add_co_i32 s26, s26, 1
	s_delay_alu instid0(SALU_CYCLE_1) | instskip(SKIP_1) | instid1(SALU_CYCLE_1)
	s_cmp_lg_u32 s26, 0x2710
	s_cselect_b32 s27, -1, 0
	s_and_b32 vcc_lo, exec_lo, s27
	s_cbranch_vccz .LBB4_5714
; %bb.5713:                             ;   in Loop: Header=BB4_5712 Depth=2
	s_mov_b32 s29, -1
	s_or_b32 s25, s25, exec_lo
	s_and_saveexec_b32 s28, s27
	s_cbranch_execz .LBB4_5711
	s_branch .LBB4_5715
.LBB4_5714:                             ;   in Loop: Header=BB4_5712 Depth=2
	s_trap 2
	ds_load_b64 v[66:67], v0
	s_and_not1_b32 s27, s27, exec_lo
	s_mov_b32 s26, 0
	s_wait_loadcnt_dscnt 0x0
	flat_load_b32 v12, v[66:67] scope:SCOPE_SYS
	s_wait_loadcnt_dscnt 0x0
	global_inv scope:SCOPE_SYS
	v_cmp_eq_u32_e32 vcc_lo, 0, v12
	s_and_b32 s28, vcc_lo, exec_lo
	s_delay_alu instid0(SALU_CYCLE_1)
	s_or_b32 s27, s27, s28
	s_mov_b32 s29, -1
	s_or_b32 s25, s25, exec_lo
	s_and_saveexec_b32 s28, s27
	s_cbranch_execz .LBB4_5711
.LBB4_5715:                             ;   in Loop: Header=BB4_5712 Depth=2
	s_sleep 1
	s_trap 2
	ds_load_b64 v[66:67], v0
	s_wait_dscnt 0x0
	s_and_not1_b32 s25, s25, exec_lo
	v_cmp_ge_u64_e32 vcc_lo, v[66:67], v[48:49]
	s_or_not1_b32 s29, vcc_lo, exec_lo
	s_branch .LBB4_5711
.LBB4_5716:                             ;   in Loop: Header=BB4_5611 Depth=1
	s_or_b32 exec_lo, exec_lo, s23
	s_and_saveexec_b32 s23, s24
	s_delay_alu instid0(SALU_CYCLE_1)
	s_xor_b32 s23, exec_lo, s23
	s_cbranch_execz .LBB4_5718
; %bb.5717:                             ;   in Loop: Header=BB4_5611 Depth=1
	ds_store_b32 v0, v30
	s_trap 2
.LBB4_5718:                             ;   in Loop: Header=BB4_5611 Depth=1
	s_or_b32 exec_lo, exec_lo, s22
	;;#ASMSTART
	s_wakeup
	;;#ASMEND
.LBB4_5719:                             ;   in Loop: Header=BB4_5611 Depth=1
	s_or_b32 exec_lo, exec_lo, s21
.LBB4_5720:                             ;   in Loop: Header=BB4_5611 Depth=1
	s_and_not1_saveexec_b32 s20, s20
	s_cbranch_execz .LBB4_5722
; %bb.5721:                             ;   in Loop: Header=BB4_5611 Depth=1
	global_wb scope:SCOPE_DEV
	s_wait_storecnt 0x0
	s_wait_loadcnt_dscnt 0x0
	global_inv scope:SCOPE_DEV
	s_barrier_signal -1
	s_barrier_wait -1
.LBB4_5722:                             ;   in Loop: Header=BB4_5611 Depth=1
	s_or_b32 exec_lo, exec_lo, s20
.LBB4_5723:                             ;   in Loop: Header=BB4_5611 Depth=1
	s_delay_alu instid0(SALU_CYCLE_1) | instskip(SKIP_1) | instid1(VALU_DEP_1)
	s_or_b32 exec_lo, exec_lo, s19
	v_and_b32_e32 v12, 16, v120
	v_cmp_ne_u32_e32 vcc_lo, 0, v12
	s_and_b32 s19, vcc_lo, s10
	s_delay_alu instid0(SALU_CYCLE_1)
	s_and_saveexec_b32 s10, s19
	s_cbranch_execz .LBB4_5725
; %bb.5724:                             ;   in Loop: Header=BB4_5611 Depth=1
	global_wb scope:SCOPE_SYS
	s_wait_storecnt 0x0
	s_wait_loadcnt_dscnt 0x0
	global_inv scope:SCOPE_SYS
.LBB4_5725:                             ;   in Loop: Header=BB4_5611 Depth=1
	s_or_b32 exec_lo, exec_lo, s10
	s_delay_alu instid0(SALU_CYCLE_1)
	s_mov_b32 s10, exec_lo
	v_cmpx_ne_u32_e32 0, v12
	s_cbranch_execz .LBB4_5729
; %bb.5726:                             ;   in Loop: Header=BB4_5611 Depth=1
	s_and_saveexec_b32 s19, s4
	s_cbranch_execz .LBB4_5728
; %bb.5727:                             ;   in Loop: Header=BB4_5611 Depth=1
	global_wb scope:SCOPE_SYS
	s_wait_storecnt 0x0
	s_wait_loadcnt_dscnt 0x0
	flat_store_b32 v[52:53], v30 scope:SCOPE_SYS
.LBB4_5728:                             ;   in Loop: Header=BB4_5611 Depth=1
	s_wait_xcnt 0x0
	s_or_b32 exec_lo, exec_lo, s19
	v_add_nc_u64_e32 v[8:9], 1, v[8:9]
	global_wb scope:SCOPE_SYS
	s_wait_storecnt 0x0
	s_wait_loadcnt_dscnt 0x0
	flat_store_b64 v[32:33], v[8:9] scope:SCOPE_SYS
.LBB4_5729:                             ;   in Loop: Header=BB4_5611 Depth=1
	s_wait_xcnt 0x0
	s_or_b32 exec_lo, exec_lo, s10
	v_mov_b32_e32 v12, v64
.LBB4_5730:                             ;   in Loop: Header=BB4_5611 Depth=1
	s_or_b32 exec_lo, exec_lo, s18
	s_and_saveexec_b32 s18, s17
	s_cbranch_execz .LBB4_5610
; %bb.5731:                             ;   in Loop: Header=BB4_5611 Depth=1
	s_delay_alu instid0(VALU_DEP_1) | instskip(SKIP_2) | instid1(VALU_DEP_2)
	v_sub_nc_u32_e32 v12, v54, v12
	v_and_b32_e32 v55, 8, v120
	s_mov_b32 s17, exec_lo
	v_min_i32_e32 v54, v64, v12
	s_delay_alu instid0(VALU_DEP_2)
	v_cmpx_ne_u32_e32 0, v55
	s_cbranch_execz .LBB4_5753
; %bb.5732:                             ;   in Loop: Header=BB4_5611 Depth=1
	s_wait_loadcnt 0x0
	v_add_nc_u64_e32 v[66:67], 8, v[38:39]
	v_add_nc_u64_e32 v[64:65], 1, v[8:9]
	s_mov_b32 s19, exec_lo
	s_delay_alu instid0(VALU_DEP_1)
	v_cmpx_lt_u64_e64 v[66:67], v[64:65]
	s_cbranch_execz .LBB4_5744
; %bb.5733:                             ;   in Loop: Header=BB4_5611 Depth=1
	v_and_b32_e32 v9, 64, v120
	s_mov_b32 s20, 0
	s_mov_b32 s24, 0
                                        ; implicit-def: $sgpr21
                                        ; implicit-def: $sgpr22
                                        ; implicit-def: $sgpr23
	s_delay_alu instid0(VALU_DEP_1)
	v_cmp_eq_u32_e32 vcc_lo, 0, v9
	s_branch .LBB4_5737
.LBB4_5734:                             ;   in Loop: Header=BB4_5737 Depth=2
	s_wait_loadcnt_dscnt 0x0
	v_add_nc_u64_e32 v[66:67], 8, v[38:39]
	s_or_b32 s27, s27, exec_lo
	s_delay_alu instid0(VALU_DEP_1)
	v_cmp_ge_u64_e64 s10, v[66:67], v[64:65]
	s_or_not1_b32 s26, s10, exec_lo
.LBB4_5735:                             ;   in Loop: Header=BB4_5737 Depth=2
	s_or_b32 exec_lo, exec_lo, s29
	s_delay_alu instid0(SALU_CYCLE_1)
	s_and_not1_b32 s10, s23, exec_lo
	s_and_b32 s23, s27, exec_lo
	s_and_not1_b32 s22, s22, exec_lo
	s_and_b32 s26, s26, exec_lo
	s_or_b32 s23, s10, s23
	s_or_b32 s22, s22, s26
.LBB4_5736:                             ;   in Loop: Header=BB4_5737 Depth=2
	s_or_b32 exec_lo, exec_lo, s25
	s_delay_alu instid0(SALU_CYCLE_1) | instskip(NEXT) | instid1(SALU_CYCLE_1)
	s_and_b32 s10, exec_lo, s22
	s_or_b32 s20, s10, s20
	s_and_not1_b32 s10, s21, exec_lo
	s_and_b32 s21, s23, exec_lo
	s_delay_alu instid0(SALU_CYCLE_1)
	s_or_b32 s21, s10, s21
	s_and_not1_b32 exec_lo, exec_lo, s20
	s_cbranch_execz .LBB4_5741
.LBB4_5737:                             ;   Parent Loop BB4_5611 Depth=1
                                        ; =>  This Inner Loop Header: Depth=2
	s_sleep 1
	s_wait_loadcnt_dscnt 0x0
	flat_load_b64 v[38:39], v[32:33] scope:SCOPE_SYS
	s_or_b32 s23, s23, exec_lo
	s_or_b32 s22, s22, exec_lo
                                        ; implicit-def: $vgpr9
	s_wait_xcnt 0x0
	s_and_saveexec_b32 s25, vcc_lo
	s_cbranch_execz .LBB4_5736
; %bb.5738:                             ;   in Loop: Header=BB4_5737 Depth=2
	s_cmp_lt_i32 s24, 0x270f
	s_mov_b32 s26, -1
	s_cselect_b32 s28, -1, 0
	s_cmp_gt_i32 s24, 0x270e
	s_cbranch_scc0 .LBB4_5740
; %bb.5739:                             ;   in Loop: Header=BB4_5737 Depth=2
	s_trap 2
	ds_load_b64 v[66:67], v0
	s_and_not1_b32 s24, s28, exec_lo
	s_mov_b32 s27, 0
	s_wait_storecnt 0x0
	s_wait_loadcnt_dscnt 0x0
	flat_load_b32 v9, v[66:67] scope:SCOPE_SYS
	s_wait_loadcnt_dscnt 0x0
	global_inv scope:SCOPE_SYS
	v_cmp_eq_u32_e64 s10, 0, v9
	s_and_b32 s10, s10, exec_lo
	s_delay_alu instid0(SALU_CYCLE_1)
	s_or_b32 s28, s24, s10
	s_mov_b32 s24, 0
	s_and_saveexec_b32 s29, s28
	s_cbranch_execz .LBB4_5735
	s_branch .LBB4_5734
.LBB4_5740:                             ;   in Loop: Header=BB4_5737 Depth=2
	s_add_co_i32 s24, s24, 1
	s_mov_b32 s27, -1
                                        ; implicit-def: $vgpr9
	s_and_saveexec_b32 s29, s28
	s_cbranch_execz .LBB4_5735
	s_branch .LBB4_5734
.LBB4_5741:                             ;   in Loop: Header=BB4_5611 Depth=1
	s_or_b32 exec_lo, exec_lo, s20
	s_xor_b32 s10, s21, -1
	s_delay_alu instid0(SALU_CYCLE_1) | instskip(NEXT) | instid1(SALU_CYCLE_1)
	s_and_saveexec_b32 s20, s10
	s_xor_b32 s10, exec_lo, s20
	s_cbranch_execz .LBB4_5743
; %bb.5742:                             ;   in Loop: Header=BB4_5611 Depth=1
	v_or_b32_e32 v120, 64, v120
	s_wait_storecnt 0x0
	s_wait_loadcnt_dscnt 0x0
	ds_store_b32 v0, v9
	s_trap 2
.LBB4_5743:                             ;   in Loop: Header=BB4_5611 Depth=1
	s_or_b32 exec_lo, exec_lo, s10
.LBB4_5744:                             ;   in Loop: Header=BB4_5611 Depth=1
	s_delay_alu instid0(SALU_CYCLE_1) | instskip(SKIP_4) | instid1(VALU_DEP_2)
	s_or_b32 exec_lo, exec_lo, s19
	v_and_b32_e32 v9, 0x100, v120
	v_and_b32_e32 v12, 7, v8
	s_mov_b32 s10, -1
	;;#ASMSTART
	s_wakeup
	;;#ASMEND
	v_cmp_ne_u32_e32 vcc_lo, 0, v9
                                        ; implicit-def: $vgpr8_vgpr9
	s_and_saveexec_b32 s19, vcc_lo
	s_cbranch_execz .LBB4_5748
; %bb.5745:                             ;   in Loop: Header=BB4_5611 Depth=1
	v_mad_nc_u64_u32 v[66:67], v12, 24, v[6:7]
	v_ashrrev_i32_e32 v55, 31, v54
	s_clause 0x1
	flat_load_b32 v8, v[66:67]
	flat_store_b64 v[66:67], v[54:55] offset:8
	s_wait_loadcnt_dscnt 0x1
	v_cmp_eq_u32_e64 s10, 1, v8
	v_cmp_ne_u32_e32 vcc_lo, 1, v8
                                        ; implicit-def: $vgpr8_vgpr9
	s_wait_xcnt 0x0
	s_and_saveexec_b32 s20, s10
	s_cbranch_execz .LBB4_5747
; %bb.5746:                             ;   in Loop: Header=BB4_5611 Depth=1
	flat_load_b32 v8, v[66:67] offset:4 scope:SCOPE_SYS
	s_wait_loadcnt_dscnt 0x0
	v_ashrrev_i32_e32 v9, 31, v8
.LBB4_5747:                             ;   in Loop: Header=BB4_5611 Depth=1
	s_wait_xcnt 0x0
	s_or_b32 exec_lo, exec_lo, s20
	s_delay_alu instid0(SALU_CYCLE_1)
	s_or_not1_b32 s10, vcc_lo, exec_lo
.LBB4_5748:                             ;   in Loop: Header=BB4_5611 Depth=1
	s_or_b32 exec_lo, exec_lo, s19
	s_and_saveexec_b32 s19, s10
; %bb.5749:                             ;   in Loop: Header=BB4_5611 Depth=1
	v_mul_u64_e32 v[8:9], v[12:13], v[34:35]
; %bb.5750:                             ;   in Loop: Header=BB4_5611 Depth=1
	s_or_b32 exec_lo, exec_lo, s19
	s_delay_alu instid0(VALU_DEP_1)
	v_add_nc_u64_e32 v[8:9], v[36:37], v[8:9]
	v_and_b32_e32 v12, 0x2000, v120
	s_mov_b32 s10, exec_lo
	ds_store_b64 v0, v[8:9] offset:784
	v_cmpx_ne_u32_e32 0, v12
	s_cbranch_execz .LBB4_5752
; %bb.5751:                             ;   in Loop: Header=BB4_5611 Depth=1
	ds_load_b64 v[8:9], v0 offset:872
	s_wait_dscnt 0x0
	v_add_nc_u64_e32 v[8:9], 1, v[8:9]
	ds_store_b64 v0, v[8:9] offset:872
.LBB4_5752:                             ;   in Loop: Header=BB4_5611 Depth=1
	s_or_b32 exec_lo, exec_lo, s10
	v_mov_b64_e32 v[8:9], v[64:65]
.LBB4_5753:                             ;   in Loop: Header=BB4_5611 Depth=1
	s_or_b32 exec_lo, exec_lo, s17
	s_and_saveexec_b32 s10, s2
	s_cbranch_execz .LBB4_5772
; %bb.5754:                             ;   in Loop: Header=BB4_5611 Depth=1
	s_and_saveexec_b32 s17, s3
	s_delay_alu instid0(SALU_CYCLE_1)
	s_xor_b32 s17, exec_lo, s17
	s_cbranch_execz .LBB4_5769
; %bb.5755:                             ;   in Loop: Header=BB4_5611 Depth=1
	s_and_saveexec_b32 s19, s5
	s_cbranch_execz .LBB4_5768
; %bb.5756:                             ;   in Loop: Header=BB4_5611 Depth=1
	s_mov_b32 s21, exec_lo
	s_mov_b32 s20, exec_lo
	v_mbcnt_lo_u32_b32 v12, s21, 0
	global_wb scope:SCOPE_DEV
	s_wait_storecnt 0x0
	s_wait_loadcnt_dscnt 0x0
	global_inv scope:SCOPE_DEV
	v_cmpx_eq_u32_e32 0, v12
	s_cbranch_execz .LBB4_5758
; %bb.5757:                             ;   in Loop: Header=BB4_5611 Depth=1
	s_bcnt1_i32_b32 s21, s21
	s_delay_alu instid0(SALU_CYCLE_1)
	v_mov_b32_e32 v12, s21
	s_wait_loadcnt 0x0
	ds_add_u64 v0, v[12:13]
	s_trap 2
.LBB4_5758:                             ;   in Loop: Header=BB4_5611 Depth=1
	s_or_b32 exec_lo, exec_lo, s20
	s_trap 2
	ds_load_b64 v[64:65], v0
	s_wait_dscnt 0x0
	v_add_nc_u64_e32 v[48:49], v[48:49], v[10:11]
	s_mov_b32 s20, exec_lo
	s_delay_alu instid0(VALU_DEP_1)
	v_cmpx_lt_u64_e64 v[64:65], v[48:49]
	s_cbranch_execz .LBB4_5767
; %bb.5759:                             ;   in Loop: Header=BB4_5611 Depth=1
	s_mov_b32 s21, 0
	s_mov_b32 s24, 0
                                        ; implicit-def: $sgpr22
                                        ; implicit-def: $sgpr23
	s_branch .LBB4_5761
.LBB4_5760:                             ;   in Loop: Header=BB4_5761 Depth=2
	s_or_b32 exec_lo, exec_lo, s26
	s_delay_alu instid0(SALU_CYCLE_1) | instskip(NEXT) | instid1(SALU_CYCLE_1)
	s_and_b32 s25, exec_lo, s27
	s_or_b32 s21, s25, s21
	s_and_not1_b32 s22, s22, exec_lo
	s_and_b32 s25, s23, exec_lo
	s_delay_alu instid0(SALU_CYCLE_1)
	s_or_b32 s22, s22, s25
	s_and_not1_b32 exec_lo, exec_lo, s21
	s_cbranch_execz .LBB4_5765
.LBB4_5761:                             ;   Parent Loop BB4_5611 Depth=1
                                        ; =>  This Inner Loop Header: Depth=2
	s_add_co_i32 s24, s24, 1
	s_delay_alu instid0(SALU_CYCLE_1) | instskip(SKIP_1) | instid1(SALU_CYCLE_1)
	s_cmp_lg_u32 s24, 0x2710
	s_cselect_b32 s25, -1, 0
	s_and_b32 vcc_lo, exec_lo, s25
	s_cbranch_vccz .LBB4_5763
; %bb.5762:                             ;   in Loop: Header=BB4_5761 Depth=2
	s_mov_b32 s27, -1
	s_or_b32 s23, s23, exec_lo
	s_and_saveexec_b32 s26, s25
	s_cbranch_execz .LBB4_5760
	s_branch .LBB4_5764
.LBB4_5763:                             ;   in Loop: Header=BB4_5761 Depth=2
	s_trap 2
	ds_load_b64 v[64:65], v0
	s_and_not1_b32 s25, s25, exec_lo
	s_mov_b32 s24, 0
	s_wait_loadcnt_dscnt 0x0
	flat_load_b32 v12, v[64:65] scope:SCOPE_SYS
	s_wait_loadcnt_dscnt 0x0
	global_inv scope:SCOPE_SYS
	v_cmp_eq_u32_e32 vcc_lo, 0, v12
	s_and_b32 s26, vcc_lo, exec_lo
	s_delay_alu instid0(SALU_CYCLE_1)
	s_or_b32 s25, s25, s26
	s_mov_b32 s27, -1
	s_or_b32 s23, s23, exec_lo
	s_and_saveexec_b32 s26, s25
	s_cbranch_execz .LBB4_5760
.LBB4_5764:                             ;   in Loop: Header=BB4_5761 Depth=2
	s_sleep 1
	s_trap 2
	ds_load_b64 v[64:65], v0
	s_wait_dscnt 0x0
	s_and_not1_b32 s23, s23, exec_lo
	v_cmp_ge_u64_e32 vcc_lo, v[64:65], v[48:49]
	s_or_not1_b32 s27, vcc_lo, exec_lo
	s_branch .LBB4_5760
.LBB4_5765:                             ;   in Loop: Header=BB4_5611 Depth=1
	s_or_b32 exec_lo, exec_lo, s21
	s_and_saveexec_b32 s21, s22
	s_delay_alu instid0(SALU_CYCLE_1)
	s_xor_b32 s21, exec_lo, s21
	s_cbranch_execz .LBB4_5767
; %bb.5766:                             ;   in Loop: Header=BB4_5611 Depth=1
	ds_store_b32 v0, v30
	s_trap 2
.LBB4_5767:                             ;   in Loop: Header=BB4_5611 Depth=1
	s_or_b32 exec_lo, exec_lo, s20
	;;#ASMSTART
	s_wakeup
	;;#ASMEND
.LBB4_5768:                             ;   in Loop: Header=BB4_5611 Depth=1
	s_or_b32 exec_lo, exec_lo, s19
.LBB4_5769:                             ;   in Loop: Header=BB4_5611 Depth=1
	s_and_not1_saveexec_b32 s17, s17
	s_cbranch_execz .LBB4_5771
; %bb.5770:                             ;   in Loop: Header=BB4_5611 Depth=1
	global_wb scope:SCOPE_DEV
	s_wait_storecnt 0x0
	s_wait_loadcnt_dscnt 0x0
	global_inv scope:SCOPE_DEV
	s_barrier_signal -1
	s_barrier_wait -1
.LBB4_5771:                             ;   in Loop: Header=BB4_5611 Depth=1
	s_or_b32 exec_lo, exec_lo, s17
.LBB4_5772:                             ;   in Loop: Header=BB4_5611 Depth=1
	s_delay_alu instid0(SALU_CYCLE_1)
	s_or_b32 exec_lo, exec_lo, s10
	s_trap 2
	ds_load_b32 v12, v0
	v_cmp_lt_i32_e32 vcc_lo, 0, v54
	s_wait_dscnt 0x0
	v_readfirstlane_b32 s10, v12
	v_and_b32_e32 v12, 16, v120
	s_cmp_eq_u32 s10, 0
	s_delay_alu instid0(VALU_DEP_1) | instskip(SKIP_1) | instid1(SALU_CYCLE_1)
	v_cmp_ne_u32_e64 s10, 0, v12
	s_cselect_b32 s17, -1, 0
	s_and_b32 s17, vcc_lo, s17
	s_delay_alu instid0(SALU_CYCLE_1) | instskip(NEXT) | instid1(SALU_CYCLE_1)
	s_and_b32 s17, s10, s17
	s_and_saveexec_b32 s10, s17
	s_cbranch_execz .LBB4_5774
; %bb.5773:                             ;   in Loop: Header=BB4_5611 Depth=1
	global_wb scope:SCOPE_SYS
	s_wait_loadcnt 0x0
	s_wait_storecnt 0x0
	global_inv scope:SCOPE_SYS
.LBB4_5774:                             ;   in Loop: Header=BB4_5611 Depth=1
	s_or_b32 exec_lo, exec_lo, s10
	s_delay_alu instid0(SALU_CYCLE_1)
	s_mov_b32 s10, exec_lo
	v_cmpx_ne_u32_e32 0, v12
	s_cbranch_execz .LBB4_5609
; %bb.5775:                             ;   in Loop: Header=BB4_5611 Depth=1
	s_and_saveexec_b32 s17, s4
	s_cbranch_execz .LBB4_5608
; %bb.5776:                             ;   in Loop: Header=BB4_5611 Depth=1
	global_wb scope:SCOPE_SYS
	s_wait_loadcnt 0x0
	s_wait_storecnt 0x0
	flat_store_b32 v[52:53], v30 scope:SCOPE_SYS
	s_branch .LBB4_5608
.LBB4_5777:
	s_or_b32 exec_lo, exec_lo, s13
.LBB4_5778:
	s_delay_alu instid0(SALU_CYCLE_1)
	s_or_b32 exec_lo, exec_lo, s12
.LBB4_5779:
	s_delay_alu instid0(SALU_CYCLE_1) | instskip(SKIP_2) | instid1(VALU_DEP_1)
	s_or_b32 exec_lo, exec_lo, s11
	v_and_b32_e32 v0, 0x800, v120
	s_mov_b32 s1, exec_lo
	v_cmpx_eq_u32_e32 0, v0
	s_cbranch_execz .LBB4_5812
; %bb.5780:
	v_and_b32_e32 v0, 48, v120
	s_mov_b32 s0, exec_lo
	s_delay_alu instid0(VALU_DEP_1)
	v_cmpx_ne_u32_e32 0, v0
	s_cbranch_execz .LBB4_5782
; %bb.5781:
	flat_store_b64 v[28:29], v[8:9] offset:104
.LBB4_5782:
	s_wait_xcnt 0x0
	s_or_b32 exec_lo, exec_lo, s0
	v_and_b32_e32 v0, 0x88, v120
	s_mov_b32 s2, exec_lo
	s_delay_alu instid0(VALU_DEP_1)
	v_cmpx_eq_u32_e32 0x88, v0
	s_cbranch_execz .LBB4_5792
; %bb.5783:
	v_add_nc_u32_e32 v0, -1, v8
	s_mov_b32 s3, 0
	s_delay_alu instid0(VALU_DEP_1) | instskip(NEXT) | instid1(VALU_DEP_1)
	v_and_b32_e32 v0, 7, v0
	v_mad_nc_u64_u32 v[4:5], v0, 24, v[6:7]
	v_and_b32_e32 v0, 64, v120
	s_delay_alu instid0(VALU_DEP_1)
	v_cmp_eq_u32_e64 s0, 0, v0
	flat_load_b64 v[6:7], v[4:5] offset:8 scope:SCOPE_SYS
	s_wait_loadcnt_dscnt 0x0
	v_cmp_ne_u64_e32 vcc_lo, -1, v[6:7]
	s_and_b32 s0, vcc_lo, s0
	s_wait_xcnt 0x0
	s_and_b32 exec_lo, exec_lo, s0
	s_cbranch_execz .LBB4_5792
; %bb.5784:
	s_mov_b32 s5, 0
                                        ; implicit-def: $sgpr0
                                        ; implicit-def: $sgpr4
	s_branch .LBB4_5787
.LBB4_5785:                             ;   in Loop: Header=BB4_5787 Depth=1
	flat_load_b64 v[6:7], v[4:5] offset:8 scope:SCOPE_SYS
	s_wait_loadcnt 0x0
	s_and_not1_b32 s4, s4, exec_lo
	s_wait_dscnt 0x0
	v_cmp_eq_u64_e32 vcc_lo, -1, v[6:7]
	s_or_not1_b32 s7, vcc_lo, exec_lo
.LBB4_5786:                             ;   in Loop: Header=BB4_5787 Depth=1
	s_wait_xcnt 0x0
	s_or_b32 exec_lo, exec_lo, s10
	s_delay_alu instid0(SALU_CYCLE_1) | instskip(NEXT) | instid1(SALU_CYCLE_1)
	s_and_b32 s6, exec_lo, s7
	s_or_b32 s3, s6, s3
	s_and_not1_b32 s0, s0, exec_lo
	s_and_b32 s6, s4, exec_lo
	s_delay_alu instid0(SALU_CYCLE_1)
	s_or_b32 s0, s0, s6
	s_and_not1_b32 exec_lo, exec_lo, s3
	s_cbranch_execz .LBB4_5790
.LBB4_5787:                             ; =>This Inner Loop Header: Depth=1
	s_cmp_lt_i32 s5, 0x270f
	s_cselect_b32 s6, -1, 0
	s_delay_alu instid0(SALU_CYCLE_1)
	s_and_b32 vcc_lo, exec_lo, s6
	s_cbranch_vccnz .LBB4_5789
; %bb.5788:                             ;   in Loop: Header=BB4_5787 Depth=1
	s_trap 2
	ds_load_b64 v[6:7], v0
	s_and_not1_b32 s6, s6, exec_lo
	s_mov_b32 s5, 0
	s_wait_storecnt_dscnt 0x0
	flat_load_b32 v0, v[6:7] scope:SCOPE_SYS
	s_wait_loadcnt_dscnt 0x0
	global_inv scope:SCOPE_SYS
	v_cmp_eq_u32_e32 vcc_lo, 0, v0
	s_and_b32 s7, vcc_lo, exec_lo
	s_delay_alu instid0(SALU_CYCLE_1)
	s_or_b32 s6, s6, s7
	s_mov_b32 s7, -1
	s_or_b32 s4, s4, exec_lo
	s_wait_xcnt 0x0
	s_and_saveexec_b32 s10, s6
	s_cbranch_execz .LBB4_5786
	s_branch .LBB4_5785
.LBB4_5789:                             ;   in Loop: Header=BB4_5787 Depth=1
	s_add_co_i32 s5, s5, 1
                                        ; implicit-def: $vgpr0
	s_mov_b32 s7, -1
	s_or_b32 s4, s4, exec_lo
	s_and_saveexec_b32 s10, s6
	s_cbranch_execz .LBB4_5786
	s_branch .LBB4_5785
.LBB4_5790:
	s_or_b32 exec_lo, exec_lo, s3
	s_and_saveexec_b32 s3, s0
	s_delay_alu instid0(SALU_CYCLE_1)
	s_xor_b32 s3, exec_lo, s3
	s_cbranch_execz .LBB4_5792
; %bb.5791:
	s_wait_loadcnt 0x0
	s_wait_storecnt 0x0
	ds_store_b32 v0, v0
	s_trap 2
.LBB4_5792:
	s_or_b32 exec_lo, exec_lo, s2
	v_and_b32_e32 v0, 0x2000, v120
	s_mov_b32 s0, exec_lo
	s_delay_alu instid0(VALU_DEP_1)
	v_cmpx_ne_u32_e32 0, v0
	s_cbranch_execz .LBB4_5794
; %bb.5793:
	s_trap 2
	scratch_load_b64 v[6:7], off, s33 offset:188 th:TH_LOAD_LU ; 8-byte Folded Reload
	ds_load_b64 v[4:5], v0
	s_wait_loadcnt_dscnt 0x0
	flat_store_b64 v[6:7], v[4:5] offset:16
.LBB4_5794:
	s_wait_xcnt 0x0
	s_or_b32 exec_lo, exec_lo, s0
	v_cmp_ne_u32_e32 vcc_lo, 32, v1
	s_and_b32 exec_lo, exec_lo, vcc_lo
	s_cbranch_execz .LBB4_5812
; %bb.5795:
	s_mov_b32 s0, exec_lo
	v_cmpx_ne_u32_e64 v1, v2
	s_xor_b32 s0, exec_lo, s0
	s_cbranch_execz .LBB4_5810
; %bb.5796:
	v_and_b32_e32 v0, 31, v31
	s_mov_b32 s2, exec_lo
	s_delay_alu instid0(VALU_DEP_1)
	v_cmpx_eq_u32_e32 0, v0
	s_cbranch_execz .LBB4_5809
; %bb.5797:
	s_mov_b32 s4, exec_lo
	s_mov_b32 s3, exec_lo
	v_mbcnt_lo_u32_b32 v0, s4, 0
	global_wb scope:SCOPE_DEV
	s_wait_storecnt 0x0
	s_wait_loadcnt_dscnt 0x0
	global_inv scope:SCOPE_DEV
	v_cmpx_eq_u32_e32 0, v0
	s_cbranch_execz .LBB4_5799
; %bb.5798:
	s_bcnt1_i32_b32 s4, s4
	s_delay_alu instid0(SALU_CYCLE_1)
	v_dual_mov_b32 v3, 0 :: v_dual_mov_b32 v2, s4
	s_wait_loadcnt 0x0
	ds_add_u64 v0, v[2:3]
	s_trap 2
.LBB4_5799:
	s_or_b32 exec_lo, exec_lo, s3
	s_trap 2
	ds_load_b64 v[2:3], v0
	s_wait_dscnt 0x0
	v_dual_mov_b32 v1, 0 :: v_dual_lshrrev_b32 v0, 5, v1
	s_mov_b32 s3, exec_lo
	s_delay_alu instid0(VALU_DEP_1) | instskip(NEXT) | instid1(VALU_DEP_1)
	v_add_nc_u64_e32 v[0:1], v[48:49], v[0:1]
	v_cmpx_lt_u64_e64 v[2:3], v[0:1]
	s_cbranch_execz .LBB4_5808
; %bb.5800:
	s_mov_b32 s4, 0
	s_mov_b32 s7, 0
                                        ; implicit-def: $sgpr5
                                        ; implicit-def: $sgpr6
	s_branch .LBB4_5802
.LBB4_5801:                             ;   in Loop: Header=BB4_5802 Depth=1
	s_or_b32 exec_lo, exec_lo, s11
	s_delay_alu instid0(SALU_CYCLE_1) | instskip(NEXT) | instid1(SALU_CYCLE_1)
	s_and_b32 s10, exec_lo, s12
	s_or_b32 s4, s10, s4
	s_and_not1_b32 s5, s5, exec_lo
	s_and_b32 s10, s6, exec_lo
	s_delay_alu instid0(SALU_CYCLE_1)
	s_or_b32 s5, s5, s10
	s_and_not1_b32 exec_lo, exec_lo, s4
	s_cbranch_execz .LBB4_5806
.LBB4_5802:                             ; =>This Inner Loop Header: Depth=1
	s_add_co_i32 s7, s7, 1
	s_delay_alu instid0(SALU_CYCLE_1) | instskip(SKIP_1) | instid1(SALU_CYCLE_1)
	s_cmp_lg_u32 s7, 0x2710
	s_cselect_b32 s10, -1, 0
	s_and_b32 vcc_lo, exec_lo, s10
	s_cbranch_vccz .LBB4_5804
; %bb.5803:                             ;   in Loop: Header=BB4_5802 Depth=1
	s_mov_b32 s12, -1
	s_or_b32 s6, s6, exec_lo
	s_and_saveexec_b32 s11, s10
	s_cbranch_execz .LBB4_5801
	s_branch .LBB4_5805
.LBB4_5804:                             ;   in Loop: Header=BB4_5802 Depth=1
	s_trap 2
	ds_load_b64 v[2:3], v0
	s_and_not1_b32 s10, s10, exec_lo
	s_mov_b32 s7, 0
	s_wait_loadcnt_dscnt 0x0
	flat_load_b32 v2, v[2:3] scope:SCOPE_SYS
	s_wait_loadcnt_dscnt 0x0
	global_inv scope:SCOPE_SYS
	v_cmp_eq_u32_e32 vcc_lo, 0, v2
	s_and_b32 s11, vcc_lo, exec_lo
	s_delay_alu instid0(SALU_CYCLE_1)
	s_or_b32 s10, s10, s11
	s_mov_b32 s12, -1
	s_or_b32 s6, s6, exec_lo
	s_and_saveexec_b32 s11, s10
	s_cbranch_execz .LBB4_5801
.LBB4_5805:                             ;   in Loop: Header=BB4_5802 Depth=1
	s_sleep 1
	s_trap 2
	ds_load_b64 v[2:3], v0
	s_wait_dscnt 0x0
	s_and_not1_b32 s6, s6, exec_lo
	v_cmp_ge_u64_e32 vcc_lo, v[2:3], v[0:1]
	s_or_not1_b32 s12, vcc_lo, exec_lo
	s_branch .LBB4_5801
.LBB4_5806:
	s_or_b32 exec_lo, exec_lo, s4
	s_and_saveexec_b32 s4, s5
	s_delay_alu instid0(SALU_CYCLE_1)
	s_xor_b32 s4, exec_lo, s4
	s_cbranch_execz .LBB4_5808
; %bb.5807:
	v_mov_b32_e32 v0, 1
	ds_store_b32 v0, v0
	s_trap 2
.LBB4_5808:
	s_or_b32 exec_lo, exec_lo, s3
	;;#ASMSTART
	s_wakeup
	;;#ASMEND
.LBB4_5809:
	s_or_b32 exec_lo, exec_lo, s2
.LBB4_5810:
	s_and_not1_saveexec_b32 s0, s0
	s_cbranch_execz .LBB4_5812
; %bb.5811:
	global_wb scope:SCOPE_DEV
	s_wait_storecnt 0x0
	s_wait_loadcnt_dscnt 0x0
	global_inv scope:SCOPE_DEV
	s_barrier_signal -1
	s_barrier_wait -1
.LBB4_5812:
	s_or_b32 exec_lo, exec_lo, s1
.LBB4_5813:
	s_and_not1_saveexec_b32 s21, s14
	s_cbranch_execz .LBB4_5815
; %bb.5814:
	s_get_pc_i64 s[0:1]
	s_add_nc_u64 s[0:1], s[0:1], __PRETTY_FUNCTION__._ZN10PrimitivesI14__hip_fp8_e5m28FuncProdIS0_E12FanSymmetricILi1EELi0E11ProtoSimpleILi1ELi1ELi0ELi2ELi0ELi0EELi0ELb0ELi0ELi0ELi0EEC2EiiPKiS9_PKvPvmhhhP15ncclDevWorkCollP14ncclDevWorkP2pii@rel64+4
	s_get_pc_i64 s[2:3]
	s_add_nc_u64 s[2:3], s[2:3], __assert_fail@rel64+4
	v_dual_mov_b32 v0, s0 :: v_dual_mov_b32 v1, s1
	s_swap_pc_i64 s[30:31], s[2:3]
	; divergent unreachable
.LBB4_5815:
	s_or_b32 exec_lo, exec_lo, s21
	s_clause 0x2e
	scratch_load_b32 v126, off, s33
	scratch_load_b32 v125, off, s33 offset:4
	scratch_load_b32 v124, off, s33 offset:8
	;; [unrolled: 1-line block ×46, first 2 shown]
	v_readlane_b32 s30, v127, 0
	v_readlane_b32 s31, v127, 1
	s_mov_b32 s32, s33
	s_wait_xcnt 0x0
	s_or_saveexec_b32 s0, -1
	scratch_load_b32 v127, off, s33 offset:204 ; 4-byte Folded Reload
	s_wait_xcnt 0x0
	s_mov_b32 exec_lo, s0
	s_mov_b32 s33, s45
	s_wait_loadcnt_dscnt 0x0
	s_set_pc_i64 s[30:31]
.Lfunc_end4:
	.size	_ZN12_GLOBAL__N_17runRingI14__hip_fp8_e5m28FuncProdIS1_E11ProtoSimpleILi1ELi1ELi0ELi2ELi0ELi0EELi0ELi2ELi0EEEviiP15ncclDevWorkColl, .Lfunc_end4-_ZN12_GLOBAL__N_17runRingI14__hip_fp8_e5m28FuncProdIS1_E11ProtoSimpleILi1ELi1ELi0ELi2ELi0ELi0EELi0ELi2ELi0EEEviiP15ncclDevWorkColl
                                        ; -- End function
	.set .L_ZN12_GLOBAL__N_17runRingI14__hip_fp8_e5m28FuncProdIS1_E11ProtoSimpleILi1ELi1ELi0ELi2ELi0ELi0EELi0ELi2ELi0EEEviiP15ncclDevWorkColl.num_vgpr, max(128, .L__assert_fail.num_vgpr)
	.set .L_ZN12_GLOBAL__N_17runRingI14__hip_fp8_e5m28FuncProdIS1_E11ProtoSimpleILi1ELi1ELi0ELi2ELi0ELi0EELi0ELi2ELi0EEEviiP15ncclDevWorkColl.num_agpr, max(0, .L__assert_fail.num_agpr)
	.set .L_ZN12_GLOBAL__N_17runRingI14__hip_fp8_e5m28FuncProdIS1_E11ProtoSimpleILi1ELi1ELi0ELi2ELi0ELi0EELi0ELi2ELi0EEEviiP15ncclDevWorkColl.numbered_sgpr, max(46, .L__assert_fail.numbered_sgpr)
	.set .L_ZN12_GLOBAL__N_17runRingI14__hip_fp8_e5m28FuncProdIS1_E11ProtoSimpleILi1ELi1ELi0ELi2ELi0ELi0EELi0ELi2ELi0EEEviiP15ncclDevWorkColl.num_named_barrier, max(0, .L__assert_fail.num_named_barrier)
	.set .L_ZN12_GLOBAL__N_17runRingI14__hip_fp8_e5m28FuncProdIS1_E11ProtoSimpleILi1ELi1ELi0ELi2ELi0ELi0EELi0ELi2ELi0EEEviiP15ncclDevWorkColl.private_seg_size, 224+max(.L__assert_fail.private_seg_size)
	.set .L_ZN12_GLOBAL__N_17runRingI14__hip_fp8_e5m28FuncProdIS1_E11ProtoSimpleILi1ELi1ELi0ELi2ELi0ELi0EELi0ELi2ELi0EEEviiP15ncclDevWorkColl.uses_vcc, or(1, .L__assert_fail.uses_vcc)
	.set .L_ZN12_GLOBAL__N_17runRingI14__hip_fp8_e5m28FuncProdIS1_E11ProtoSimpleILi1ELi1ELi0ELi2ELi0ELi0EELi0ELi2ELi0EEEviiP15ncclDevWorkColl.uses_flat_scratch, or(1, .L__assert_fail.uses_flat_scratch)
	.set .L_ZN12_GLOBAL__N_17runRingI14__hip_fp8_e5m28FuncProdIS1_E11ProtoSimpleILi1ELi1ELi0ELi2ELi0ELi0EELi0ELi2ELi0EEEviiP15ncclDevWorkColl.has_dyn_sized_stack, or(0, .L__assert_fail.has_dyn_sized_stack)
	.set .L_ZN12_GLOBAL__N_17runRingI14__hip_fp8_e5m28FuncProdIS1_E11ProtoSimpleILi1ELi1ELi0ELi2ELi0ELi0EELi0ELi2ELi0EEEviiP15ncclDevWorkColl.has_recursion, or(1, .L__assert_fail.has_recursion)
	.set .L_ZN12_GLOBAL__N_17runRingI14__hip_fp8_e5m28FuncProdIS1_E11ProtoSimpleILi1ELi1ELi0ELi2ELi0ELi0EELi0ELi2ELi0EEEviiP15ncclDevWorkColl.has_indirect_call, or(0, .L__assert_fail.has_indirect_call)
	.section	.AMDGPU.csdata,"",@progbits
; Function info:
; codeLenInByte = 169712
; TotalNumSgprs: 48
; NumVgprs: 128
; ScratchSize: 288
; MemoryBound: 1
	.text
	.p2align	2                               ; -- Begin function _Z48ncclDevFunc_Reduce_RING_SIMPLE_Prod_f8e5m2_0_0_2v
	.type	_Z48ncclDevFunc_Reduce_RING_SIMPLE_Prod_f8e5m2_0_0_2v,@function
_Z48ncclDevFunc_Reduce_RING_SIMPLE_Prod_f8e5m2_0_0_2v: ; @_Z48ncclDevFunc_Reduce_RING_SIMPLE_Prod_f8e5m2_0_0_2v
; %bb.0:
	s_wait_loadcnt_dscnt 0x0
	s_wait_kmcnt 0x0
	s_mov_b32 s61, s33
	s_mov_b32 s33, s32
	s_or_saveexec_b32 s0, -1
	scratch_store_b32 off, v42, s33 offset:12 ; 4-byte Folded Spill
	s_wait_xcnt 0x0
	s_mov_b32 exec_lo, s0
	s_add_co_i32 s32, s32, 32
	s_clause 0x2
	scratch_store_b32 off, v40, s33 offset:8
	; meta instruction
	scratch_store_b32 off, v41, s33 offset:4
	; meta instruction
	scratch_store_b32 off, v127, s33
	v_writelane_b32 v42, s30, 0
	v_writelane_b32 v42, s31, 1
	s_trap 2
	ds_load_b32 v0, v0
	s_wait_xcnt 0x2
	v_mov_b32_e32 v40, v31
	s_wait_dscnt 0x0
	v_cmp_gt_i32_e32 vcc_lo, 1, v0
	s_cbranch_vccnz .LBB5_8
; %bb.1:
	s_wait_xcnt 0x1
	v_and_b32_e32 v41, 0x3ff, v40
	s_mov_b32 s56, s12
	s_mov_b64 s[46:47], s[8:9]
	s_mov_b32 s57, 0
	s_get_pc_i64 s[58:59]
	s_add_nc_u64 s[58:59], s[58:59], _ZN12_GLOBAL__N_17runRingI14__hip_fp8_e5m28FuncProdIS1_E11ProtoSimpleILi1ELi1ELi0ELi2ELi0ELi0EELi0ELi2ELi0EEEviiP15ncclDevWorkColl@rel64+4
	s_branch .LBB5_3
.LBB5_2:                                ;   in Loop: Header=BB5_3 Depth=1
	s_or_b32 exec_lo, exec_lo, s60
	s_trap 2
	ds_load_b32 v0, v0
	s_add_co_i32 s57, s57, 1
	s_wait_dscnt 0x0
	v_cmp_lt_i32_e32 vcc_lo, s57, v0
	s_cbranch_vccz .LBB5_8
.LBB5_3:                                ; =>This Inner Loop Header: Depth=1
	s_trap 2
	ds_load_b32 v0, v0
	s_cmp_eq_u32 s57, 0
	s_cbranch_scc1 .LBB5_6
; %bb.4:                                ;   in Loop: Header=BB5_3 Depth=1
	s_trap 2
	s_wait_dscnt 0x0
	ds_load_b32 v1, v0
	s_wait_dscnt 0x0
	v_xor_b32_e32 v1, v1, v0
	s_delay_alu instid0(VALU_DEP_1) | instskip(NEXT) | instid1(VALU_DEP_1)
	v_and_b32_e32 v1, 0xff0000, v1
	v_cmp_eq_u32_e32 vcc_lo, 0, v1
	s_cbranch_vccnz .LBB5_6
; %bb.5:                                ;   in Loop: Header=BB5_3 Depth=1
	s_wait_storecnt 0x0
	s_barrier_signal -1
	s_barrier_wait -1
	ds_load_b32 v0, v0
.LBB5_6:                                ;   in Loop: Header=BB5_3 Depth=1
	s_wait_dscnt 0x0
	v_lshrrev_b32_e32 v0, 11, v0
	s_mov_b32 s60, exec_lo
	s_delay_alu instid0(VALU_DEP_1) | instskip(SKIP_1) | instid1(VALU_DEP_1)
	v_and_b32_e32 v1, 0x1fe0, v0
	s_wait_xcnt 0x0
	v_cmpx_lt_u32_e64 v41, v1
	s_cbranch_execz .LBB5_2
; %bb.7:                                ;   in Loop: Header=BB5_3 Depth=1
	s_mov_b64 s[0:1], src_shared_base
	v_dual_mov_b32 v31, v40 :: v_dual_mov_b32 v0, v41
	v_mov_b32_e32 v3, s1
	s_mov_b64 s[8:9], s[46:47]
	s_mov_b32 s12, s56
	s_swap_pc_i64 s[30:31], s[58:59]
	s_branch .LBB5_2
.LBB5_8:
	s_clause 0x2
	scratch_load_b32 v127, off, s33
	scratch_load_b32 v41, off, s33 offset:4
	scratch_load_b32 v40, off, s33 offset:8
	v_readlane_b32 s30, v42, 0
	v_readlane_b32 s31, v42, 1
	s_mov_b32 s32, s33
	s_wait_xcnt 0x0
	s_or_saveexec_b32 s0, -1
	scratch_load_b32 v42, off, s33 offset:12 ; 4-byte Folded Reload
	s_wait_xcnt 0x0
	s_mov_b32 exec_lo, s0
	s_mov_b32 s33, s61
	s_wait_loadcnt 0x0
	s_set_pc_i64 s[30:31]
.Lfunc_end5:
	.size	_Z48ncclDevFunc_Reduce_RING_SIMPLE_Prod_f8e5m2_0_0_2v, .Lfunc_end5-_Z48ncclDevFunc_Reduce_RING_SIMPLE_Prod_f8e5m2_0_0_2v
                                        ; -- End function
	.set .L_Z48ncclDevFunc_Reduce_RING_SIMPLE_Prod_f8e5m2_0_0_2v.num_vgpr, max(128, .L_ZN12_GLOBAL__N_17runRingI14__hip_fp8_e5m28FuncProdIS1_E11ProtoSimpleILi1ELi1ELi0ELi2ELi0ELi0EELi0ELi2ELi0EEEviiP15ncclDevWorkColl.num_vgpr)
	.set .L_Z48ncclDevFunc_Reduce_RING_SIMPLE_Prod_f8e5m2_0_0_2v.num_agpr, max(0, .L_ZN12_GLOBAL__N_17runRingI14__hip_fp8_e5m28FuncProdIS1_E11ProtoSimpleILi1ELi1ELi0ELi2ELi0ELi0EELi0ELi2ELi0EEEviiP15ncclDevWorkColl.num_agpr)
	.set .L_Z48ncclDevFunc_Reduce_RING_SIMPLE_Prod_f8e5m2_0_0_2v.numbered_sgpr, max(62, .L_ZN12_GLOBAL__N_17runRingI14__hip_fp8_e5m28FuncProdIS1_E11ProtoSimpleILi1ELi1ELi0ELi2ELi0ELi0EELi0ELi2ELi0EEEviiP15ncclDevWorkColl.numbered_sgpr)
	.set .L_Z48ncclDevFunc_Reduce_RING_SIMPLE_Prod_f8e5m2_0_0_2v.num_named_barrier, max(0, .L_ZN12_GLOBAL__N_17runRingI14__hip_fp8_e5m28FuncProdIS1_E11ProtoSimpleILi1ELi1ELi0ELi2ELi0ELi0EELi0ELi2ELi0EEEviiP15ncclDevWorkColl.num_named_barrier)
	.set .L_Z48ncclDevFunc_Reduce_RING_SIMPLE_Prod_f8e5m2_0_0_2v.private_seg_size, 32+max(.L_ZN12_GLOBAL__N_17runRingI14__hip_fp8_e5m28FuncProdIS1_E11ProtoSimpleILi1ELi1ELi0ELi2ELi0ELi0EELi0ELi2ELi0EEEviiP15ncclDevWorkColl.private_seg_size)
	.set .L_Z48ncclDevFunc_Reduce_RING_SIMPLE_Prod_f8e5m2_0_0_2v.uses_vcc, or(1, .L_ZN12_GLOBAL__N_17runRingI14__hip_fp8_e5m28FuncProdIS1_E11ProtoSimpleILi1ELi1ELi0ELi2ELi0ELi0EELi0ELi2ELi0EEEviiP15ncclDevWorkColl.uses_vcc)
	.set .L_Z48ncclDevFunc_Reduce_RING_SIMPLE_Prod_f8e5m2_0_0_2v.uses_flat_scratch, or(1, .L_ZN12_GLOBAL__N_17runRingI14__hip_fp8_e5m28FuncProdIS1_E11ProtoSimpleILi1ELi1ELi0ELi2ELi0ELi0EELi0ELi2ELi0EEEviiP15ncclDevWorkColl.uses_flat_scratch)
	.set .L_Z48ncclDevFunc_Reduce_RING_SIMPLE_Prod_f8e5m2_0_0_2v.has_dyn_sized_stack, or(0, .L_ZN12_GLOBAL__N_17runRingI14__hip_fp8_e5m28FuncProdIS1_E11ProtoSimpleILi1ELi1ELi0ELi2ELi0ELi0EELi0ELi2ELi0EEEviiP15ncclDevWorkColl.has_dyn_sized_stack)
	.set .L_Z48ncclDevFunc_Reduce_RING_SIMPLE_Prod_f8e5m2_0_0_2v.has_recursion, or(1, .L_ZN12_GLOBAL__N_17runRingI14__hip_fp8_e5m28FuncProdIS1_E11ProtoSimpleILi1ELi1ELi0ELi2ELi0ELi0EELi0ELi2ELi0EEEviiP15ncclDevWorkColl.has_recursion)
	.set .L_Z48ncclDevFunc_Reduce_RING_SIMPLE_Prod_f8e5m2_0_0_2v.has_indirect_call, or(0, .L_ZN12_GLOBAL__N_17runRingI14__hip_fp8_e5m28FuncProdIS1_E11ProtoSimpleILi1ELi1ELi0ELi2ELi0ELi0EELi0ELi2ELi0EEEviiP15ncclDevWorkColl.has_indirect_call)
	.section	.AMDGPU.csdata,"",@progbits
; Function info:
; codeLenInByte = 464
; TotalNumSgprs: 64
; NumVgprs: 128
; ScratchSize: 320
; MemoryBound: 0
	.text
	.p2align	2                               ; -- Begin function _ZN12_GLOBAL__N_17runRingI14__hip_fp8_e5m28FuncProdIS1_E11ProtoSimpleILi1ELi1ELi0ELi4ELi0ELi0EELi0ELi4ELi0EEEviiP15ncclDevWorkColl
	.type	_ZN12_GLOBAL__N_17runRingI14__hip_fp8_e5m28FuncProdIS1_E11ProtoSimpleILi1ELi1ELi0ELi4ELi0ELi0EELi0ELi4ELi0EEEviiP15ncclDevWorkColl,@function
_ZN12_GLOBAL__N_17runRingI14__hip_fp8_e5m28FuncProdIS1_E11ProtoSimpleILi1ELi1ELi0ELi4ELi0ELi0EELi0ELi4ELi0EEEviiP15ncclDevWorkColl: ; @_ZN12_GLOBAL__N_17runRingI14__hip_fp8_e5m28FuncProdIS1_E11ProtoSimpleILi1ELi1ELi0ELi4ELi0ELi0EELi0ELi4ELi0EEEviiP15ncclDevWorkColl
; %bb.0:
	s_wait_loadcnt_dscnt 0x0
	s_wait_kmcnt 0x0
	s_mov_b32 s45, s33
	s_mov_b32 s33, s32
	s_or_saveexec_b32 s0, -1
	scratch_store_b32 off, v127, s33 offset:476 ; 4-byte Folded Spill
	s_wait_xcnt 0x0
	s_mov_b32 exec_lo, s0
	s_addk_co_i32 s32, 0x1f0
	s_clause 0x2e
	scratch_store_b32 off, v40, s33 offset:184
	; meta instruction
	scratch_store_b32 off, v41, s33 offset:180
	; meta instruction
	scratch_store_b32 off, v42, s33 offset:176
	; meta instruction
	scratch_store_b32 off, v43, s33 offset:172
	; meta instruction
	scratch_store_b32 off, v44, s33 offset:168
	; meta instruction
	scratch_store_b32 off, v45, s33 offset:164
	; meta instruction
	scratch_store_b32 off, v46, s33 offset:160
	; meta instruction
	scratch_store_b32 off, v47, s33 offset:156
	; meta instruction
	scratch_store_b32 off, v56, s33 offset:152
	; meta instruction
	scratch_store_b32 off, v57, s33 offset:148
	; meta instruction
	scratch_store_b32 off, v58, s33 offset:144
	; meta instruction
	scratch_store_b32 off, v59, s33 offset:140
	; meta instruction
	scratch_store_b32 off, v60, s33 offset:136
	; meta instruction
	scratch_store_b32 off, v61, s33 offset:132
	; meta instruction
	scratch_store_b32 off, v62, s33 offset:128
	; meta instruction
	scratch_store_b32 off, v63, s33 offset:124
	; meta instruction
	scratch_store_b32 off, v72, s33 offset:120
	; meta instruction
	scratch_store_b32 off, v73, s33 offset:116
	; meta instruction
	scratch_store_b32 off, v74, s33 offset:112
	; meta instruction
	scratch_store_b32 off, v75, s33 offset:108
	; meta instruction
	scratch_store_b32 off, v76, s33 offset:104
	; meta instruction
	scratch_store_b32 off, v77, s33 offset:100
	; meta instruction
	scratch_store_b32 off, v78, s33 offset:96
	; meta instruction
	scratch_store_b32 off, v79, s33 offset:92
	; meta instruction
	scratch_store_b32 off, v88, s33 offset:88
	; meta instruction
	scratch_store_b32 off, v89, s33 offset:84
	; meta instruction
	scratch_store_b32 off, v90, s33 offset:80
	; meta instruction
	scratch_store_b32 off, v91, s33 offset:76
	; meta instruction
	scratch_store_b32 off, v92, s33 offset:72
	; meta instruction
	scratch_store_b32 off, v93, s33 offset:68
	; meta instruction
	scratch_store_b32 off, v94, s33 offset:64
	; meta instruction
	scratch_store_b32 off, v95, s33 offset:60
	; meta instruction
	scratch_store_b32 off, v104, s33 offset:56
	; meta instruction
	scratch_store_b32 off, v105, s33 offset:52
	; meta instruction
	scratch_store_b32 off, v106, s33 offset:48
	; meta instruction
	scratch_store_b32 off, v107, s33 offset:44
	; meta instruction
	scratch_store_b32 off, v108, s33 offset:40
	; meta instruction
	scratch_store_b32 off, v109, s33 offset:36
	; meta instruction
	scratch_store_b32 off, v110, s33 offset:32
	; meta instruction
	scratch_store_b32 off, v111, s33 offset:28
	; meta instruction
	scratch_store_b32 off, v120, s33 offset:24
	; meta instruction
	scratch_store_b32 off, v121, s33 offset:20
	; meta instruction
	scratch_store_b32 off, v122, s33 offset:16
	; meta instruction
	scratch_store_b32 off, v123, s33 offset:12
	; meta instruction
	scratch_store_b32 off, v124, s33 offset:8
	; meta instruction
	scratch_store_b32 off, v125, s33 offset:4
	; meta instruction
	scratch_store_b32 off, v126, s33
	v_writelane_b32 v127, s30, 0
	v_writelane_b32 v127, s31, 1
	s_wait_xcnt 0x25
	v_dual_mov_b32 v57, v31 :: v_dual_mov_b32 v56, v1
	s_trap 2
	flat_load_b64 v[8:9], v[2:3]
	s_wait_xcnt 0x25
	v_mov_b32_e32 v58, v0
	ds_load_b64 v[0:1], v0
                                        ; implicit-def: $vgpr6_vgpr7
                                        ; implicit-def: $vgpr112_vgpr113
                                        ; implicit-def: $vgpr100_vgpr101
	s_wait_dscnt 0x0
	v_readfirstlane_b32 s0, v0
	v_readfirstlane_b32 s1, v1
	ds_load_b32 v10, v0
	flat_load_u16 v5, v[2:3] offset:8
	flat_load_b32 v15, v1, s[0:1] offset:-4 scale_offset
	s_wait_xcnt 0x0
	s_mov_b32 s0, exec_lo
	s_wait_loadcnt 0x2
	v_and_b32_e32 v1, 0xff, v8
	v_mov_b32_e32 v4, v9
	s_wait_dscnt 0x2
	s_delay_alu instid0(VALU_DEP_2)
	v_cmpx_ne_u32_e64 v10, v1
	s_xor_b32 s0, exec_lo, s0
	s_cbranch_execz .LBB6_6
; %bb.1:
	v_bfe_u32 v8, v8, 8, 8
	v_not_b32_e32 v1, v1
	s_mov_b32 s1, exec_lo
                                        ; implicit-def: $vgpr6_vgpr7
                                        ; implicit-def: $vgpr112_vgpr113
                                        ; implicit-def: $vgpr100_vgpr101
	s_delay_alu instid0(VALU_DEP_2)
	v_cmpx_ne_u32_e64 v10, v8
	s_xor_b32 s1, exec_lo, s1
	s_cbranch_execz .LBB6_3
; %bb.2:
	s_clause 0x1
	flat_load_b128 v[6:9], v[2:3] offset:72
	flat_load_b64 v[12:13], v[2:3] offset:96
	v_add_nc_u32_e32 v1, v10, v1
	s_wait_loadcnt_dscnt 0x101
	s_delay_alu instid0(VALU_DEP_1) | instskip(SKIP_1) | instid1(VALU_DEP_2)
	v_mad_nc_u64_u32 v[100:101], v8, v1, v[6:7]
	v_mov_b64_e32 v[112:113], v[8:9]
	v_mad_u32 v6, v9, v1, v101
	v_ashrrev_i32_e32 v1, 31, v1
	s_delay_alu instid0(VALU_DEP_1)
	v_mad_u32 v101, v8, v1, v6
	s_wait_loadcnt_dscnt 0x0
	v_lshrrev_b64 v[6:7], 12, v[12:13]
                                        ; implicit-def: $vgpr8
                                        ; implicit-def: $vgpr1
.LBB6_3:
	s_wait_xcnt 0x0
	s_and_not1_saveexec_b32 s1, s1
	s_cbranch_execz .LBB6_5
; %bb.4:
	s_clause 0x1
	flat_load_b128 v[10:13], v[2:3] offset:72
	flat_load_b128 v[112:115], v[2:3] offset:88
	v_add_nc_u32_e32 v1, v8, v1
	s_wait_loadcnt_dscnt 0x101
	s_delay_alu instid0(VALU_DEP_1) | instskip(NEXT) | instid1(VALU_DEP_1)
	v_mad_nc_u64_u32 v[100:101], v12, v1, v[10:11]
	v_mad_u32 v6, v13, v1, v101
	v_ashrrev_i32_e32 v1, 31, v1
	s_delay_alu instid0(VALU_DEP_1)
	v_mad_u32 v101, v12, v1, v6
	s_wait_loadcnt_dscnt 0x0
	v_lshrrev_b32_e32 v6, 1, v115
.LBB6_5:
	s_wait_xcnt 0x0
	s_or_b32 exec_lo, exec_lo, s1
.LBB6_6:
	s_and_not1_saveexec_b32 s0, s0
	s_cbranch_execz .LBB6_8
; %bb.7:
	s_clause 0x1
	flat_load_b64 v[6:7], v[2:3] offset:96
	flat_load_b64 v[112:113], v[2:3] offset:72
	v_mov_b64_e32 v[100:101], 0
	s_wait_loadcnt_dscnt 0x101
	v_lshlrev_b64_e32 v[6:7], 9, v[6:7]
.LBB6_8:
	s_wait_xcnt 0x0
	s_or_b32 exec_lo, exec_lo, s0
	s_trap 2
	ds_load_b64 v[8:9], v0
	s_mov_b32 s1, 0
	s_mov_b32 s2, exec_lo
	s_wait_dscnt 0x0
	v_cmp_ne_u32_e32 vcc_lo, -1, v8
	v_cndmask_b32_e64 v14, 0, 1, vcc_lo
	v_cmp_ne_u32_e32 vcc_lo, -1, v9
	s_delay_alu instid0(VALU_DEP_2) | instskip(NEXT) | instid1(VALU_DEP_1)
	v_add_co_ci_u32_e64 v7, null, 0, v14, vcc_lo
	v_lshlrev_b32_e32 v1, 1, v7
	s_delay_alu instid0(VALU_DEP_1)
	v_cmpx_le_u32_e64 v1, v56
	s_xor_b32 s14, exec_lo, s2
	s_cbranch_execnz .LBB6_9
; %bb.9792:
	s_add_pc_i64 .LBB6_9783-.Lpost_addpc5
.Lpost_addpc5:
.LBB6_9:
	s_clause 0x1
	flat_load_b128 v[10:13], v[2:3] offset:16
	flat_load_b64 v[8:9], v[2:3] offset:104
	s_trap 2
	s_load_b32 s0, s[8:9], 0x0
	s_bfe_u32 s2, ttmp6, 0x4000c
	s_and_b32 s3, ttmp6, 15
	s_add_co_i32 s2, s2, 1
	s_getreg_b32 s4, hwreg(HW_REG_IB_STS2, 6, 4)
	s_mul_i32 s2, ttmp9, s2
	v_dual_mov_b32 v1, 0 :: v_dual_mov_b32 v59, 4
	s_add_co_i32 s3, s3, s2
	s_cmp_eq_u32 s4, 0
	ds_load_b32 v2, v0
	s_cselect_b32 s2, ttmp9, s3
	s_wait_kmcnt 0x0
	s_cmp_lt_u32 s2, s0
	s_cselect_b32 s0, 12, 18
	s_delay_alu instid0(SALU_CYCLE_1)
	s_add_nc_u64 s[0:1], s[8:9], s[0:1]
	global_load_u16 v1, v1, s[0:1]
	s_wait_xcnt 0x0
	s_mov_b32 s1, exec_lo
	s_wait_dscnt 0x0
	v_readfirstlane_b32 s15, v2
	v_cmpx_ge_i32_e64 v58, v14
	s_cbranch_execz .LBB6_19
; %bb.10:
	v_cmp_ge_u32_e64 s0, v58, v7
                                        ; implicit-def: $vgpr59
	s_and_saveexec_b32 s2, s0
	s_delay_alu instid0(SALU_CYCLE_1)
	s_xor_b32 s0, exec_lo, s2
	s_cbranch_execz .LBB6_16
; %bb.11:
	v_cndmask_b32_e64 v2, 0, 1, vcc_lo
	s_mov_b32 s2, exec_lo
	s_delay_alu instid0(VALU_DEP_1) | instskip(NEXT) | instid1(VALU_DEP_1)
	v_sub_nc_u32_e32 v2, v56, v2
	v_cmpx_ge_u32_e64 v58, v2
	s_xor_b32 s2, exec_lo, s2
; %bb.12:
                                        ; implicit-def: $vgpr7
; %bb.13:
	s_delay_alu instid0(SALU_CYCLE_1)
	s_or_saveexec_b32 s2, s2
	v_mov_b32_e32 v59, 16
	s_xor_b32 exec_lo, exec_lo, s2
; %bb.14:
	v_sub_nc_u32_e32 v2, v56, v7
	s_delay_alu instid0(VALU_DEP_1)
	v_cmp_lt_i32_e32 vcc_lo, v58, v2
	v_cndmask_b32_e64 v59, 32, 0, vcc_lo
; %bb.15:
	s_or_b32 exec_lo, exec_lo, s2
.LBB6_16:
	s_and_not1_saveexec_b32 s0, s0
; %bb.17:
	v_mov_b32_e32 v59, 8
; %bb.18:
	s_or_b32 exec_lo, exec_lo, s0
.LBB6_19:
	s_delay_alu instid0(SALU_CYCLE_1) | instskip(NEXT) | instid1(VALU_DEP_1)
	s_or_b32 exec_lo, exec_lo, s1
	v_dual_mov_b32 v7, -1 :: v_dual_bitop2_b32 v2, 36, v59 bitop3:0x40
	s_delay_alu instid0(VALU_DEP_1)
	v_cmp_ne_u32_e32 vcc_lo, 0, v2
	s_and_saveexec_b32 s0, vcc_lo
	s_cbranch_execz .LBB6_21
; %bb.20:
	s_trap 2
	ds_load_b32 v7, v0
.LBB6_21:
	s_or_b32 exec_lo, exec_lo, s0
	v_and_b32_e32 v2, 24, v59
	s_mov_b32 s1, exec_lo
	s_delay_alu instid0(VALU_DEP_1)
	v_cmpx_ne_u32_e32 0, v2
	s_cbranch_execz .LBB6_23
; %bb.22:
	s_trap 2
	s_wait_dscnt 0x0
	ds_load_b32 v7, v0
.LBB6_23:
	s_or_b32 exec_lo, exec_lo, s1
	s_wait_loadcnt 0x4
	v_lshrrev_b64 v[2:3], 31, v[4:5]
	v_mov_b64_e32 v[72:73], 0
	v_mov_b64_e32 v[60:61], 0
                                        ; implicit-def: $vgpr116
                                        ; implicit-def: $vgpr76_vgpr77
                                        ; implicit-def: $vgpr46_vgpr47
                                        ; implicit-def: $vgpr102_vgpr103
	s_delay_alu instid0(VALU_DEP_3) | instskip(NEXT) | instid1(VALU_DEP_1)
	v_and_b32_e32 v2, 3, v2
	v_and_b32_e32 v5, 0xffff, v2
                                        ; implicit-def: $vgpr2_vgpr3
                                        ; kill: killed $vgpr2_vgpr3
	s_and_saveexec_b32 s0, vcc_lo
	s_cbranch_execz .LBB6_33
; %bb.24:
	s_trap 2
	ds_load_b64 v[2:3], v0
	s_wait_dscnt 0x0
	v_readfirstlane_b32 s2, v2
	v_readfirstlane_b32 s3, v3
	flat_load_b64 v[2:3], v7, s[2:3] scale_offset
	s_wait_loadcnt_dscnt 0x0
	v_mad_nc_u64_u32 v[2:3], 0xa8, v5, v[2:3]
	flat_load_b32 v16, v[2:3] offset:640
	s_wait_loadcnt_dscnt 0x0
	v_cmp_eq_u32_e32 vcc_lo, 1, v16
                                        ; implicit-def: $vgpr16_vgpr17
                                        ; kill: killed $vgpr16_vgpr17
	s_wait_xcnt 0x0
	s_and_saveexec_b32 s1, vcc_lo
	s_cbranch_execz .LBB6_26
; %bb.25:
	flat_load_b64 v[18:19], v[2:3] offset:648
	v_or_b32_e32 v59, 0x2000, v59
	s_wait_loadcnt_dscnt 0x0
	flat_load_b64 v[16:17], v[18:19]
	s_trap 2
	scratch_store_b64 off, v[18:19], s33 offset:368 ; 8-byte Folded Spill
	s_wait_loadcnt_dscnt 0x0
	ds_store_b64 v0, v[16:17]
	flat_load_b64 v[16:17], v[18:19] offset:8
	s_wait_loadcnt_dscnt 0x0
	ds_store_b64 v0, v[16:17]
	flat_load_b64 v[16:17], v[18:19] offset:16
	s_wait_loadcnt_dscnt 0x0
	ds_store_b64 v0, v[16:17]
.LBB6_26:
	s_wait_xcnt 0x0
	s_or_b32 exec_lo, exec_lo, s1
	flat_load_b64 v[62:63], v[2:3] offset:608
	v_and_b32_e32 v16, 32, v59
	s_mov_b32 s1, exec_lo
                                        ; implicit-def: $vgpr102_vgpr103
	s_wait_xcnt 0x0
	s_delay_alu instid0(VALU_DEP_1)
	v_cmpx_ne_u32_e32 0, v16
	s_cbranch_execz .LBB6_28
; %bb.27:
	flat_load_b64 v[102:103], v[2:3] offset:560
	global_wb scope:SCOPE_SYS
	s_wait_storecnt 0x0
	s_wait_xcnt 0x0
	s_wait_loadcnt_dscnt 0x0
	flat_store_b64 v[102:103], v[62:63] scope:SCOPE_SYS
.LBB6_28:
	s_wait_xcnt 0x0
	s_or_b32 exec_lo, exec_lo, s1
	v_add_nc_u64_e32 v[72:73], 0x1f8, v[2:3]
	v_mov_b64_e32 v[60:61], 0
	v_and_b32_e32 v16, 4, v59
	s_mov_b32 s1, exec_lo
                                        ; implicit-def: $vgpr116
                                        ; implicit-def: $vgpr76_vgpr77
                                        ; implicit-def: $vgpr46_vgpr47
	s_delay_alu instid0(VALU_DEP_1)
	v_cmpx_ne_u32_e32 0, v16
	s_cbranch_execz .LBB6_32
; %bb.29:
	v_and_b32_e32 v16, 0x800, v59
	s_mov_b32 s2, exec_lo
	s_delay_alu instid0(VALU_DEP_1)
	v_cmpx_eq_u32_e32 0, v16
	s_cbranch_execz .LBB6_31
; %bb.30:
	s_trap 2
	ds_store_b64 v0, v[72:73]
.LBB6_31:
	s_or_b32 exec_lo, exec_lo, s2
	flat_load_b64 v[102:103], v[2:3] offset:552
	s_wait_loadcnt_dscnt 0x0
	flat_load_b64 v[76:77], v[102:103] scope:SCOPE_SYS
	s_clause 0x2
	flat_load_b64 v[60:61], v[2:3] offset:600
	flat_load_b32 v116, v[2:3] offset:576
	flat_load_b64 v[46:47], v[2:3] offset:520
	s_wait_xcnt 0x0
	v_or_b32_e32 v2, 0x100, v59
	s_wait_loadcnt_dscnt 0x202
	v_cmp_eq_u64_e32 vcc_lo, 0, v[60:61]
	s_delay_alu instid0(VALU_DEP_2)
	v_cndmask_b32_e32 v59, v2, v59, vcc_lo
.LBB6_32:
	s_or_b32 exec_lo, exec_lo, s1
.LBB6_33:
	s_delay_alu instid0(SALU_CYCLE_1) | instskip(NEXT) | instid1(VALU_DEP_1)
	s_or_b32 exec_lo, exec_lo, s0
	v_and_b32_e32 v2, 24, v59
	s_mov_b32 s0, exec_lo
                                        ; implicit-def: $vgpr88_vgpr89
	s_delay_alu instid0(VALU_DEP_1)
	v_cmpx_ne_u32_e32 0, v2
	s_cbranch_execz .LBB6_41
; %bb.34:
	s_trap 2
	ds_load_b64 v[2:3], v0
	s_mov_b32 s1, exec_lo
                                        ; implicit-def: $vgpr88_vgpr89
	s_wait_dscnt 0x0
	v_readfirstlane_b32 s2, v2
	v_readfirstlane_b32 s3, v3
	flat_load_b64 v[2:3], v7, s[2:3] scale_offset
	s_wait_loadcnt_dscnt 0x0
	v_mad_nc_u64_u32 v[72:73], 0xa8, v5, v[2:3]
	v_or_b32_e32 v2, 0x100, v59
	flat_load_b128 v[60:63], v[72:73] offset:96
	s_wait_loadcnt_dscnt 0x0
	v_cmp_eq_u64_e32 vcc_lo, 0, v[60:61]
	v_cndmask_b32_e32 v59, v2, v59, vcc_lo
	s_delay_alu instid0(VALU_DEP_1) | instskip(SKIP_1) | instid1(VALU_DEP_1)
	v_and_b32_e32 v2, 16, v59
	s_wait_xcnt 0x0
	v_cmpx_ne_u32_e32 0, v2
	s_cbranch_execz .LBB6_36
; %bb.35:
	s_clause 0x2
	flat_load_b64 v[102:103], v[72:73] offset:48
	flat_load_b64 v[88:89], v[72:73] offset:120
	;; [unrolled: 1-line block ×3, first 2 shown]
.LBB6_36:
	s_wait_xcnt 0x0
	s_or_b32 exec_lo, exec_lo, s1
	v_and_b32_e32 v2, 8, v59
	s_mov_b32 s1, exec_lo
	s_delay_alu instid0(VALU_DEP_1)
	v_cmpx_ne_u32_e32 0, v2
	s_cbranch_execz .LBB6_40
; %bb.37:
	v_and_b32_e32 v2, 0x800, v59
	s_mov_b32 s2, exec_lo
	s_delay_alu instid0(VALU_DEP_1)
	v_cmpx_eq_u32_e32 0, v2
	s_cbranch_execz .LBB6_39
; %bb.38:
	s_trap 2
	ds_store_b64 v0, v[72:73]
.LBB6_39:
	s_or_b32 exec_lo, exec_lo, s2
	s_wait_loadcnt_dscnt 0x202
	flat_load_b64 v[102:103], v[72:73] offset:56
	s_wait_loadcnt_dscnt 0x0
	flat_load_b64 v[76:77], v[102:103] scope:SCOPE_SYS
	s_clause 0x1
	flat_load_b32 v116, v[72:73] offset:72
	flat_load_b64 v[46:47], v[72:73] offset:16
.LBB6_40:
	s_wait_xcnt 0x0
	s_or_b32 exec_lo, exec_lo, s1
.LBB6_41:
	s_delay_alu instid0(SALU_CYCLE_1)
	s_or_b32 exec_lo, exec_lo, s0
	v_cmp_eq_u32_e64 s0, 0, v58
	s_and_saveexec_b32 s1, s0
	s_cbranch_execz .LBB6_43
; %bb.42:
	s_wait_loadcnt 0x2
	v_dual_mov_b32 v2, v12 :: v_dual_mov_b32 v3, v13
	v_mov_b64_e32 v[12:13], 0
	ds_store_2addr_b64 v0, v[2:3], v[10:11] offset1:1
	s_trap 2
	ds_store_b64 v0, v[12:13]
	s_wait_loadcnt 0x1
	ds_store_b64 v0, v[8:9]
.LBB6_43:
	s_or_b32 exec_lo, exec_lo, s1
	v_bfe_u32 v2, v4, 1, 30
	v_and_b32_e32 v114, 0x3ffffe00, v6
	v_mov_b32_e32 v115, 0
	s_wait_loadcnt 0x0
	v_and_b32_e32 v74, 0xffff, v1
                                        ; implicit-def: $vgpr78_vgpr79
	s_mov_b32 s1, exec_lo
	v_cmpx_ne_u32_e64 v15, v2
	s_xor_b32 s16, exec_lo, s1
	s_cbranch_execnz .LBB6_44
; %bb.9794:
	s_add_pc_i64 .LBB6_9575-.Lpost_addpc6
.Lpost_addpc6:
.LBB6_44:
                                        ; implicit-def: $vgpr78_vgpr79
	s_mov_b32 s1, exec_lo
	v_cmpx_ne_u32_e64 v0, v2
	s_xor_b32 s17, exec_lo, s1
	s_cbranch_execnz .LBB6_45
; %bb.9796:
	s_add_pc_i64 .LBB6_4816-.Lpost_addpc7
.Lpost_addpc7:
.LBB6_45:
	v_mov_b64_e32 v[78:79], 0
	s_mov_b32 s18, exec_lo
	v_cmpx_ne_u64_e32 0, v[112:113]
	s_cbranch_execnz .LBB6_46
; %bb.9798:
	s_add_pc_i64 .LBB6_4815-.Lpost_addpc8
.Lpost_addpc8:
.LBB6_46:
	s_wait_dscnt 0x1
	v_dual_ashrrev_i32 v0, 31, v58 :: v_dual_ashrrev_i32 v117, 31, v116
	s_ashr_i32 s4, s15, 31
	v_cmp_eq_u32_e32 vcc_lo, 32, v56
	s_lshr_b32 s4, s4, 24
	s_delay_alu instid0(VALU_DEP_2) | instskip(SKIP_3) | instid1(VALU_DEP_3)
	v_dual_lshrrev_b32 v0, 27, v0 :: v_dual_bitop2_b32 v1, 31, v57 bitop3:0x40
	s_add_co_i32 s10, s15, s4
	v_cmp_eq_u64_e64 s7, 0, v[88:89]
	v_mov_b64_e32 v[106:107], 0
	v_dual_mov_b32 v5, 0 :: v_dual_add_nc_u32 v0, v58, v0
	v_lshrrev_b32_e32 v6, 5, v56
	v_cmp_eq_u32_e64 s4, 0, v1
	v_mov_b64_e32 v[78:79], 0
	s_delay_alu instid0(VALU_DEP_4) | instskip(SKIP_4) | instid1(VALU_DEP_3)
	v_and_b32_e32 v2, 0xffffffe0, v0
	s_wait_dscnt 0x0
	v_dual_ashrrev_i32 v75, 5, v0 :: v_dual_mov_b32 v7, v5
	v_mov_b32_e32 v95, v5
	v_cmp_ge_i32_e64 s1, v58, v56
	v_dual_sub_nc_u32 v1, v58, v2 :: v_dual_lshlrev_b32 v0, 11, v75
	v_dual_lshlrev_b32 v92, 11, v6 :: v_dual_lshlrev_b32 v2, 10, v6
	v_cmp_ne_u32_e64 s2, 32, v56
	v_cmp_ne_u32_e64 s3, v56, v74
	s_delay_alu instid0(VALU_DEP_4)
	v_lshl_add_u32 v0, v1, 4, v0
	v_mov_b32_e32 v3, v5
	v_and_b32_e32 v90, 0x1fe0, v56
	v_dual_mov_b32 v93, v5 :: v_dual_lshlrev_b32 v94, 9, v6
	s_clause 0x2
	scratch_store_b64 off, v[6:7], s33 offset:236
	scratch_store_b64 off, v[2:3], s33 offset:244
	scratch_store_b32 off, v1, s33 offset:460
	v_cmp_le_i32_e64 s5, v1, v14
	v_cmp_lt_i32_e64 s6, v1, v14
	s_wait_xcnt 0x0
	v_dual_ashrrev_i32 v1, 31, v0 :: v_dual_mov_b32 v91, v5
	v_dual_mov_b32 v104, 1 :: v_dual_mov_b32 v105, 0x90
	v_mov_b32_e32 v109, 0x7f800000
	v_mov_b32_e32 v108, 0x7c
	s_mov_b64 s[12:13], 0xffffffffffffff
	s_ashr_i32 s20, s10, 8
	s_mov_b32 s19, 0
	s_xor_b32 s21, vcc_lo, -1
	scratch_store_b64 off, v[0:1], s33 offset:468 ; 8-byte Folded Spill
	s_trap 2
	s_clause 0xf
	scratch_store_b32 off, v58, s33 offset:340
	scratch_store_b64 off, v[100:101], s33 offset:308
	scratch_store_b64 off, v[102:103], s33 offset:316
	;; [unrolled: 1-line block ×4, first 2 shown]
	scratch_store_b32 off, v56, s33 offset:348
	scratch_store_b32 off, v57, s33 offset:352
	scratch_store_b128 off, v[112:115], s33 offset:284
	scratch_store_b64 off, v[72:73], s33 offset:356
	scratch_store_b32 off, v74, s33 offset:364
	scratch_store_b64 off, v[114:115], s33 offset:300
	scratch_store_b64 off, v[88:89], s33 offset:420
	scratch_store_b64 off, v[90:91], s33 offset:428
	scratch_store_b32 off, v75, s33 offset:436
	scratch_store_b64 off, v[92:93], s33 offset:444
	scratch_store_b64 off, v[94:95], s33 offset:452
	s_branch .LBB6_49
.LBB6_47:                               ;   in Loop: Header=BB6_49 Depth=1
	s_wait_xcnt 0x0
	s_or_b32 exec_lo, exec_lo, s10
.LBB6_48:                               ;   in Loop: Header=BB6_49 Depth=1
	s_delay_alu instid0(SALU_CYCLE_1) | instskip(SKIP_2) | instid1(VALU_DEP_1)
	s_or_b32 exec_lo, exec_lo, s11
	s_wait_loadcnt 0x0
	v_add_nc_u64_e32 v[106:107], v[106:107], v[114:115]
	v_cmp_ge_u64_e32 vcc_lo, v[106:107], v[112:113]
	s_or_b32 s19, vcc_lo, s19
	s_delay_alu instid0(SALU_CYCLE_1)
	s_and_not1_b32 exec_lo, exec_lo, s19
	s_cbranch_execnz .LBB6_49
; %bb.9800:
	s_add_pc_i64 .LBB6_4814-.Lpost_addpc9
.Lpost_addpc9:
.LBB6_49:                               ; =>This Loop Header: Depth=1
                                        ;     Child Loop BB6_58 Depth 2
                                        ;     Child Loop BB6_86 Depth 2
	;; [unrolled: 1-line block ×10, first 2 shown]
	s_wait_xcnt 0x10
	v_sub_nc_u64_e32 v[0:1], v[112:113], v[106:107]
	s_delay_alu instid0(VALU_DEP_1) | instskip(NEXT) | instid1(VALU_DEP_1)
	v_min_u64 v[110:111], v[114:115], v[0:1]
	v_add_nc_u32_e32 v0, 15, v110
	s_delay_alu instid0(VALU_DEP_2) | instskip(NEXT) | instid1(VALU_DEP_2)
	v_cmp_eq_u64_e32 vcc_lo, 0, v[110:111]
	v_and_b32_e32 v0, 0x7ffffff0, v0
	s_or_b32 s22, s1, vcc_lo
	s_delay_alu instid0(SALU_CYCLE_1) | instskip(NEXT) | instid1(VALU_DEP_1)
	s_xor_b32 s10, s22, -1
	v_dual_mov_b32 v0, v5 :: v_dual_max_i32 v120, s20, v0
	s_wait_xcnt 0x0
	s_and_saveexec_b32 s23, s10
	s_cbranch_execnz .LBB6_50
; %bb.9802:                             ;   in Loop: Header=BB6_49 Depth=1
	s_add_pc_i64 .LBB6_4762-.Lpost_addpc10
.Lpost_addpc10:
.LBB6_50:                               ;   in Loop: Header=BB6_49 Depth=1
	s_and_saveexec_b32 s10, s0
	s_cbranch_execz .LBB6_52
; %bb.51:                               ;   in Loop: Header=BB6_49 Depth=1
	s_trap 2
	ds_load_b64 v[0:1], v0
	v_mov_b64_e32 v[2:3], 0
	s_wait_dscnt 0x0
	v_add_nc_u64_e32 v[0:1], v[0:1], v[100:101]
	s_delay_alu instid0(VALU_DEP_1)
	v_add_nc_u64_e32 v[0:1], v[0:1], v[106:107]
	ds_store_b64 v0, v[0:1]
	ds_store_b64 v0, v[2:3]
.LBB6_52:                               ;   in Loop: Header=BB6_49 Depth=1
	s_or_b32 exec_lo, exec_lo, s10
	v_and_b32_e32 v0, 12, v59
	v_min_u32_e32 v120, v120, v110
	s_mov_b32 s11, exec_lo
	s_delay_alu instid0(VALU_DEP_2)
	v_cmpx_ne_u32_e32 0, v0
	s_cbranch_execz .LBB6_78
; %bb.53:                               ;   in Loop: Header=BB6_49 Depth=1
	v_dual_mov_b32 v3, v5 :: v_dual_bitop2_b32 v2, 8, v59 bitop3:0x40
	v_add_nc_u64_e32 v[0:1], 1, v[62:63]
	s_mov_b32 s24, exec_lo
	s_delay_alu instid0(VALU_DEP_2) | instskip(NEXT) | instid1(VALU_DEP_1)
	v_add_nc_u64_e32 v[6:7], v[76:77], v[2:3]
	v_cmpx_lt_u64_e64 v[6:7], v[0:1]
	s_cbranch_execz .LBB6_65
; %bb.54:                               ;   in Loop: Header=BB6_49 Depth=1
	v_and_b32_e32 v4, 64, v59
	s_mov_b32 s25, 0
	s_mov_b32 s29, 0
                                        ; implicit-def: $sgpr26
                                        ; implicit-def: $sgpr27
                                        ; implicit-def: $sgpr28
	s_delay_alu instid0(VALU_DEP_1)
	v_cmp_eq_u32_e32 vcc_lo, 0, v4
	s_branch .LBB6_58
.LBB6_55:                               ;   in Loop: Header=BB6_58 Depth=2
	s_wait_loadcnt_dscnt 0x0
	v_add_nc_u64_e32 v[6:7], v[76:77], v[2:3]
	s_or_b32 s42, s42, exec_lo
	s_delay_alu instid0(VALU_DEP_1)
	v_cmp_ge_u64_e64 s10, v[6:7], v[0:1]
	s_or_not1_b32 s41, s10, exec_lo
.LBB6_56:                               ;   in Loop: Header=BB6_58 Depth=2
	s_or_b32 exec_lo, exec_lo, s44
	s_delay_alu instid0(SALU_CYCLE_1)
	s_and_not1_b32 s10, s28, exec_lo
	s_and_b32 s28, s42, exec_lo
	s_and_not1_b32 s27, s27, exec_lo
	s_and_b32 s41, s41, exec_lo
	s_or_b32 s28, s10, s28
	s_or_b32 s27, s27, s41
.LBB6_57:                               ;   in Loop: Header=BB6_58 Depth=2
	s_or_b32 exec_lo, exec_lo, s40
	s_delay_alu instid0(SALU_CYCLE_1) | instskip(NEXT) | instid1(SALU_CYCLE_1)
	s_and_b32 s10, exec_lo, s27
	s_or_b32 s25, s10, s25
	s_and_not1_b32 s10, s26, exec_lo
	s_and_b32 s26, s28, exec_lo
	s_delay_alu instid0(SALU_CYCLE_1)
	s_or_b32 s26, s10, s26
	s_and_not1_b32 exec_lo, exec_lo, s25
	s_cbranch_execz .LBB6_62
.LBB6_58:                               ;   Parent Loop BB6_49 Depth=1
                                        ; =>  This Inner Loop Header: Depth=2
	s_sleep 1
	s_wait_loadcnt_dscnt 0x0
	flat_load_b64 v[76:77], v[102:103] scope:SCOPE_SYS
	s_or_b32 s28, s28, exec_lo
	s_or_b32 s27, s27, exec_lo
                                        ; implicit-def: $vgpr4
	s_wait_xcnt 0x0
	s_and_saveexec_b32 s40, vcc_lo
	s_cbranch_execz .LBB6_57
; %bb.59:                               ;   in Loop: Header=BB6_58 Depth=2
	s_cmp_lt_i32 s29, 0x270f
	s_mov_b32 s41, -1
	s_cselect_b32 s43, -1, 0
	s_cmp_gt_i32 s29, 0x270e
	s_cbranch_scc0 .LBB6_61
; %bb.60:                               ;   in Loop: Header=BB6_58 Depth=2
	s_trap 2
	ds_load_b64 v[6:7], v0
	s_and_not1_b32 s29, s43, exec_lo
	s_mov_b32 s42, 0
	s_wait_storecnt 0x0
	s_wait_loadcnt_dscnt 0x0
	flat_load_b32 v4, v[6:7] scope:SCOPE_SYS
	s_wait_loadcnt_dscnt 0x0
	global_inv scope:SCOPE_SYS
	v_cmp_eq_u32_e64 s10, 0, v4
	s_and_b32 s10, s10, exec_lo
	s_delay_alu instid0(SALU_CYCLE_1)
	s_or_b32 s43, s29, s10
	s_mov_b32 s29, 0
	s_wait_xcnt 0x0
	s_and_saveexec_b32 s44, s43
	s_cbranch_execz .LBB6_56
	s_branch .LBB6_55
.LBB6_61:                               ;   in Loop: Header=BB6_58 Depth=2
	s_add_co_i32 s29, s29, 1
	s_mov_b32 s42, -1
                                        ; implicit-def: $vgpr4
	s_and_saveexec_b32 s44, s43
	s_cbranch_execz .LBB6_56
	s_branch .LBB6_55
.LBB6_62:                               ;   in Loop: Header=BB6_49 Depth=1
	s_or_b32 exec_lo, exec_lo, s25
	s_xor_b32 s10, s26, -1
	s_delay_alu instid0(SALU_CYCLE_1) | instskip(NEXT) | instid1(SALU_CYCLE_1)
	s_and_saveexec_b32 s25, s10
	s_xor_b32 s10, exec_lo, s25
	s_cbranch_execz .LBB6_64
; %bb.63:                               ;   in Loop: Header=BB6_49 Depth=1
	v_or_b32_e32 v59, 64, v59
	s_wait_storecnt 0x0
	s_wait_loadcnt_dscnt 0x0
	ds_store_b32 v0, v4
	s_trap 2
.LBB6_64:                               ;   in Loop: Header=BB6_49 Depth=1
	s_or_b32 exec_lo, exec_lo, s10
.LBB6_65:                               ;   in Loop: Header=BB6_49 Depth=1
	s_delay_alu instid0(SALU_CYCLE_1) | instskip(SKIP_4) | instid1(VALU_DEP_2)
	s_or_b32 exec_lo, exec_lo, s24
	v_and_b32_e32 v3, 0x108, v59
	v_and_b32_e32 v6, 7, v62
	s_mov_b32 s10, exec_lo
	;;#ASMSTART
	s_wakeup
	;;#ASMEND
	v_cmpx_ne_u32_e32 0x108, v3
	s_xor_b32 s10, exec_lo, s10
; %bb.66:                               ;   in Loop: Header=BB6_49 Depth=1
	v_mov_b32_e32 v7, v5
; %bb.67:                               ;   in Loop: Header=BB6_49 Depth=1
	s_and_not1_saveexec_b32 s10, s10
	s_cbranch_execz .LBB6_69
; %bb.68:                               ;   in Loop: Header=BB6_49 Depth=1
	v_mad_nc_u64_u32 v[8:9], v6, 24, v[60:61]
	v_dual_mov_b32 v121, v5 :: v_dual_mov_b32 v7, v5
	flat_store_b64 v[8:9], v[120:121] offset:8
.LBB6_69:                               ;   in Loop: Header=BB6_49 Depth=1
	s_wait_xcnt 0x0
	s_or_b32 exec_lo, exec_lo, s10
	v_and_b32_e32 v3, 0x100, v59
	s_mov_b32 s10, -1
	s_mov_b32 s24, exec_lo
                                        ; implicit-def: $vgpr8_vgpr9
	s_delay_alu instid0(VALU_DEP_1)
	v_cmpx_ne_u32_e32 0, v3
	s_cbranch_execz .LBB6_73
; %bb.70:                               ;   in Loop: Header=BB6_49 Depth=1
	v_mad_nc_u64_u32 v[10:11], v6, 24, v[60:61]
	s_mov_b32 s25, exec_lo
                                        ; implicit-def: $vgpr8_vgpr9
	s_delay_alu instid0(VALU_DEP_1)
	v_mad_u32 v11, v7, 24, v11
	flat_load_b32 v3, v[10:11]
	s_wait_loadcnt_dscnt 0x0
	v_cmp_ne_u32_e32 vcc_lo, 1, v3
	s_wait_xcnt 0x0
	v_cmpx_eq_u32_e32 1, v3
	s_cbranch_execz .LBB6_72
; %bb.71:                               ;   in Loop: Header=BB6_49 Depth=1
	flat_load_b32 v8, v[10:11] offset:4 scope:SCOPE_SYS
	s_wait_loadcnt_dscnt 0x0
	v_ashrrev_i32_e32 v9, 31, v8
.LBB6_72:                               ;   in Loop: Header=BB6_49 Depth=1
	s_wait_xcnt 0x0
	s_or_b32 exec_lo, exec_lo, s25
	s_delay_alu instid0(SALU_CYCLE_1)
	s_or_not1_b32 s10, vcc_lo, exec_lo
.LBB6_73:                               ;   in Loop: Header=BB6_49 Depth=1
	s_or_b32 exec_lo, exec_lo, s24
	s_and_saveexec_b32 s24, s10
; %bb.74:                               ;   in Loop: Header=BB6_49 Depth=1
	v_mul_u64_e32 v[8:9], v[6:7], v[116:117]
; %bb.75:                               ;   in Loop: Header=BB6_49 Depth=1
	s_or_b32 exec_lo, exec_lo, s24
	v_cmp_eq_u32_e32 vcc_lo, 0, v2
	s_delay_alu instid0(VALU_DEP_2) | instskip(SKIP_3) | instid1(VALU_DEP_1)
	v_add_nc_u64_e32 v[2:3], v[46:47], v[8:9]
	v_and_b32_e32 v6, 0x2000, v59
	s_mov_b32 s10, exec_lo
	v_cndmask_b32_e32 v4, 0xc8, v105, vcc_lo
	v_add_nc_u32_e32 v4, v0, v4
	ds_store_b64 v4, v[2:3] offset:584
	v_cmpx_ne_u32_e32 0, v6
	s_cbranch_execz .LBB6_77
; %bb.76:                               ;   in Loop: Header=BB6_49 Depth=1
	ds_load_b64 v[2:3], v0 offset:872
	s_wait_dscnt 0x0
	v_add_nc_u64_e32 v[2:3], 1, v[2:3]
	ds_store_b64 v0, v[2:3] offset:872
.LBB6_77:                               ;   in Loop: Header=BB6_49 Depth=1
	s_or_b32 exec_lo, exec_lo, s10
	v_mov_b64_e32 v[62:63], v[0:1]
.LBB6_78:                               ;   in Loop: Header=BB6_49 Depth=1
	s_or_b32 exec_lo, exec_lo, s11
	s_and_saveexec_b32 s10, s2
	s_cbranch_execz .LBB6_97
; %bb.79:                               ;   in Loop: Header=BB6_49 Depth=1
	s_and_saveexec_b32 s11, s3
	s_delay_alu instid0(SALU_CYCLE_1)
	s_xor_b32 s11, exec_lo, s11
	s_cbranch_execz .LBB6_94
; %bb.80:                               ;   in Loop: Header=BB6_49 Depth=1
	s_and_saveexec_b32 s24, s4
	s_cbranch_execz .LBB6_93
; %bb.81:                               ;   in Loop: Header=BB6_49 Depth=1
	s_mov_b32 s26, exec_lo
	s_mov_b32 s25, exec_lo
	v_mbcnt_lo_u32_b32 v0, s26, 0
	global_wb scope:SCOPE_DEV
	s_wait_storecnt 0x0
	s_wait_loadcnt_dscnt 0x0
	global_inv scope:SCOPE_DEV
	v_cmpx_eq_u32_e32 0, v0
	s_cbranch_execz .LBB6_83
; %bb.82:                               ;   in Loop: Header=BB6_49 Depth=1
	s_bcnt1_i32_b32 s26, s26
	s_delay_alu instid0(SALU_CYCLE_1)
	v_dual_mov_b32 v1, v5 :: v_dual_mov_b32 v0, s26
	s_wait_loadcnt 0x0
	ds_add_u64 v0, v[0:1]
	s_trap 2
.LBB6_83:                               ;   in Loop: Header=BB6_49 Depth=1
	s_or_b32 exec_lo, exec_lo, s25
	s_trap 2
	ds_load_b64 v[0:1], v0
	s_wait_dscnt 0x0
	scratch_load_b64 v[2:3], off, s33 offset:236 ; 8-byte Folded Reload
	s_mov_b32 s25, exec_lo
	s_wait_loadcnt 0x0
	v_add_nc_u64_e32 v[78:79], v[78:79], v[2:3]
	s_wait_xcnt 0x0
	s_delay_alu instid0(VALU_DEP_1)
	v_cmpx_lt_u64_e64 v[0:1], v[78:79]
	s_cbranch_execz .LBB6_92
; %bb.84:                               ;   in Loop: Header=BB6_49 Depth=1
	s_mov_b32 s26, 0
	s_mov_b32 s29, 0
                                        ; implicit-def: $sgpr27
                                        ; implicit-def: $sgpr28
	s_branch .LBB6_86
.LBB6_85:                               ;   in Loop: Header=BB6_86 Depth=2
	s_or_b32 exec_lo, exec_lo, s41
	s_delay_alu instid0(SALU_CYCLE_1) | instskip(NEXT) | instid1(SALU_CYCLE_1)
	s_and_b32 s40, exec_lo, s42
	s_or_b32 s26, s40, s26
	s_and_not1_b32 s27, s27, exec_lo
	s_and_b32 s40, s28, exec_lo
	s_delay_alu instid0(SALU_CYCLE_1)
	s_or_b32 s27, s27, s40
	s_and_not1_b32 exec_lo, exec_lo, s26
	s_cbranch_execz .LBB6_90
.LBB6_86:                               ;   Parent Loop BB6_49 Depth=1
                                        ; =>  This Inner Loop Header: Depth=2
	s_add_co_i32 s29, s29, 1
	s_delay_alu instid0(SALU_CYCLE_1) | instskip(SKIP_1) | instid1(SALU_CYCLE_1)
	s_cmp_lg_u32 s29, 0x2710
	s_cselect_b32 s40, -1, 0
	s_and_b32 vcc_lo, exec_lo, s40
	s_cbranch_vccz .LBB6_88
; %bb.87:                               ;   in Loop: Header=BB6_86 Depth=2
	s_mov_b32 s42, -1
	s_or_b32 s28, s28, exec_lo
	s_and_saveexec_b32 s41, s40
	s_cbranch_execz .LBB6_85
	s_branch .LBB6_89
.LBB6_88:                               ;   in Loop: Header=BB6_86 Depth=2
	s_trap 2
	ds_load_b64 v[0:1], v0
	s_and_not1_b32 s40, s40, exec_lo
	s_mov_b32 s29, 0
	s_wait_dscnt 0x0
	flat_load_b32 v0, v[0:1] scope:SCOPE_SYS
	s_wait_loadcnt_dscnt 0x0
	global_inv scope:SCOPE_SYS
	v_cmp_eq_u32_e32 vcc_lo, 0, v0
	s_and_b32 s41, vcc_lo, exec_lo
	s_delay_alu instid0(SALU_CYCLE_1)
	s_or_b32 s40, s40, s41
	s_mov_b32 s42, -1
	s_or_b32 s28, s28, exec_lo
	s_wait_xcnt 0x0
	s_and_saveexec_b32 s41, s40
	s_cbranch_execz .LBB6_85
.LBB6_89:                               ;   in Loop: Header=BB6_86 Depth=2
	s_sleep 1
	s_trap 2
	ds_load_b64 v[0:1], v0
	s_wait_dscnt 0x0
	s_and_not1_b32 s28, s28, exec_lo
	v_cmp_ge_u64_e32 vcc_lo, v[0:1], v[78:79]
	s_or_not1_b32 s42, vcc_lo, exec_lo
	s_branch .LBB6_85
.LBB6_90:                               ;   in Loop: Header=BB6_49 Depth=1
	s_or_b32 exec_lo, exec_lo, s26
	s_and_saveexec_b32 s26, s27
	s_delay_alu instid0(SALU_CYCLE_1)
	s_xor_b32 s26, exec_lo, s26
	s_cbranch_execz .LBB6_92
; %bb.91:                               ;   in Loop: Header=BB6_49 Depth=1
	ds_store_b32 v0, v104
	s_trap 2
.LBB6_92:                               ;   in Loop: Header=BB6_49 Depth=1
	s_or_b32 exec_lo, exec_lo, s25
	;;#ASMSTART
	s_wakeup
	;;#ASMEND
.LBB6_93:                               ;   in Loop: Header=BB6_49 Depth=1
	s_or_b32 exec_lo, exec_lo, s24
.LBB6_94:                               ;   in Loop: Header=BB6_49 Depth=1
	s_and_not1_saveexec_b32 s11, s11
	s_cbranch_execz .LBB6_96
; %bb.95:                               ;   in Loop: Header=BB6_49 Depth=1
	global_wb scope:SCOPE_DEV
	s_wait_storecnt 0x0
	s_wait_loadcnt_dscnt 0x0
	global_inv scope:SCOPE_DEV
	s_barrier_signal -1
	s_barrier_wait -1
.LBB6_96:                               ;   in Loop: Header=BB6_49 Depth=1
	s_or_b32 exec_lo, exec_lo, s11
.LBB6_97:                               ;   in Loop: Header=BB6_49 Depth=1
	s_delay_alu instid0(SALU_CYCLE_1) | instskip(SKIP_3) | instid1(VALU_DEP_1)
	s_or_b32 exec_lo, exec_lo, s10
	s_trap 2
	ds_load_b32 v0, v0
	v_and_b32_e32 v1, 0x4000, v59
	v_cmp_ne_u32_e32 vcc_lo, 0, v1
	s_and_b32 s11, s21, vcc_lo
	s_delay_alu instid0(SALU_CYCLE_1)
	s_and_saveexec_b32 s10, s11
	s_cbranch_execz .LBB6_116
; %bb.98:                               ;   in Loop: Header=BB6_49 Depth=1
	s_and_saveexec_b32 s11, s3
	s_delay_alu instid0(SALU_CYCLE_1)
	s_xor_b32 s11, exec_lo, s11
	s_cbranch_execz .LBB6_113
; %bb.99:                               ;   in Loop: Header=BB6_49 Depth=1
	s_and_saveexec_b32 s24, s4
	s_cbranch_execz .LBB6_112
; %bb.100:                              ;   in Loop: Header=BB6_49 Depth=1
	s_mov_b32 s26, exec_lo
	s_mov_b32 s25, exec_lo
	v_mbcnt_lo_u32_b32 v1, s26, 0
	global_wb scope:SCOPE_DEV
	s_wait_storecnt 0x0
	s_wait_loadcnt_dscnt 0x0
	global_inv scope:SCOPE_DEV
	v_cmpx_eq_u32_e32 0, v1
	s_cbranch_execz .LBB6_102
; %bb.101:                              ;   in Loop: Header=BB6_49 Depth=1
	s_bcnt1_i32_b32 s26, s26
	s_delay_alu instid0(SALU_CYCLE_1)
	v_dual_mov_b32 v3, v5 :: v_dual_mov_b32 v2, s26
	s_wait_loadcnt 0x0
	ds_add_u64 v0, v[2:3]
	s_trap 2
.LBB6_102:                              ;   in Loop: Header=BB6_49 Depth=1
	s_or_b32 exec_lo, exec_lo, s25
	s_trap 2
	ds_load_b64 v[2:3], v0
	s_wait_dscnt 0x0
	scratch_load_b64 v[6:7], off, s33 offset:236 ; 8-byte Folded Reload
	s_mov_b32 s25, exec_lo
	s_wait_loadcnt 0x0
	v_add_nc_u64_e32 v[78:79], v[78:79], v[6:7]
	s_wait_xcnt 0x0
	s_delay_alu instid0(VALU_DEP_1)
	v_cmpx_lt_u64_e64 v[2:3], v[78:79]
	s_cbranch_execz .LBB6_111
; %bb.103:                              ;   in Loop: Header=BB6_49 Depth=1
	s_mov_b32 s26, 0
	s_mov_b32 s29, 0
                                        ; implicit-def: $sgpr27
                                        ; implicit-def: $sgpr28
	s_branch .LBB6_105
.LBB6_104:                              ;   in Loop: Header=BB6_105 Depth=2
	s_or_b32 exec_lo, exec_lo, s41
	s_delay_alu instid0(SALU_CYCLE_1) | instskip(NEXT) | instid1(SALU_CYCLE_1)
	s_and_b32 s40, exec_lo, s42
	s_or_b32 s26, s40, s26
	s_and_not1_b32 s27, s27, exec_lo
	s_and_b32 s40, s28, exec_lo
	s_delay_alu instid0(SALU_CYCLE_1)
	s_or_b32 s27, s27, s40
	s_and_not1_b32 exec_lo, exec_lo, s26
	s_cbranch_execz .LBB6_109
.LBB6_105:                              ;   Parent Loop BB6_49 Depth=1
                                        ; =>  This Inner Loop Header: Depth=2
	s_add_co_i32 s29, s29, 1
	s_delay_alu instid0(SALU_CYCLE_1) | instskip(SKIP_1) | instid1(SALU_CYCLE_1)
	s_cmp_lg_u32 s29, 0x2710
	s_cselect_b32 s40, -1, 0
	s_and_b32 vcc_lo, exec_lo, s40
	s_cbranch_vccz .LBB6_107
; %bb.106:                              ;   in Loop: Header=BB6_105 Depth=2
	s_mov_b32 s42, -1
	s_or_b32 s28, s28, exec_lo
	s_and_saveexec_b32 s41, s40
	s_cbranch_execz .LBB6_104
	s_branch .LBB6_108
.LBB6_107:                              ;   in Loop: Header=BB6_105 Depth=2
	s_trap 2
	ds_load_b64 v[2:3], v0
	s_and_not1_b32 s40, s40, exec_lo
	s_mov_b32 s29, 0
	s_wait_dscnt 0x0
	flat_load_b32 v1, v[2:3] scope:SCOPE_SYS
	s_wait_loadcnt_dscnt 0x0
	global_inv scope:SCOPE_SYS
	v_cmp_eq_u32_e32 vcc_lo, 0, v1
	s_and_b32 s41, vcc_lo, exec_lo
	s_delay_alu instid0(SALU_CYCLE_1)
	s_or_b32 s40, s40, s41
	s_mov_b32 s42, -1
	s_or_b32 s28, s28, exec_lo
	s_wait_xcnt 0x0
	s_and_saveexec_b32 s41, s40
	s_cbranch_execz .LBB6_104
.LBB6_108:                              ;   in Loop: Header=BB6_105 Depth=2
	s_sleep 1
	s_trap 2
	ds_load_b64 v[2:3], v0
	s_wait_dscnt 0x0
	s_and_not1_b32 s28, s28, exec_lo
	v_cmp_ge_u64_e32 vcc_lo, v[2:3], v[78:79]
	s_or_not1_b32 s42, vcc_lo, exec_lo
	s_branch .LBB6_104
.LBB6_109:                              ;   in Loop: Header=BB6_49 Depth=1
	s_or_b32 exec_lo, exec_lo, s26
	s_and_saveexec_b32 s26, s27
	s_delay_alu instid0(SALU_CYCLE_1)
	s_xor_b32 s26, exec_lo, s26
	s_cbranch_execz .LBB6_111
; %bb.110:                              ;   in Loop: Header=BB6_49 Depth=1
	ds_store_b32 v0, v104
	s_trap 2
.LBB6_111:                              ;   in Loop: Header=BB6_49 Depth=1
	s_or_b32 exec_lo, exec_lo, s25
	;;#ASMSTART
	s_wakeup
	;;#ASMEND
.LBB6_112:                              ;   in Loop: Header=BB6_49 Depth=1
	s_or_b32 exec_lo, exec_lo, s24
.LBB6_113:                              ;   in Loop: Header=BB6_49 Depth=1
	s_and_not1_saveexec_b32 s11, s11
	s_cbranch_execz .LBB6_115
; %bb.114:                              ;   in Loop: Header=BB6_49 Depth=1
	global_wb scope:SCOPE_DEV
	s_wait_storecnt 0x0
	s_wait_loadcnt_dscnt 0x0
	global_inv scope:SCOPE_DEV
	s_barrier_signal -1
	s_barrier_wait -1
.LBB6_115:                              ;   in Loop: Header=BB6_49 Depth=1
	s_or_b32 exec_lo, exec_lo, s11
.LBB6_116:                              ;   in Loop: Header=BB6_49 Depth=1
	s_delay_alu instid0(SALU_CYCLE_1)
	s_or_b32 exec_lo, exec_lo, s10
	s_trap 2
	s_wait_dscnt 0x0
	ds_load_b64 v[42:43], v0
	s_wait_dscnt 0x0
	v_cmp_eq_u64_e32 vcc_lo, 0, v[42:43]
	s_cbranch_vccnz .LBB6_124
; %bb.117:                              ;   in Loop: Header=BB6_49 Depth=1
	scratch_store_b64 off, v[78:79], s33 offset:276 ; 8-byte Folded Spill
	s_wait_loadcnt 0x0
	s_clause 0x1
	scratch_store_b64 off, v[76:77], s33 offset:268
	scratch_store_b128 off, v[60:63], s33 offset:252
	s_trap 2
	ds_load_b64 v[44:45], v0
	s_wait_dscnt 0x0
	v_cmp_eq_u64_e32 vcc_lo, 0, v[44:45]
	s_cbranch_vccnz .LBB6_125
; %bb.118:                              ;   in Loop: Header=BB6_49 Depth=1
	s_mov_b32 s10, -1
	s_wait_xcnt 0x0
	s_and_saveexec_b32 s11, s5
	s_cbranch_execz .LBB6_120
; %bb.119:                              ;   in Loop: Header=BB6_49 Depth=1
	ds_load_b32 v1, v0 offset:720
	s_wait_dscnt 0x0
	v_and_b32_e32 v1, 15, v1
	s_delay_alu instid0(VALU_DEP_1)
	v_cmp_eq_u32_e32 vcc_lo, 0, v1
	s_or_not1_b32 s10, vcc_lo, exec_lo
.LBB6_120:                              ;   in Loop: Header=BB6_49 Depth=1
	s_or_b32 exec_lo, exec_lo, s11
	s_and_saveexec_b32 s11, s6
	s_cbranch_execz .LBB6_122
; %bb.121:                              ;   in Loop: Header=BB6_49 Depth=1
	ds_load_b32 v1, v0 offset:784
	s_wait_dscnt 0x0
	v_and_b32_e32 v1, 15, v1
	s_delay_alu instid0(VALU_DEP_1) | instskip(SKIP_3) | instid1(SALU_CYCLE_1)
	v_cmp_eq_u32_e32 vcc_lo, 0, v1
	s_and_b32 s24, s10, vcc_lo
	s_and_not1_b32 s10, s10, exec_lo
	s_and_b32 s24, s24, exec_lo
	s_or_b32 s10, s10, s24
.LBB6_122:                              ;   in Loop: Header=BB6_49 Depth=1
	s_or_b32 exec_lo, exec_lo, s11
	v_cmp_eq_u32_e32 vcc_lo, 0, v0
	s_xor_b32 s10, s10, -1
	v_mov_b32_e32 v0, v75
	v_cndmask_b32_e64 v1, 0, 1, s10
	s_mov_b32 s10, -1
	v_dual_cndmask_b32 v62, 0, v120, vcc_lo :: v_dual_mov_b32 v4, 0
	v_mov_b32_e32 v7, v58
	s_delay_alu instid0(VALU_DEP_3) | instskip(NEXT) | instid1(VALU_DEP_3)
	v_cmp_ne_u32_e32 vcc_lo, 0, v1
	v_mov_b32_e32 v3, v62
	s_cbranch_vccz .LBB6_126
; %bb.123:                              ;   in Loop: Header=BB6_49 Depth=1
	s_and_saveexec_b32 s11, s10
	s_cbranch_execnz .LBB6_3275
	s_branch .LBB6_4735
.LBB6_124:                              ;   in Loop: Header=BB6_49 Depth=1
	s_mov_b32 s10, 0
	s_and_saveexec_b32 s11, s2
	s_cbranch_execnz .LBB6_4737
; %bb.9786:                             ;   in Loop: Header=BB6_49 Depth=1
	s_add_pc_i64 .LBB6_4755-.Lpost_addpc2
.Lpost_addpc2:
.LBB6_125:                              ;   in Loop: Header=BB6_49 Depth=1
	s_mov_b32 s10, 0
	s_branch .LBB6_4736
.LBB6_126:                              ;   in Loop: Header=BB6_49 Depth=1
	v_lshrrev_b32_e32 v0, 11, v62
	s_mov_b32 s11, exec_lo
	s_delay_alu instid0(VALU_DEP_1) | instskip(NEXT) | instid1(VALU_DEP_1)
	v_sub_nc_u32_e32 v6, v0, v75
	v_cmpx_lt_i32_e32 0, v6
	s_cbranch_execz .LBB6_2690
; %bb.127:                              ;   in Loop: Header=BB6_49 Depth=1
	s_trap 2
	scratch_load_b64 v[2:3], off, s33 offset:468 ; 8-byte Folded Reload
	ds_load_b64 v[0:1], v0
	v_dual_mov_b32 v41, v74 :: v_dual_mov_b32 v40, v59
	v_mov_b64_e32 v[60:61], v[72:73]
	v_dual_mov_b32 v119, v57 :: v_dual_mov_b32 v118, v56
	s_mov_b32 s24, 0
	s_wait_loadcnt 0x0
	v_add_nc_u64_e32 v[46:47], v[42:43], v[2:3]
	s_wait_dscnt 0x0
	v_add_nc_u64_e32 v[56:57], v[0:1], v[2:3]
	v_add_nc_u64_e32 v[58:59], v[44:45], v[2:3]
	s_branch .LBB6_130
.LBB6_128:                              ;   in Loop: Header=BB6_130 Depth=2
	s_or_b32 exec_lo, exec_lo, s25
.LBB6_129:                              ;   in Loop: Header=BB6_130 Depth=2
	s_delay_alu instid0(SALU_CYCLE_1)
	s_or_b32 exec_lo, exec_lo, s10
	v_lshl_or_b32 v1, v84, 8, v83
	v_dual_lshlrev_b32 v2, 16, v85 :: v_dual_lshlrev_b32 v3, 24, v18
	v_lshl_or_b32 v4, v34, 8, v29
	v_dual_lshlrev_b32 v12, 16, v35 :: v_dual_lshlrev_b32 v13, 24, v86
	v_dual_lshlrev_b32 v29, 16, v69 :: v_dual_lshlrev_b32 v26, 24, v26
	s_delay_alu instid0(VALU_DEP_4)
	v_or3_b32 v17, v1, v2, v3
	v_lshlrev_b32_e32 v1, 24, v82
	v_lshl_or_b32 v2, v22, 8, v19
	v_dual_lshlrev_b32 v3, 16, v23 :: v_dual_lshlrev_b32 v19, 24, v20
	v_lshlrev_b32_e32 v20, 16, v97
	v_lshl_or_b32 v22, v96, 8, v87
	v_lshl_or_b32 v23, v68, 8, v67
	v_or3_b32 v16, v4, v12, v1
	v_or3_b32 v18, v2, v3, v13
	v_lshl_or_b32 v1, v32, 8, v27
	v_dual_lshlrev_b32 v2, 16, v33 :: v_dual_lshlrev_b32 v3, 24, v70
	v_or3_b32 v19, v22, v20, v19
	v_or3_b32 v35, v23, v29, v26
	v_dual_lshlrev_b32 v4, 24, v28 :: v_dual_lshlrev_b32 v12, 16, v81
	v_lshl_or_b32 v20, v52, 8, v31
	v_dual_lshlrev_b32 v22, 16, v53 :: v_dual_lshlrev_b32 v23, 24, v36
	v_lshl_or_b32 v7, v8, 8, v7
	;; [unrolled: 2-line block ×3, first 2 shown]
	v_dual_lshlrev_b32 v29, 16, v49 :: v_dual_lshlrev_b32 v30, 24, v54
	v_or3_b32 v36, v1, v2, v3
	v_dual_lshlrev_b32 v1, 24, v38 :: v_dual_lshlrev_b32 v2, 16, v65
	v_lshl_or_b32 v3, v64, 8, v55
	v_lshl_or_b32 v34, v50, 8, v39
	v_dual_lshlrev_b32 v39, 16, v51 :: v_dual_lshlrev_b32 v50, 24, v66
	v_lshl_or_b32 v13, v80, 8, v71
	v_or3_b32 v27, v20, v22, v23
	v_or3_b32 v26, v7, v8, v9
	;; [unrolled: 1-line block ×6, first 2 shown]
	v_lshl_or_b32 v4, v100, 8, v99
	v_dual_lshlrev_b32 v7, 16, v101 :: v_dual_lshlrev_b32 v8, 24, v10
	v_lshl_or_b32 v9, v24, 8, v21
	v_dual_lshlrev_b32 v10, 16, v25 :: v_dual_lshlrev_b32 v12, 24, v98
	s_clause 0x1
	global_store_b128 v[58:59], v[26:29], off th:TH_STORE_NT
	global_store_b128 v[58:59], v[34:37], off offset:512 th:TH_STORE_NT
	v_dual_lshlrev_b32 v13, 16, v15 :: v_dual_lshlrev_b32 v15, 24, v0
	v_lshlrev_b32_e32 v20, 16, v113
	v_or3_b32 v1, v4, v7, v8
	v_or3_b32 v0, v9, v10, v12
	scratch_load_b64 v[8:9], off, s33 offset:236 ; 8-byte Folded Reload
	v_lshl_or_b32 v11, v14, 8, v11
	v_lshlrev_b32_e32 v14, 24, v102
	v_lshl_or_b32 v21, v112, 8, v103
	v_add_nc_u64_e32 v[46:47], v[46:47], v[92:93]
	v_add_nc_u64_e32 v[56:57], v[56:57], v[92:93]
	s_delay_alu instid0(VALU_DEP_4) | instskip(NEXT) | instid1(VALU_DEP_4)
	v_or3_b32 v2, v11, v13, v14
	v_or3_b32 v3, v21, v20, v15
	s_clause 0x1
	global_store_b128 v[58:59], v[16:19], off offset:1024 th:TH_STORE_NT
	global_store_b128 v[58:59], v[0:3], off offset:1536 th:TH_STORE_NT
	s_wait_xcnt 0x0
	v_add_nc_u64_e32 v[58:59], v[58:59], v[92:93]
	s_wait_loadcnt 0x0
	v_sub_nc_u32_e32 v6, v6, v8
	s_delay_alu instid0(VALU_DEP_1) | instskip(SKIP_1) | instid1(SALU_CYCLE_1)
	v_cmp_gt_i32_e32 vcc_lo, 1, v6
	s_or_b32 s24, vcc_lo, s24
	s_and_not1_b32 exec_lo, exec_lo, s24
	s_cbranch_execz .LBB6_2689
.LBB6_130:                              ;   Parent Loop BB6_49 Depth=1
                                        ; =>  This Inner Loop Header: Depth=2
	s_clause 0x3
	global_load_b128 v[48:51], v[46:47], off th:TH_LOAD_NT
	global_load_b128 v[32:35], v[46:47], off offset:512 th:TH_LOAD_NT
	global_load_b128 v[22:25], v[46:47], off offset:1024 th:TH_LOAD_NT
	global_load_b128 v[14:17], v[46:47], off offset:1536 th:TH_LOAD_NT
	s_clause 0x3
	global_load_b128 v[36:39], v[56:57], off th:TH_LOAD_NT
	global_load_b128 v[26:29], v[56:57], off offset:512 th:TH_LOAD_NT
	global_load_b128 v[18:21], v[56:57], off offset:1024 th:TH_LOAD_NT
	;; [unrolled: 1-line block ×3, first 2 shown]
	v_mov_b32_e32 v0, 0
	s_wait_loadcnt 0x7
	v_and_b32_e32 v1, 0xff, v48
	s_delay_alu instid0(VALU_DEP_1)
	v_cmp_ne_u16_e32 vcc_lo, 0, v1
	v_mov_b32_e32 v1, 0
	s_wait_xcnt 0x0
	s_and_saveexec_b32 s10, vcc_lo
	s_cbranch_execz .LBB6_140
; %bb.131:                              ;   in Loop: Header=BB6_130 Depth=2
	v_bfe_i32 v3, v48, 0, 8
	v_bfrev_b32_e32 v1, 1
	s_mov_b32 s25, exec_lo
	s_delay_alu instid0(VALU_DEP_2)
	v_cmpx_ne_u16_e32 0xff80, v3
	s_cbranch_execz .LBB6_139
; %bb.132:                              ;   in Loop: Header=BB6_130 Depth=2
	v_and_b32_e32 v1, 0x7c, v48
	v_and_b32_e32 v2, 3, v48
	s_delay_alu instid0(VALU_DEP_2) | instskip(SKIP_1) | instid1(SALU_CYCLE_1)
	v_cmp_ne_u32_e32 vcc_lo, 0x7c, v1
                                        ; implicit-def: $vgpr1
	s_and_saveexec_b32 s26, vcc_lo
	s_xor_b32 s26, exec_lo, s26
	s_cbranch_execz .LBB6_136
; %bb.133:                              ;   in Loop: Header=BB6_130 Depth=2
	v_bfe_u32 v1, v48, 2, 5
	s_mov_b32 s27, exec_lo
	s_delay_alu instid0(VALU_DEP_1)
	v_cmpx_eq_u32_e32 0, v1
; %bb.134:                              ;   in Loop: Header=BB6_130 Depth=2
	v_clz_i32_u32_e32 v1, v2
	s_delay_alu instid0(VALU_DEP_1) | instskip(NEXT) | instid1(VALU_DEP_1)
	v_min_u32_e32 v1, 32, v1
	v_subrev_nc_u32_e32 v2, 29, v1
	s_delay_alu instid0(VALU_DEP_1) | instskip(NEXT) | instid1(VALU_DEP_1)
	v_lshlrev_b64_e32 v[2:3], v2, v[48:49]
	v_dual_sub_nc_u32 v1, 30, v1 :: v_dual_bitop2_b32 v2, 3, v2 bitop3:0x40
; %bb.135:                              ;   in Loop: Header=BB6_130 Depth=2
	s_or_b32 exec_lo, exec_lo, s27
	v_lshlrev_b32_e32 v3, 24, v48
	s_delay_alu instid0(VALU_DEP_1) | instskip(NEXT) | instid1(VALU_DEP_1)
	v_and_b32_e32 v3, 0x80000000, v3
	v_lshl_add_u32 v1, v1, 23, v3
                                        ; implicit-def: $vgpr3
	s_delay_alu instid0(VALU_DEP_1) | instskip(NEXT) | instid1(VALU_DEP_1)
	v_lshl_or_b32 v1, v2, 21, v1
                                        ; implicit-def: $vgpr2
	v_add_nc_u32_e32 v1, 0x38000000, v1
.LBB6_136:                              ;   in Loop: Header=BB6_130 Depth=2
	s_and_not1_saveexec_b32 s26, s26
; %bb.137:                              ;   in Loop: Header=BB6_130 Depth=2
	v_cmp_lt_i16_e32 vcc_lo, -1, v3
	v_cndmask_b32_e32 v1, 0xff800000, v109, vcc_lo
	v_cmp_eq_u32_e32 vcc_lo, 0, v2
	s_delay_alu instid0(VALU_DEP_2)
	v_cndmask_b32_e32 v1, 0x7f800001, v1, vcc_lo
; %bb.138:                              ;   in Loop: Header=BB6_130 Depth=2
	s_or_b32 exec_lo, exec_lo, s26
.LBB6_139:                              ;   in Loop: Header=BB6_130 Depth=2
	s_delay_alu instid0(SALU_CYCLE_1)
	s_or_b32 exec_lo, exec_lo, s25
.LBB6_140:                              ;   in Loop: Header=BB6_130 Depth=2
	s_delay_alu instid0(SALU_CYCLE_1) | instskip(SKIP_3) | instid1(VALU_DEP_1)
	s_or_b32 exec_lo, exec_lo, s10
	s_wait_loadcnt 0x3
	v_and_b32_e32 v2, 0xff, v36
	s_mov_b32 s10, exec_lo
	v_cmpx_ne_u16_e32 0, v2
	s_cbranch_execz .LBB6_150
; %bb.141:                              ;   in Loop: Header=BB6_130 Depth=2
	v_bfe_i32 v3, v36, 0, 8
	v_bfrev_b32_e32 v0, 1
	s_mov_b32 s25, exec_lo
	s_delay_alu instid0(VALU_DEP_2)
	v_cmpx_ne_u16_e32 0xff80, v3
	s_cbranch_execz .LBB6_149
; %bb.142:                              ;   in Loop: Header=BB6_130 Depth=2
	v_and_b32_e32 v0, 0x7c, v36
	v_and_b32_e32 v2, 3, v36
	s_delay_alu instid0(VALU_DEP_2) | instskip(SKIP_1) | instid1(SALU_CYCLE_1)
	v_cmp_ne_u32_e32 vcc_lo, 0x7c, v0
                                        ; implicit-def: $vgpr0
	s_and_saveexec_b32 s26, vcc_lo
	s_xor_b32 s26, exec_lo, s26
	s_cbranch_execz .LBB6_146
; %bb.143:                              ;   in Loop: Header=BB6_130 Depth=2
	v_bfe_u32 v0, v36, 2, 5
	s_mov_b32 s27, exec_lo
	s_delay_alu instid0(VALU_DEP_1)
	v_cmpx_eq_u32_e32 0, v0
; %bb.144:                              ;   in Loop: Header=BB6_130 Depth=2
	v_clz_i32_u32_e32 v0, v2
	s_delay_alu instid0(VALU_DEP_1) | instskip(NEXT) | instid1(VALU_DEP_1)
	v_min_u32_e32 v0, 32, v0
	v_subrev_nc_u32_e32 v2, 29, v0
	s_delay_alu instid0(VALU_DEP_1) | instskip(NEXT) | instid1(VALU_DEP_1)
	v_lshlrev_b64_e32 v[2:3], v2, v[36:37]
	v_dual_sub_nc_u32 v0, 30, v0 :: v_dual_bitop2_b32 v2, 3, v2 bitop3:0x40
; %bb.145:                              ;   in Loop: Header=BB6_130 Depth=2
	s_or_b32 exec_lo, exec_lo, s27
	v_lshlrev_b32_e32 v3, 24, v36
	s_delay_alu instid0(VALU_DEP_1) | instskip(NEXT) | instid1(VALU_DEP_1)
	v_and_b32_e32 v3, 0x80000000, v3
	v_lshl_add_u32 v0, v0, 23, v3
                                        ; implicit-def: $vgpr3
	s_delay_alu instid0(VALU_DEP_1) | instskip(NEXT) | instid1(VALU_DEP_1)
	v_lshl_or_b32 v0, v2, 21, v0
                                        ; implicit-def: $vgpr2
	v_add_nc_u32_e32 v0, 0x38000000, v0
.LBB6_146:                              ;   in Loop: Header=BB6_130 Depth=2
	s_and_not1_saveexec_b32 s26, s26
; %bb.147:                              ;   in Loop: Header=BB6_130 Depth=2
	v_cmp_lt_i16_e32 vcc_lo, -1, v3
	v_cndmask_b32_e32 v0, 0xff800000, v109, vcc_lo
	v_cmp_eq_u32_e32 vcc_lo, 0, v2
	s_delay_alu instid0(VALU_DEP_2)
	v_cndmask_b32_e32 v0, 0x7f800001, v0, vcc_lo
; %bb.148:                              ;   in Loop: Header=BB6_130 Depth=2
	s_or_b32 exec_lo, exec_lo, s26
.LBB6_149:                              ;   in Loop: Header=BB6_130 Depth=2
	s_delay_alu instid0(SALU_CYCLE_1)
	s_or_b32 exec_lo, exec_lo, s25
.LBB6_150:                              ;   in Loop: Header=BB6_130 Depth=2
	s_delay_alu instid0(SALU_CYCLE_1) | instskip(NEXT) | instid1(VALU_DEP_1)
	s_or_b32 exec_lo, exec_lo, s10
	v_mul_f32_e32 v0, v1, v0
	v_mov_b32_e32 v3, v5
                                        ; implicit-def: $vgpr7
	s_mov_b32 s10, exec_lo
	s_delay_alu instid0(VALU_DEP_2) | instskip(SKIP_2) | instid1(VALU_DEP_3)
	v_and_b32_e32 v2, 0x7f800000, v0
	v_and_b32_e32 v4, 0x7fffff, v0
	v_lshrrev_b32_e32 v1, 24, v0
	v_cmpx_ne_u64_e32 0x7f800000, v[2:3]
	s_xor_b32 s25, exec_lo, s10
	s_cbranch_execz .LBB6_164
; %bb.151:                              ;   in Loop: Header=BB6_130 Depth=2
	v_and_b32_e32 v2, 0x7fffffff, v0
	v_mov_b32_e32 v3, v5
	v_and_b32_e32 v8, 0x80, v1
                                        ; implicit-def: $vgpr7
	s_mov_b32 s10, exec_lo
	s_delay_alu instid0(VALU_DEP_2)
	v_cmpx_gt_u64_e32 0x47600001, v[2:3]
	s_xor_b32 s26, exec_lo, s10
	s_cbranch_execz .LBB6_161
; %bb.152:                              ;   in Loop: Header=BB6_130 Depth=2
	v_mov_b32_e32 v7, 0
	s_mov_b32 s27, exec_lo
	v_cmpx_ne_u32_e32 0, v0
	s_cbranch_execz .LBB6_160
; %bb.153:                              ;   in Loop: Header=BB6_130 Depth=2
	v_bfe_u32 v7, v0, 23, 8
	v_or_b32_e32 v2, 0x800000, v4
	s_mov_b32 s28, exec_lo
	s_delay_alu instid0(VALU_DEP_2) | instskip(SKIP_1) | instid1(VALU_DEP_2)
	v_dual_mov_b32 v3, v5 :: v_dual_sub_nc_u32 v0, 0x71, v7
	v_cmp_gt_u32_e32 vcc_lo, 0x72, v7
	v_cndmask_b32_e32 v0, 0, v0, vcc_lo
	v_cmp_eq_u32_e32 vcc_lo, 0, v7
	s_delay_alu instid0(VALU_DEP_2) | instskip(NEXT) | instid1(VALU_DEP_1)
	v_cndmask_b32_e64 v9, v0, 0x70, vcc_lo
	v_dual_cndmask_b32 v2, v2, v4, vcc_lo :: v_dual_add_nc_u32 v0, 21, v9
	v_add_nc_u32_e32 v30, 20, v9
	s_delay_alu instid0(VALU_DEP_2) | instskip(NEXT) | instid1(VALU_DEP_2)
	v_lshlrev_b64_e64 v[0:1], v0, -1
	v_lshlrev_b64_e64 v[30:31], v30, 1
	s_delay_alu instid0(VALU_DEP_2) | instskip(NEXT) | instid1(VALU_DEP_3)
	v_bfi_b32 v53, v1, 0, 0
	v_bfi_b32 v52, v0, 0, v2
	v_lshrrev_b64 v[0:1], v9, v[2:3]
	s_delay_alu instid0(VALU_DEP_1) | instskip(NEXT) | instid1(VALU_DEP_3)
	v_mov_b64_e32 v[2:3], v[0:1]
	v_cmpx_eq_u64_e64 v[52:53], v[30:31]
; %bb.154:                              ;   in Loop: Header=BB6_130 Depth=2
	v_bfe_u32 v2, v0, 21, 1
	v_mov_b32_e32 v3, v5
	s_delay_alu instid0(VALU_DEP_1) | instskip(NEXT) | instid1(VALU_DEP_1)
	v_add_nc_u64_e32 v[2:3], v[0:1], v[2:3]
	v_add_nc_u64_e32 v[2:3], -1, v[2:3]
; %bb.155:                              ;   in Loop: Header=BB6_130 Depth=2
	s_or_b32 exec_lo, exec_lo, s28
	v_add_nc_u32_e32 v1, 0xffffff81, v7
	v_lshrrev_b32_e32 v3, 23, v0
	s_mov_b32 s10, exec_lo
	s_delay_alu instid0(VALU_DEP_2) | instskip(NEXT) | instid1(VALU_DEP_1)
	v_cndmask_b32_e64 v1, v1, 0xffffff82, vcc_lo
	v_add3_u32 v3, v9, v1, v3
	v_and_b32_e32 v1, 0x1fffff, v2
                                        ; implicit-def: $vgpr2
	s_delay_alu instid0(VALU_DEP_1) | instskip(NEXT) | instid1(VALU_DEP_1)
	v_dual_add_nc_u32 v7, 14, v3 :: v_dual_add_nc_u32 v4, v1, v0
                                        ; implicit-def: $vgpr0_vgpr1
	v_cmpx_ne_u32_e32 0, v7
	s_xor_b32 s10, exec_lo, s10
; %bb.156:                              ;   in Loop: Header=BB6_130 Depth=2
	s_delay_alu instid0(VALU_DEP_2) | instskip(SKIP_1) | instid1(VALU_DEP_1)
	v_cmp_lt_u64_e32 vcc_lo, 0xffffff, v[4:5]
	v_add_nc_u32_e32 v0, 15, v3
	v_cndmask_b32_e32 v2, v7, v0, vcc_lo
	v_cndmask_b32_e64 v0, 0, 1, vcc_lo
	s_delay_alu instid0(VALU_DEP_1)
	v_lshrrev_b64 v[0:1], v0, v[4:5]
; %bb.157:                              ;   in Loop: Header=BB6_130 Depth=2
	s_and_not1_saveexec_b32 s10, s10
; %bb.158:                              ;   in Loop: Header=BB6_130 Depth=2
	v_mov_b64_e32 v[0:1], v[4:5]
	v_bfe_u32 v2, v4, 23, 1
; %bb.159:                              ;   in Loop: Header=BB6_130 Depth=2
	s_or_b32 exec_lo, exec_lo, s10
	s_delay_alu instid0(VALU_DEP_2) | instskip(NEXT) | instid1(VALU_DEP_2)
	v_lshrrev_b64 v[0:1], 21, v[0:1]
	v_cmp_gt_i32_e32 vcc_lo, 32, v2
	v_min_i32_e32 v3, 31, v2
	v_cmp_eq_u32_e64 s10, 0, v2
	s_delay_alu instid0(VALU_DEP_2) | instskip(SKIP_1) | instid1(VALU_DEP_2)
	v_dual_cndmask_b32 v1, 0, v1, vcc_lo :: v_dual_lshlrev_b32 v3, 2, v3
	v_cndmask_b32_e32 v0, 3, v0, vcc_lo
	v_and_b32_e32 v3, 0xfc, v3
	s_delay_alu instid0(VALU_DEP_2) | instskip(NEXT) | instid1(VALU_DEP_2)
	v_cmp_eq_u64_e32 vcc_lo, 0, v[0:1]
	v_and_or_b32 v0, v0, 3, v3
	s_and_b32 s10, s10, vcc_lo
	s_delay_alu instid0(VALU_DEP_1) | instid1(SALU_CYCLE_1)
	v_cndmask_b32_e64 v0, v0, 0, s10
	s_delay_alu instid0(VALU_DEP_1)
	v_or_b32_e32 v7, v0, v8
.LBB6_160:                              ;   in Loop: Header=BB6_130 Depth=2
	s_or_b32 exec_lo, exec_lo, s27
                                        ; implicit-def: $vgpr8
.LBB6_161:                              ;   in Loop: Header=BB6_130 Depth=2
	s_and_not1_saveexec_b32 s10, s26
; %bb.162:                              ;   in Loop: Header=BB6_130 Depth=2
	v_or_b32_e32 v7, 0x7b, v8
; %bb.163:                              ;   in Loop: Header=BB6_130 Depth=2
	s_or_b32 exec_lo, exec_lo, s10
                                        ; implicit-def: $vgpr0
                                        ; implicit-def: $vgpr1
.LBB6_164:                              ;   in Loop: Header=BB6_130 Depth=2
	s_and_not1_saveexec_b32 s10, s25
	s_cbranch_execz .LBB6_170
; %bb.165:                              ;   in Loop: Header=BB6_130 Depth=2
	s_mov_b32 s25, exec_lo
                                        ; implicit-def: $vgpr7
	v_cmpx_ne_u64_e32 0, v[4:5]
	s_xor_b32 s25, exec_lo, s25
; %bb.166:                              ;   in Loop: Header=BB6_130 Depth=2
	v_or_b32_e32 v7, 0x7f, v1
                                        ; implicit-def: $vgpr0
; %bb.167:                              ;   in Loop: Header=BB6_130 Depth=2
	s_and_not1_saveexec_b32 s25, s25
; %bb.168:                              ;   in Loop: Header=BB6_130 Depth=2
	v_cmp_lt_i32_e32 vcc_lo, -1, v0
	v_cndmask_b32_e32 v7, 0xfc, v108, vcc_lo
; %bb.169:                              ;   in Loop: Header=BB6_130 Depth=2
	s_or_b32 exec_lo, exec_lo, s25
.LBB6_170:                              ;   in Loop: Header=BB6_130 Depth=2
	s_delay_alu instid0(SALU_CYCLE_1) | instskip(SKIP_3) | instid1(VALU_DEP_2)
	s_or_b32 exec_lo, exec_lo, s10
	v_lshrrev_b16 v0, 8, v48
	v_dual_mov_b32 v2, 0 :: v_dual_mov_b32 v3, 0
	s_mov_b32 s10, exec_lo
	v_cmpx_ne_u16_e32 0, v0
	s_cbranch_execz .LBB6_180
; %bb.171:                              ;   in Loop: Header=BB6_130 Depth=2
	v_bfrev_b32_e32 v3, 1
	s_mov_b32 s25, exec_lo
	v_cmpx_ne_u16_e32 0x80, v0
	s_cbranch_execz .LBB6_179
; %bb.172:                              ;   in Loop: Header=BB6_130 Depth=2
	v_and_b32_e32 v4, 0xffff, v0
	s_delay_alu instid0(VALU_DEP_1) | instskip(SKIP_1) | instid1(VALU_DEP_2)
	v_and_b32_e32 v3, 0x7c, v4
	v_and_b32_e32 v1, 3, v4
	v_cmp_ne_u32_e32 vcc_lo, 0x7c, v3
                                        ; implicit-def: $vgpr3
	s_and_saveexec_b32 s26, vcc_lo
	s_delay_alu instid0(SALU_CYCLE_1)
	s_xor_b32 s26, exec_lo, s26
	s_cbranch_execz .LBB6_176
; %bb.173:                              ;   in Loop: Header=BB6_130 Depth=2
	v_bfe_u32 v3, v4, 2, 5
	s_mov_b32 s27, exec_lo
	s_delay_alu instid0(VALU_DEP_1)
	v_cmpx_eq_u32_e32 0, v3
	s_cbranch_execz .LBB6_175
; %bb.174:                              ;   in Loop: Header=BB6_130 Depth=2
	v_clz_i32_u32_e32 v1, v1
	s_delay_alu instid0(VALU_DEP_1) | instskip(SKIP_1) | instid1(VALU_DEP_2)
	v_min_u32_e32 v3, 32, v1
	v_mov_b32_e32 v1, v5
	v_subrev_nc_u32_e32 v4, 29, v3
	v_sub_nc_u32_e32 v3, 30, v3
	s_delay_alu instid0(VALU_DEP_2) | instskip(NEXT) | instid1(VALU_DEP_1)
	v_lshlrev_b64_e32 v[0:1], v4, v[0:1]
	v_and_b32_e32 v1, 3, v0
.LBB6_175:                              ;   in Loop: Header=BB6_130 Depth=2
	s_or_b32 exec_lo, exec_lo, s27
	v_lshlrev_b32_e32 v0, 16, v48
	s_delay_alu instid0(VALU_DEP_1) | instskip(NEXT) | instid1(VALU_DEP_1)
	v_and_b32_e32 v0, 0x80000000, v0
	v_lshl_add_u32 v0, v3, 23, v0
	s_delay_alu instid0(VALU_DEP_1) | instskip(NEXT) | instid1(VALU_DEP_1)
	v_lshl_or_b32 v0, v1, 21, v0
                                        ; implicit-def: $vgpr1
	v_add_nc_u32_e32 v3, 0x38000000, v0
.LBB6_176:                              ;   in Loop: Header=BB6_130 Depth=2
	s_and_not1_saveexec_b32 s26, s26
; %bb.177:                              ;   in Loop: Header=BB6_130 Depth=2
	v_cmp_lt_i16_e32 vcc_lo, -1, v48
	v_cndmask_b32_e32 v0, 0xff800000, v109, vcc_lo
	v_cmp_eq_u32_e32 vcc_lo, 0, v1
	s_delay_alu instid0(VALU_DEP_2)
	v_cndmask_b32_e32 v3, 0x7f800001, v0, vcc_lo
; %bb.178:                              ;   in Loop: Header=BB6_130 Depth=2
	s_or_b32 exec_lo, exec_lo, s26
.LBB6_179:                              ;   in Loop: Header=BB6_130 Depth=2
	s_delay_alu instid0(SALU_CYCLE_1)
	s_or_b32 exec_lo, exec_lo, s25
.LBB6_180:                              ;   in Loop: Header=BB6_130 Depth=2
	s_delay_alu instid0(SALU_CYCLE_1) | instskip(SKIP_2) | instid1(VALU_DEP_1)
	s_or_b32 exec_lo, exec_lo, s10
	v_lshrrev_b16 v0, 8, v36
	s_mov_b32 s10, exec_lo
	v_cmpx_ne_u16_e32 0, v0
	s_cbranch_execz .LBB6_190
; %bb.181:                              ;   in Loop: Header=BB6_130 Depth=2
	v_bfrev_b32_e32 v2, 1
	s_mov_b32 s25, exec_lo
	v_cmpx_ne_u16_e32 0x80, v0
	s_cbranch_execz .LBB6_189
; %bb.182:                              ;   in Loop: Header=BB6_130 Depth=2
	v_and_b32_e32 v4, 0xffff, v0
	s_delay_alu instid0(VALU_DEP_1) | instskip(SKIP_1) | instid1(VALU_DEP_2)
	v_and_b32_e32 v2, 0x7c, v4
	v_and_b32_e32 v1, 3, v4
	v_cmp_ne_u32_e32 vcc_lo, 0x7c, v2
                                        ; implicit-def: $vgpr2
	s_and_saveexec_b32 s26, vcc_lo
	s_delay_alu instid0(SALU_CYCLE_1)
	s_xor_b32 s26, exec_lo, s26
	s_cbranch_execz .LBB6_186
; %bb.183:                              ;   in Loop: Header=BB6_130 Depth=2
	v_bfe_u32 v2, v4, 2, 5
	s_mov_b32 s27, exec_lo
	s_delay_alu instid0(VALU_DEP_1)
	v_cmpx_eq_u32_e32 0, v2
	s_cbranch_execz .LBB6_185
; %bb.184:                              ;   in Loop: Header=BB6_130 Depth=2
	v_clz_i32_u32_e32 v1, v1
	s_delay_alu instid0(VALU_DEP_1) | instskip(SKIP_1) | instid1(VALU_DEP_2)
	v_min_u32_e32 v2, 32, v1
	v_mov_b32_e32 v1, v5
	v_subrev_nc_u32_e32 v4, 29, v2
	v_sub_nc_u32_e32 v2, 30, v2
	s_delay_alu instid0(VALU_DEP_2) | instskip(NEXT) | instid1(VALU_DEP_1)
	v_lshlrev_b64_e32 v[0:1], v4, v[0:1]
	v_and_b32_e32 v1, 3, v0
.LBB6_185:                              ;   in Loop: Header=BB6_130 Depth=2
	s_or_b32 exec_lo, exec_lo, s27
	v_lshlrev_b32_e32 v0, 16, v36
	s_delay_alu instid0(VALU_DEP_1) | instskip(NEXT) | instid1(VALU_DEP_1)
	v_and_b32_e32 v0, 0x80000000, v0
	v_lshl_add_u32 v0, v2, 23, v0
	s_delay_alu instid0(VALU_DEP_1) | instskip(NEXT) | instid1(VALU_DEP_1)
	v_lshl_or_b32 v0, v1, 21, v0
                                        ; implicit-def: $vgpr1
	v_add_nc_u32_e32 v2, 0x38000000, v0
.LBB6_186:                              ;   in Loop: Header=BB6_130 Depth=2
	s_and_not1_saveexec_b32 s26, s26
; %bb.187:                              ;   in Loop: Header=BB6_130 Depth=2
	v_cmp_lt_i16_e32 vcc_lo, -1, v36
	v_cndmask_b32_e32 v0, 0xff800000, v109, vcc_lo
	v_cmp_eq_u32_e32 vcc_lo, 0, v1
	s_delay_alu instid0(VALU_DEP_2)
	v_cndmask_b32_e32 v2, 0x7f800001, v0, vcc_lo
; %bb.188:                              ;   in Loop: Header=BB6_130 Depth=2
	s_or_b32 exec_lo, exec_lo, s26
.LBB6_189:                              ;   in Loop: Header=BB6_130 Depth=2
	s_delay_alu instid0(SALU_CYCLE_1)
	s_or_b32 exec_lo, exec_lo, s25
.LBB6_190:                              ;   in Loop: Header=BB6_130 Depth=2
	s_delay_alu instid0(SALU_CYCLE_1) | instskip(NEXT) | instid1(VALU_DEP_1)
	s_or_b32 exec_lo, exec_lo, s10
	v_dual_mul_f32 v0, v3, v2 :: v_dual_mov_b32 v3, v5
                                        ; implicit-def: $vgpr8
	s_mov_b32 s10, exec_lo
	s_delay_alu instid0(VALU_DEP_1) | instskip(SKIP_2) | instid1(VALU_DEP_3)
	v_and_b32_e32 v2, 0x7f800000, v0
	v_and_b32_e32 v4, 0x7fffff, v0
	v_lshrrev_b32_e32 v1, 24, v0
	v_cmpx_ne_u64_e32 0x7f800000, v[2:3]
	s_xor_b32 s25, exec_lo, s10
	s_cbranch_execz .LBB6_204
; %bb.191:                              ;   in Loop: Header=BB6_130 Depth=2
	v_and_b32_e32 v2, 0x7fffffff, v0
	v_mov_b32_e32 v3, v5
	v_and_b32_e32 v9, 0x80, v1
                                        ; implicit-def: $vgpr8
	s_mov_b32 s10, exec_lo
	s_delay_alu instid0(VALU_DEP_2)
	v_cmpx_gt_u64_e32 0x47600001, v[2:3]
	s_xor_b32 s26, exec_lo, s10
	s_cbranch_execz .LBB6_201
; %bb.192:                              ;   in Loop: Header=BB6_130 Depth=2
	v_mov_b32_e32 v8, 0
	s_mov_b32 s27, exec_lo
	v_cmpx_ne_u32_e32 0, v0
	s_cbranch_execz .LBB6_200
; %bb.193:                              ;   in Loop: Header=BB6_130 Depth=2
	v_bfe_u32 v8, v0, 23, 8
	v_or_b32_e32 v2, 0x800000, v4
	s_mov_b32 s28, exec_lo
	s_delay_alu instid0(VALU_DEP_2) | instskip(SKIP_1) | instid1(VALU_DEP_2)
	v_dual_mov_b32 v3, v5 :: v_dual_sub_nc_u32 v0, 0x71, v8
	v_cmp_gt_u32_e32 vcc_lo, 0x72, v8
	v_cndmask_b32_e32 v0, 0, v0, vcc_lo
	v_cmp_eq_u32_e32 vcc_lo, 0, v8
	s_delay_alu instid0(VALU_DEP_2) | instskip(NEXT) | instid1(VALU_DEP_1)
	v_cndmask_b32_e64 v30, v0, 0x70, vcc_lo
	v_dual_cndmask_b32 v2, v2, v4, vcc_lo :: v_dual_add_nc_u32 v0, 21, v30
	v_add_nc_u32_e32 v31, 20, v30
	s_delay_alu instid0(VALU_DEP_2) | instskip(NEXT) | instid1(VALU_DEP_2)
	v_lshlrev_b64_e64 v[0:1], v0, -1
	v_lshlrev_b64_e64 v[52:53], v31, 1
	s_delay_alu instid0(VALU_DEP_2) | instskip(NEXT) | instid1(VALU_DEP_3)
	v_bfi_b32 v55, v1, 0, 0
	v_bfi_b32 v54, v0, 0, v2
	v_lshrrev_b64 v[0:1], v30, v[2:3]
	s_delay_alu instid0(VALU_DEP_1) | instskip(NEXT) | instid1(VALU_DEP_3)
	v_mov_b64_e32 v[2:3], v[0:1]
	v_cmpx_eq_u64_e64 v[54:55], v[52:53]
; %bb.194:                              ;   in Loop: Header=BB6_130 Depth=2
	v_bfe_u32 v2, v0, 21, 1
	v_mov_b32_e32 v3, v5
	s_delay_alu instid0(VALU_DEP_1) | instskip(NEXT) | instid1(VALU_DEP_1)
	v_add_nc_u64_e32 v[2:3], v[0:1], v[2:3]
	v_add_nc_u64_e32 v[2:3], -1, v[2:3]
; %bb.195:                              ;   in Loop: Header=BB6_130 Depth=2
	s_or_b32 exec_lo, exec_lo, s28
	v_add_nc_u32_e32 v1, 0xffffff81, v8
	v_lshrrev_b32_e32 v3, 23, v0
	s_mov_b32 s10, exec_lo
	s_delay_alu instid0(VALU_DEP_2) | instskip(NEXT) | instid1(VALU_DEP_1)
	v_cndmask_b32_e64 v1, v1, 0xffffff82, vcc_lo
	v_add3_u32 v3, v30, v1, v3
	v_and_b32_e32 v1, 0x1fffff, v2
                                        ; implicit-def: $vgpr2
	s_delay_alu instid0(VALU_DEP_1) | instskip(NEXT) | instid1(VALU_DEP_1)
	v_dual_add_nc_u32 v8, 14, v3 :: v_dual_add_nc_u32 v4, v1, v0
                                        ; implicit-def: $vgpr0_vgpr1
	v_cmpx_ne_u32_e32 0, v8
	s_xor_b32 s10, exec_lo, s10
; %bb.196:                              ;   in Loop: Header=BB6_130 Depth=2
	s_delay_alu instid0(VALU_DEP_2) | instskip(SKIP_1) | instid1(VALU_DEP_1)
	v_cmp_lt_u64_e32 vcc_lo, 0xffffff, v[4:5]
	v_add_nc_u32_e32 v0, 15, v3
	v_cndmask_b32_e32 v2, v8, v0, vcc_lo
	v_cndmask_b32_e64 v0, 0, 1, vcc_lo
	s_delay_alu instid0(VALU_DEP_1)
	v_lshrrev_b64 v[0:1], v0, v[4:5]
; %bb.197:                              ;   in Loop: Header=BB6_130 Depth=2
	s_and_not1_saveexec_b32 s10, s10
; %bb.198:                              ;   in Loop: Header=BB6_130 Depth=2
	v_mov_b64_e32 v[0:1], v[4:5]
	v_bfe_u32 v2, v4, 23, 1
; %bb.199:                              ;   in Loop: Header=BB6_130 Depth=2
	s_or_b32 exec_lo, exec_lo, s10
	s_delay_alu instid0(VALU_DEP_2) | instskip(NEXT) | instid1(VALU_DEP_2)
	v_lshrrev_b64 v[0:1], 21, v[0:1]
	v_cmp_gt_i32_e32 vcc_lo, 32, v2
	v_min_i32_e32 v3, 31, v2
	v_cmp_eq_u32_e64 s10, 0, v2
	s_delay_alu instid0(VALU_DEP_2) | instskip(SKIP_1) | instid1(VALU_DEP_2)
	v_dual_cndmask_b32 v1, 0, v1, vcc_lo :: v_dual_lshlrev_b32 v3, 2, v3
	v_cndmask_b32_e32 v0, 3, v0, vcc_lo
	v_and_b32_e32 v3, 0xfc, v3
	s_delay_alu instid0(VALU_DEP_2) | instskip(NEXT) | instid1(VALU_DEP_2)
	v_cmp_eq_u64_e32 vcc_lo, 0, v[0:1]
	v_and_or_b32 v0, v0, 3, v3
	s_and_b32 s10, s10, vcc_lo
	s_delay_alu instid0(VALU_DEP_1) | instid1(SALU_CYCLE_1)
	v_cndmask_b32_e64 v0, v0, 0, s10
	s_delay_alu instid0(VALU_DEP_1)
	v_or_b32_e32 v8, v0, v9
.LBB6_200:                              ;   in Loop: Header=BB6_130 Depth=2
	s_or_b32 exec_lo, exec_lo, s27
                                        ; implicit-def: $vgpr9
.LBB6_201:                              ;   in Loop: Header=BB6_130 Depth=2
	s_and_not1_saveexec_b32 s10, s26
; %bb.202:                              ;   in Loop: Header=BB6_130 Depth=2
	v_or_b32_e32 v8, 0x7b, v9
; %bb.203:                              ;   in Loop: Header=BB6_130 Depth=2
	s_or_b32 exec_lo, exec_lo, s10
                                        ; implicit-def: $vgpr0
                                        ; implicit-def: $vgpr1
.LBB6_204:                              ;   in Loop: Header=BB6_130 Depth=2
	s_and_not1_saveexec_b32 s10, s25
	s_cbranch_execz .LBB6_210
; %bb.205:                              ;   in Loop: Header=BB6_130 Depth=2
	s_mov_b32 s25, exec_lo
                                        ; implicit-def: $vgpr8
	v_cmpx_ne_u64_e32 0, v[4:5]
	s_xor_b32 s25, exec_lo, s25
; %bb.206:                              ;   in Loop: Header=BB6_130 Depth=2
	v_or_b32_e32 v8, 0x7f, v1
                                        ; implicit-def: $vgpr0
; %bb.207:                              ;   in Loop: Header=BB6_130 Depth=2
	s_and_not1_saveexec_b32 s25, s25
; %bb.208:                              ;   in Loop: Header=BB6_130 Depth=2
	v_cmp_lt_i32_e32 vcc_lo, -1, v0
	v_cndmask_b32_e32 v8, 0xfc, v108, vcc_lo
; %bb.209:                              ;   in Loop: Header=BB6_130 Depth=2
	s_or_b32 exec_lo, exec_lo, s25
.LBB6_210:                              ;   in Loop: Header=BB6_130 Depth=2
	s_delay_alu instid0(SALU_CYCLE_1) | instskip(SKIP_3) | instid1(VALU_DEP_2)
	s_or_b32 exec_lo, exec_lo, s10
	v_dual_mov_b32 v1, 0 :: v_dual_lshrrev_b32 v0, 16, v48
	v_mov_b32_e32 v2, 0
	s_mov_b32 s10, exec_lo
	v_and_b32_e32 v3, 0xff, v0
	s_delay_alu instid0(VALU_DEP_1)
	v_cmpx_ne_u16_e32 0, v3
	s_cbranch_execz .LBB6_220
; %bb.211:                              ;   in Loop: Header=BB6_130 Depth=2
	v_bfrev_b32_e32 v2, 1
	s_mov_b32 s25, exec_lo
	v_cmpx_ne_u16_e32 0x80, v3
	s_cbranch_execz .LBB6_219
; %bb.212:                              ;   in Loop: Header=BB6_130 Depth=2
	v_and_b32_e32 v2, 0x7c0000, v48
	v_bfe_u32 v3, v48, 16, 2
	s_delay_alu instid0(VALU_DEP_2) | instskip(SKIP_1) | instid1(SALU_CYCLE_1)
	v_cmp_ne_u32_e32 vcc_lo, 0x7c0000, v2
                                        ; implicit-def: $vgpr2
	s_and_saveexec_b32 s26, vcc_lo
	s_xor_b32 s26, exec_lo, s26
	s_cbranch_execz .LBB6_216
; %bb.213:                              ;   in Loop: Header=BB6_130 Depth=2
	v_bfe_u32 v2, v48, 18, 5
	s_mov_b32 s27, exec_lo
	s_delay_alu instid0(VALU_DEP_1)
	v_cmpx_eq_u32_e32 0, v2
; %bb.214:                              ;   in Loop: Header=BB6_130 Depth=2
	v_clz_i32_u32_e32 v2, v3
	s_delay_alu instid0(VALU_DEP_1) | instskip(NEXT) | instid1(VALU_DEP_1)
	v_min_u32_e32 v2, 32, v2
	v_subrev_nc_u32_e32 v3, 29, v2
	v_sub_nc_u32_e32 v2, 30, v2
	s_delay_alu instid0(VALU_DEP_2) | instskip(NEXT) | instid1(VALU_DEP_1)
	v_lshlrev_b64_e32 v[30:31], v3, v[0:1]
	v_and_b32_e32 v3, 3, v30
; %bb.215:                              ;   in Loop: Header=BB6_130 Depth=2
	s_or_b32 exec_lo, exec_lo, s27
	v_lshlrev_b32_e32 v0, 24, v0
	s_delay_alu instid0(VALU_DEP_1) | instskip(NEXT) | instid1(VALU_DEP_1)
	v_and_b32_e32 v0, 0x80000000, v0
	v_lshl_add_u32 v0, v2, 23, v0
	s_delay_alu instid0(VALU_DEP_1) | instskip(NEXT) | instid1(VALU_DEP_1)
	v_lshl_or_b32 v0, v3, 21, v0
                                        ; implicit-def: $vgpr3
	v_add_nc_u32_e32 v2, 0x38000000, v0
                                        ; implicit-def: $vgpr0
.LBB6_216:                              ;   in Loop: Header=BB6_130 Depth=2
	s_and_not1_saveexec_b32 s26, s26
; %bb.217:                              ;   in Loop: Header=BB6_130 Depth=2
	v_bfe_i32 v0, v0, 0, 8
	s_delay_alu instid0(VALU_DEP_1) | instskip(SKIP_2) | instid1(VALU_DEP_2)
	v_cmp_lt_i16_e32 vcc_lo, -1, v0
	v_cndmask_b32_e32 v0, 0xff800000, v109, vcc_lo
	v_cmp_eq_u32_e32 vcc_lo, 0, v3
	v_cndmask_b32_e32 v2, 0x7f800001, v0, vcc_lo
; %bb.218:                              ;   in Loop: Header=BB6_130 Depth=2
	s_or_b32 exec_lo, exec_lo, s26
.LBB6_219:                              ;   in Loop: Header=BB6_130 Depth=2
	s_delay_alu instid0(SALU_CYCLE_1)
	s_or_b32 exec_lo, exec_lo, s25
.LBB6_220:                              ;   in Loop: Header=BB6_130 Depth=2
	s_delay_alu instid0(SALU_CYCLE_1) | instskip(SKIP_2) | instid1(VALU_DEP_1)
	s_or_b32 exec_lo, exec_lo, s10
	v_lshrrev_b32_e32 v0, 16, v36
	s_mov_b32 s10, exec_lo
	v_and_b32_e32 v3, 0xff, v0
	s_delay_alu instid0(VALU_DEP_1)
	v_cmpx_ne_u16_e32 0, v3
	s_cbranch_execz .LBB6_230
; %bb.221:                              ;   in Loop: Header=BB6_130 Depth=2
	v_bfrev_b32_e32 v1, 1
	s_mov_b32 s25, exec_lo
	v_cmpx_ne_u16_e32 0x80, v3
	s_cbranch_execz .LBB6_229
; %bb.222:                              ;   in Loop: Header=BB6_130 Depth=2
	v_and_b32_e32 v1, 0x7c0000, v36
	v_bfe_u32 v3, v36, 16, 2
	s_delay_alu instid0(VALU_DEP_2) | instskip(SKIP_1) | instid1(SALU_CYCLE_1)
	v_cmp_ne_u32_e32 vcc_lo, 0x7c0000, v1
                                        ; implicit-def: $vgpr1
	s_and_saveexec_b32 s26, vcc_lo
	s_xor_b32 s26, exec_lo, s26
	s_cbranch_execz .LBB6_226
; %bb.223:                              ;   in Loop: Header=BB6_130 Depth=2
	v_bfe_u32 v1, v36, 18, 5
	s_mov_b32 s27, exec_lo
	s_delay_alu instid0(VALU_DEP_1)
	v_cmpx_eq_u32_e32 0, v1
; %bb.224:                              ;   in Loop: Header=BB6_130 Depth=2
	v_clz_i32_u32_e32 v1, v3
	s_delay_alu instid0(VALU_DEP_1) | instskip(NEXT) | instid1(VALU_DEP_1)
	v_min_u32_e32 v1, 32, v1
	v_subrev_nc_u32_e32 v3, 29, v1
	s_delay_alu instid0(VALU_DEP_1) | instskip(NEXT) | instid1(VALU_DEP_1)
	v_lshlrev_b64_e32 v[30:31], v3, v[0:1]
	v_dual_sub_nc_u32 v1, 30, v1 :: v_dual_bitop2_b32 v3, 3, v30 bitop3:0x40
; %bb.225:                              ;   in Loop: Header=BB6_130 Depth=2
	s_or_b32 exec_lo, exec_lo, s27
	v_lshlrev_b32_e32 v0, 24, v0
	s_delay_alu instid0(VALU_DEP_1) | instskip(NEXT) | instid1(VALU_DEP_1)
	v_and_b32_e32 v0, 0x80000000, v0
	v_lshl_add_u32 v0, v1, 23, v0
	s_delay_alu instid0(VALU_DEP_1) | instskip(NEXT) | instid1(VALU_DEP_1)
	v_lshl_or_b32 v0, v3, 21, v0
                                        ; implicit-def: $vgpr3
	v_add_nc_u32_e32 v1, 0x38000000, v0
                                        ; implicit-def: $vgpr0
.LBB6_226:                              ;   in Loop: Header=BB6_130 Depth=2
	s_and_not1_saveexec_b32 s26, s26
; %bb.227:                              ;   in Loop: Header=BB6_130 Depth=2
	v_bfe_i32 v0, v0, 0, 8
	s_delay_alu instid0(VALU_DEP_1) | instskip(SKIP_2) | instid1(VALU_DEP_2)
	v_cmp_lt_i16_e32 vcc_lo, -1, v0
	v_cndmask_b32_e32 v0, 0xff800000, v109, vcc_lo
	v_cmp_eq_u32_e32 vcc_lo, 0, v3
	v_cndmask_b32_e32 v1, 0x7f800001, v0, vcc_lo
; %bb.228:                              ;   in Loop: Header=BB6_130 Depth=2
	s_or_b32 exec_lo, exec_lo, s26
.LBB6_229:                              ;   in Loop: Header=BB6_130 Depth=2
	s_delay_alu instid0(SALU_CYCLE_1)
	s_or_b32 exec_lo, exec_lo, s25
.LBB6_230:                              ;   in Loop: Header=BB6_130 Depth=2
	s_delay_alu instid0(SALU_CYCLE_1) | instskip(NEXT) | instid1(VALU_DEP_1)
	s_or_b32 exec_lo, exec_lo, s10
	v_dual_mul_f32 v0, v2, v1 :: v_dual_mov_b32 v3, v5
                                        ; implicit-def: $vgpr9
	s_mov_b32 s10, exec_lo
	s_delay_alu instid0(VALU_DEP_1) | instskip(SKIP_2) | instid1(VALU_DEP_3)
	v_and_b32_e32 v2, 0x7f800000, v0
	v_and_b32_e32 v4, 0x7fffff, v0
	v_lshrrev_b32_e32 v1, 24, v0
	v_cmpx_ne_u64_e32 0x7f800000, v[2:3]
	s_xor_b32 s25, exec_lo, s10
	s_cbranch_execz .LBB6_244
; %bb.231:                              ;   in Loop: Header=BB6_130 Depth=2
	v_and_b32_e32 v2, 0x7fffffff, v0
	v_mov_b32_e32 v3, v5
	v_and_b32_e32 v30, 0x80, v1
                                        ; implicit-def: $vgpr9
	s_mov_b32 s10, exec_lo
	s_delay_alu instid0(VALU_DEP_2)
	v_cmpx_gt_u64_e32 0x47600001, v[2:3]
	s_xor_b32 s26, exec_lo, s10
	s_cbranch_execz .LBB6_241
; %bb.232:                              ;   in Loop: Header=BB6_130 Depth=2
	v_mov_b32_e32 v9, 0
	s_mov_b32 s27, exec_lo
	v_cmpx_ne_u32_e32 0, v0
	s_cbranch_execz .LBB6_240
; %bb.233:                              ;   in Loop: Header=BB6_130 Depth=2
	v_bfe_u32 v9, v0, 23, 8
	v_or_b32_e32 v2, 0x800000, v4
	s_mov_b32 s28, exec_lo
	s_delay_alu instid0(VALU_DEP_2) | instskip(SKIP_1) | instid1(VALU_DEP_2)
	v_dual_mov_b32 v3, v5 :: v_dual_sub_nc_u32 v0, 0x71, v9
	v_cmp_gt_u32_e32 vcc_lo, 0x72, v9
	v_cndmask_b32_e32 v0, 0, v0, vcc_lo
	v_cmp_eq_u32_e32 vcc_lo, 0, v9
	s_delay_alu instid0(VALU_DEP_2) | instskip(NEXT) | instid1(VALU_DEP_1)
	v_cndmask_b32_e64 v31, v0, 0x70, vcc_lo
	v_dual_cndmask_b32 v2, v2, v4, vcc_lo :: v_dual_add_nc_u32 v0, 21, v31
	v_add_nc_u32_e32 v52, 20, v31
	s_delay_alu instid0(VALU_DEP_2) | instskip(NEXT) | instid1(VALU_DEP_2)
	v_lshlrev_b64_e64 v[0:1], v0, -1
	v_lshlrev_b64_e64 v[52:53], v52, 1
	s_delay_alu instid0(VALU_DEP_2) | instskip(NEXT) | instid1(VALU_DEP_3)
	v_bfi_b32 v55, v1, 0, 0
	v_bfi_b32 v54, v0, 0, v2
	v_lshrrev_b64 v[0:1], v31, v[2:3]
	s_delay_alu instid0(VALU_DEP_1) | instskip(NEXT) | instid1(VALU_DEP_3)
	v_mov_b64_e32 v[2:3], v[0:1]
	v_cmpx_eq_u64_e64 v[54:55], v[52:53]
; %bb.234:                              ;   in Loop: Header=BB6_130 Depth=2
	v_bfe_u32 v2, v0, 21, 1
	v_mov_b32_e32 v3, v5
	s_delay_alu instid0(VALU_DEP_1) | instskip(NEXT) | instid1(VALU_DEP_1)
	v_add_nc_u64_e32 v[2:3], v[0:1], v[2:3]
	v_add_nc_u64_e32 v[2:3], -1, v[2:3]
; %bb.235:                              ;   in Loop: Header=BB6_130 Depth=2
	s_or_b32 exec_lo, exec_lo, s28
	v_add_nc_u32_e32 v1, 0xffffff81, v9
	v_lshrrev_b32_e32 v3, 23, v0
	s_mov_b32 s10, exec_lo
	s_delay_alu instid0(VALU_DEP_2) | instskip(NEXT) | instid1(VALU_DEP_1)
	v_cndmask_b32_e64 v1, v1, 0xffffff82, vcc_lo
	v_add3_u32 v3, v31, v1, v3
	v_and_b32_e32 v1, 0x1fffff, v2
                                        ; implicit-def: $vgpr2
	s_delay_alu instid0(VALU_DEP_1) | instskip(NEXT) | instid1(VALU_DEP_1)
	v_dual_add_nc_u32 v9, 14, v3 :: v_dual_add_nc_u32 v4, v1, v0
                                        ; implicit-def: $vgpr0_vgpr1
	v_cmpx_ne_u32_e32 0, v9
	s_xor_b32 s10, exec_lo, s10
; %bb.236:                              ;   in Loop: Header=BB6_130 Depth=2
	s_delay_alu instid0(VALU_DEP_2) | instskip(SKIP_1) | instid1(VALU_DEP_1)
	v_cmp_lt_u64_e32 vcc_lo, 0xffffff, v[4:5]
	v_add_nc_u32_e32 v0, 15, v3
	v_cndmask_b32_e32 v2, v9, v0, vcc_lo
	v_cndmask_b32_e64 v0, 0, 1, vcc_lo
	s_delay_alu instid0(VALU_DEP_1)
	v_lshrrev_b64 v[0:1], v0, v[4:5]
; %bb.237:                              ;   in Loop: Header=BB6_130 Depth=2
	s_and_not1_saveexec_b32 s10, s10
; %bb.238:                              ;   in Loop: Header=BB6_130 Depth=2
	v_mov_b64_e32 v[0:1], v[4:5]
	v_bfe_u32 v2, v4, 23, 1
; %bb.239:                              ;   in Loop: Header=BB6_130 Depth=2
	s_or_b32 exec_lo, exec_lo, s10
	s_delay_alu instid0(VALU_DEP_2) | instskip(NEXT) | instid1(VALU_DEP_2)
	v_lshrrev_b64 v[0:1], 21, v[0:1]
	v_cmp_gt_i32_e32 vcc_lo, 32, v2
	v_min_i32_e32 v3, 31, v2
	v_cmp_eq_u32_e64 s10, 0, v2
	s_delay_alu instid0(VALU_DEP_2) | instskip(SKIP_1) | instid1(VALU_DEP_2)
	v_dual_cndmask_b32 v1, 0, v1, vcc_lo :: v_dual_lshlrev_b32 v3, 2, v3
	v_cndmask_b32_e32 v0, 3, v0, vcc_lo
	v_and_b32_e32 v3, 0xfc, v3
	s_delay_alu instid0(VALU_DEP_2) | instskip(NEXT) | instid1(VALU_DEP_2)
	v_cmp_eq_u64_e32 vcc_lo, 0, v[0:1]
	v_and_or_b32 v0, v0, 3, v3
	s_and_b32 s10, s10, vcc_lo
	s_delay_alu instid0(VALU_DEP_1) | instid1(SALU_CYCLE_1)
	v_cndmask_b32_e64 v0, v0, 0, s10
	s_delay_alu instid0(VALU_DEP_1)
	v_or_b32_e32 v9, v0, v30
.LBB6_240:                              ;   in Loop: Header=BB6_130 Depth=2
	s_or_b32 exec_lo, exec_lo, s27
                                        ; implicit-def: $vgpr30
.LBB6_241:                              ;   in Loop: Header=BB6_130 Depth=2
	s_and_not1_saveexec_b32 s10, s26
; %bb.242:                              ;   in Loop: Header=BB6_130 Depth=2
	v_or_b32_e32 v9, 0x7b, v30
; %bb.243:                              ;   in Loop: Header=BB6_130 Depth=2
	s_or_b32 exec_lo, exec_lo, s10
                                        ; implicit-def: $vgpr0
                                        ; implicit-def: $vgpr1
.LBB6_244:                              ;   in Loop: Header=BB6_130 Depth=2
	s_and_not1_saveexec_b32 s10, s25
	s_cbranch_execz .LBB6_250
; %bb.245:                              ;   in Loop: Header=BB6_130 Depth=2
	s_mov_b32 s25, exec_lo
                                        ; implicit-def: $vgpr9
	v_cmpx_ne_u64_e32 0, v[4:5]
	s_xor_b32 s25, exec_lo, s25
; %bb.246:                              ;   in Loop: Header=BB6_130 Depth=2
	v_or_b32_e32 v9, 0x7f, v1
                                        ; implicit-def: $vgpr0
; %bb.247:                              ;   in Loop: Header=BB6_130 Depth=2
	s_and_not1_saveexec_b32 s25, s25
; %bb.248:                              ;   in Loop: Header=BB6_130 Depth=2
	v_cmp_lt_i32_e32 vcc_lo, -1, v0
	v_cndmask_b32_e32 v9, 0xfc, v108, vcc_lo
; %bb.249:                              ;   in Loop: Header=BB6_130 Depth=2
	s_or_b32 exec_lo, exec_lo, s25
.LBB6_250:                              ;   in Loop: Header=BB6_130 Depth=2
	s_delay_alu instid0(SALU_CYCLE_1)
	s_or_b32 exec_lo, exec_lo, s10
	v_dual_mov_b32 v1, 0 :: v_dual_mov_b32 v2, 0
	s_mov_b32 s10, exec_lo
	v_cmpx_lt_u32_e32 0xffffff, v48
	s_cbranch_execz .LBB6_260
; %bb.251:                              ;   in Loop: Header=BB6_130 Depth=2
	v_lshrrev_b32_e32 v0, 24, v48
	v_bfrev_b32_e32 v2, 1
	s_mov_b32 s25, exec_lo
	s_delay_alu instid0(VALU_DEP_2)
	v_cmpx_ne_u32_e32 0x80, v0
	s_cbranch_execz .LBB6_259
; %bb.252:                              ;   in Loop: Header=BB6_130 Depth=2
	v_and_b32_e32 v2, 0x7c000000, v48
	v_bfe_u32 v3, v48, 24, 2
	s_delay_alu instid0(VALU_DEP_2) | instskip(SKIP_1) | instid1(SALU_CYCLE_1)
	v_cmp_ne_u32_e32 vcc_lo, 0x7c000000, v2
                                        ; implicit-def: $vgpr2
	s_and_saveexec_b32 s26, vcc_lo
	s_xor_b32 s26, exec_lo, s26
	s_cbranch_execz .LBB6_256
; %bb.253:                              ;   in Loop: Header=BB6_130 Depth=2
	v_bfe_u32 v2, v48, 26, 5
	s_mov_b32 s27, exec_lo
	s_delay_alu instid0(VALU_DEP_1)
	v_cmpx_eq_u32_e32 0, v2
; %bb.254:                              ;   in Loop: Header=BB6_130 Depth=2
	v_clz_i32_u32_e32 v2, v3
	s_delay_alu instid0(VALU_DEP_1) | instskip(NEXT) | instid1(VALU_DEP_1)
	v_min_u32_e32 v2, 32, v2
	v_subrev_nc_u32_e32 v3, 29, v2
	v_sub_nc_u32_e32 v2, 30, v2
	s_delay_alu instid0(VALU_DEP_2) | instskip(NEXT) | instid1(VALU_DEP_1)
	v_lshlrev_b64_e32 v[30:31], v3, v[0:1]
	v_and_b32_e32 v3, 3, v30
; %bb.255:                              ;   in Loop: Header=BB6_130 Depth=2
	s_or_b32 exec_lo, exec_lo, s27
	v_and_b32_e32 v0, 0x80000000, v48
	s_delay_alu instid0(VALU_DEP_1) | instskip(NEXT) | instid1(VALU_DEP_1)
	v_lshl_add_u32 v0, v2, 23, v0
	v_lshl_or_b32 v0, v3, 21, v0
                                        ; implicit-def: $vgpr3
	s_delay_alu instid0(VALU_DEP_1)
	v_add_nc_u32_e32 v2, 0x38000000, v0
.LBB6_256:                              ;   in Loop: Header=BB6_130 Depth=2
	s_and_not1_saveexec_b32 s26, s26
; %bb.257:                              ;   in Loop: Header=BB6_130 Depth=2
	v_cmp_lt_i32_e32 vcc_lo, -1, v48
	v_cndmask_b32_e32 v0, 0xff800000, v109, vcc_lo
	v_cmp_eq_u32_e32 vcc_lo, 0, v3
	s_delay_alu instid0(VALU_DEP_2)
	v_cndmask_b32_e32 v2, 0x7f800001, v0, vcc_lo
; %bb.258:                              ;   in Loop: Header=BB6_130 Depth=2
	s_or_b32 exec_lo, exec_lo, s26
.LBB6_259:                              ;   in Loop: Header=BB6_130 Depth=2
	s_delay_alu instid0(SALU_CYCLE_1)
	s_or_b32 exec_lo, exec_lo, s25
.LBB6_260:                              ;   in Loop: Header=BB6_130 Depth=2
	s_delay_alu instid0(SALU_CYCLE_1) | instskip(NEXT) | instid1(SALU_CYCLE_1)
	s_or_b32 exec_lo, exec_lo, s10
	s_mov_b32 s10, exec_lo
	v_cmpx_lt_u32_e32 0xffffff, v36
	s_cbranch_execz .LBB6_270
; %bb.261:                              ;   in Loop: Header=BB6_130 Depth=2
	v_lshrrev_b32_e32 v0, 24, v36
	v_bfrev_b32_e32 v1, 1
	s_mov_b32 s25, exec_lo
	s_delay_alu instid0(VALU_DEP_2)
	v_cmpx_ne_u32_e32 0x80, v0
	s_cbranch_execz .LBB6_269
; %bb.262:                              ;   in Loop: Header=BB6_130 Depth=2
	v_and_b32_e32 v1, 0x7c000000, v36
	v_bfe_u32 v3, v36, 24, 2
	s_delay_alu instid0(VALU_DEP_2) | instskip(SKIP_1) | instid1(SALU_CYCLE_1)
	v_cmp_ne_u32_e32 vcc_lo, 0x7c000000, v1
                                        ; implicit-def: $vgpr1
	s_and_saveexec_b32 s26, vcc_lo
	s_xor_b32 s26, exec_lo, s26
	s_cbranch_execz .LBB6_266
; %bb.263:                              ;   in Loop: Header=BB6_130 Depth=2
	v_bfe_u32 v1, v36, 26, 5
	s_mov_b32 s27, exec_lo
	s_delay_alu instid0(VALU_DEP_1)
	v_cmpx_eq_u32_e32 0, v1
; %bb.264:                              ;   in Loop: Header=BB6_130 Depth=2
	v_clz_i32_u32_e32 v1, v3
	s_delay_alu instid0(VALU_DEP_1) | instskip(NEXT) | instid1(VALU_DEP_1)
	v_min_u32_e32 v3, 32, v1
	v_subrev_nc_u32_e32 v1, 29, v3
	s_delay_alu instid0(VALU_DEP_1) | instskip(NEXT) | instid1(VALU_DEP_1)
	v_lshlrev_b64_e32 v[0:1], v1, v[0:1]
	v_dual_sub_nc_u32 v1, 30, v3 :: v_dual_bitop2_b32 v3, 3, v0 bitop3:0x40
; %bb.265:                              ;   in Loop: Header=BB6_130 Depth=2
	s_or_b32 exec_lo, exec_lo, s27
	v_and_b32_e32 v0, 0x80000000, v36
	s_delay_alu instid0(VALU_DEP_1) | instskip(NEXT) | instid1(VALU_DEP_1)
	v_lshl_add_u32 v0, v1, 23, v0
	v_lshl_or_b32 v0, v3, 21, v0
                                        ; implicit-def: $vgpr3
	s_delay_alu instid0(VALU_DEP_1)
	v_add_nc_u32_e32 v1, 0x38000000, v0
.LBB6_266:                              ;   in Loop: Header=BB6_130 Depth=2
	s_and_not1_saveexec_b32 s26, s26
; %bb.267:                              ;   in Loop: Header=BB6_130 Depth=2
	v_cmp_lt_i32_e32 vcc_lo, -1, v36
	v_cndmask_b32_e32 v0, 0xff800000, v109, vcc_lo
	v_cmp_eq_u32_e32 vcc_lo, 0, v3
	s_delay_alu instid0(VALU_DEP_2)
	v_cndmask_b32_e32 v1, 0x7f800001, v0, vcc_lo
; %bb.268:                              ;   in Loop: Header=BB6_130 Depth=2
	s_or_b32 exec_lo, exec_lo, s26
.LBB6_269:                              ;   in Loop: Header=BB6_130 Depth=2
	s_delay_alu instid0(SALU_CYCLE_1)
	s_or_b32 exec_lo, exec_lo, s25
.LBB6_270:                              ;   in Loop: Header=BB6_130 Depth=2
	s_delay_alu instid0(SALU_CYCLE_1) | instskip(NEXT) | instid1(VALU_DEP_1)
	s_or_b32 exec_lo, exec_lo, s10
	v_dual_mul_f32 v0, v2, v1 :: v_dual_mov_b32 v3, v5
                                        ; implicit-def: $vgpr30
	s_mov_b32 s10, exec_lo
	s_delay_alu instid0(VALU_DEP_1) | instskip(SKIP_2) | instid1(VALU_DEP_3)
	v_and_b32_e32 v2, 0x7f800000, v0
	v_and_b32_e32 v4, 0x7fffff, v0
	v_lshrrev_b32_e32 v1, 24, v0
	v_cmpx_ne_u64_e32 0x7f800000, v[2:3]
	s_xor_b32 s25, exec_lo, s10
	s_cbranch_execz .LBB6_284
; %bb.271:                              ;   in Loop: Header=BB6_130 Depth=2
	v_and_b32_e32 v2, 0x7fffffff, v0
	v_mov_b32_e32 v3, v5
	v_and_b32_e32 v31, 0x80, v1
                                        ; implicit-def: $vgpr30
	s_mov_b32 s10, exec_lo
	s_delay_alu instid0(VALU_DEP_2)
	v_cmpx_gt_u64_e32 0x47600001, v[2:3]
	s_xor_b32 s26, exec_lo, s10
	s_cbranch_execz .LBB6_281
; %bb.272:                              ;   in Loop: Header=BB6_130 Depth=2
	v_mov_b32_e32 v30, 0
	s_mov_b32 s27, exec_lo
	v_cmpx_ne_u32_e32 0, v0
	s_cbranch_execz .LBB6_280
; %bb.273:                              ;   in Loop: Header=BB6_130 Depth=2
	v_bfe_u32 v30, v0, 23, 8
	v_or_b32_e32 v2, 0x800000, v4
	s_mov_b32 s28, exec_lo
	s_delay_alu instid0(VALU_DEP_2) | instskip(SKIP_1) | instid1(VALU_DEP_2)
	v_dual_mov_b32 v3, v5 :: v_dual_sub_nc_u32 v0, 0x71, v30
	v_cmp_gt_u32_e32 vcc_lo, 0x72, v30
	v_cndmask_b32_e32 v0, 0, v0, vcc_lo
	v_cmp_eq_u32_e32 vcc_lo, 0, v30
	s_delay_alu instid0(VALU_DEP_2) | instskip(SKIP_1) | instid1(VALU_DEP_2)
	v_cndmask_b32_e64 v52, v0, 0x70, vcc_lo
	v_cndmask_b32_e32 v2, v2, v4, vcc_lo
	v_dual_add_nc_u32 v0, 21, v52 :: v_dual_add_nc_u32 v53, 20, v52
	s_delay_alu instid0(VALU_DEP_1) | instskip(NEXT) | instid1(VALU_DEP_2)
	v_lshlrev_b64_e64 v[0:1], v0, -1
	v_lshlrev_b64_e64 v[54:55], v53, 1
	s_delay_alu instid0(VALU_DEP_2) | instskip(NEXT) | instid1(VALU_DEP_3)
	v_bfi_b32 v65, v1, 0, 0
	v_bfi_b32 v64, v0, 0, v2
	v_lshrrev_b64 v[0:1], v52, v[2:3]
	s_delay_alu instid0(VALU_DEP_1) | instskip(NEXT) | instid1(VALU_DEP_3)
	v_mov_b64_e32 v[2:3], v[0:1]
	v_cmpx_eq_u64_e64 v[64:65], v[54:55]
; %bb.274:                              ;   in Loop: Header=BB6_130 Depth=2
	v_bfe_u32 v2, v0, 21, 1
	v_mov_b32_e32 v3, v5
	s_delay_alu instid0(VALU_DEP_1) | instskip(NEXT) | instid1(VALU_DEP_1)
	v_add_nc_u64_e32 v[2:3], v[0:1], v[2:3]
	v_add_nc_u64_e32 v[2:3], -1, v[2:3]
; %bb.275:                              ;   in Loop: Header=BB6_130 Depth=2
	s_or_b32 exec_lo, exec_lo, s28
	v_add_nc_u32_e32 v1, 0xffffff81, v30
	v_lshrrev_b32_e32 v3, 23, v0
	s_mov_b32 s10, exec_lo
	s_delay_alu instid0(VALU_DEP_2) | instskip(NEXT) | instid1(VALU_DEP_1)
	v_cndmask_b32_e64 v1, v1, 0xffffff82, vcc_lo
	v_add3_u32 v3, v52, v1, v3
	v_and_b32_e32 v1, 0x1fffff, v2
                                        ; implicit-def: $vgpr2
	s_delay_alu instid0(VALU_DEP_1) | instskip(NEXT) | instid1(VALU_DEP_1)
	v_dual_add_nc_u32 v30, 14, v3 :: v_dual_add_nc_u32 v4, v1, v0
                                        ; implicit-def: $vgpr0_vgpr1
	v_cmpx_ne_u32_e32 0, v30
	s_xor_b32 s10, exec_lo, s10
; %bb.276:                              ;   in Loop: Header=BB6_130 Depth=2
	s_delay_alu instid0(VALU_DEP_2) | instskip(SKIP_1) | instid1(VALU_DEP_1)
	v_cmp_lt_u64_e32 vcc_lo, 0xffffff, v[4:5]
	v_add_nc_u32_e32 v0, 15, v3
	v_cndmask_b32_e32 v2, v30, v0, vcc_lo
	v_cndmask_b32_e64 v0, 0, 1, vcc_lo
	s_delay_alu instid0(VALU_DEP_1)
	v_lshrrev_b64 v[0:1], v0, v[4:5]
; %bb.277:                              ;   in Loop: Header=BB6_130 Depth=2
	s_and_not1_saveexec_b32 s10, s10
; %bb.278:                              ;   in Loop: Header=BB6_130 Depth=2
	v_mov_b64_e32 v[0:1], v[4:5]
	v_bfe_u32 v2, v4, 23, 1
; %bb.279:                              ;   in Loop: Header=BB6_130 Depth=2
	s_or_b32 exec_lo, exec_lo, s10
	s_delay_alu instid0(VALU_DEP_2) | instskip(NEXT) | instid1(VALU_DEP_2)
	v_lshrrev_b64 v[0:1], 21, v[0:1]
	v_cmp_gt_i32_e32 vcc_lo, 32, v2
	v_min_i32_e32 v3, 31, v2
	v_cmp_eq_u32_e64 s10, 0, v2
	s_delay_alu instid0(VALU_DEP_2) | instskip(SKIP_1) | instid1(VALU_DEP_2)
	v_dual_cndmask_b32 v1, 0, v1, vcc_lo :: v_dual_lshlrev_b32 v3, 2, v3
	v_cndmask_b32_e32 v0, 3, v0, vcc_lo
	v_and_b32_e32 v3, 0xfc, v3
	s_delay_alu instid0(VALU_DEP_2) | instskip(NEXT) | instid1(VALU_DEP_2)
	v_cmp_eq_u64_e32 vcc_lo, 0, v[0:1]
	v_and_or_b32 v0, v0, 3, v3
	s_and_b32 s10, s10, vcc_lo
	s_delay_alu instid0(VALU_DEP_1) | instid1(SALU_CYCLE_1)
	v_cndmask_b32_e64 v0, v0, 0, s10
	s_delay_alu instid0(VALU_DEP_1)
	v_or_b32_e32 v30, v0, v31
.LBB6_280:                              ;   in Loop: Header=BB6_130 Depth=2
	s_or_b32 exec_lo, exec_lo, s27
                                        ; implicit-def: $vgpr31
.LBB6_281:                              ;   in Loop: Header=BB6_130 Depth=2
	s_and_not1_saveexec_b32 s10, s26
; %bb.282:                              ;   in Loop: Header=BB6_130 Depth=2
	v_or_b32_e32 v30, 0x7b, v31
; %bb.283:                              ;   in Loop: Header=BB6_130 Depth=2
	s_or_b32 exec_lo, exec_lo, s10
                                        ; implicit-def: $vgpr0
                                        ; implicit-def: $vgpr1
.LBB6_284:                              ;   in Loop: Header=BB6_130 Depth=2
	s_and_not1_saveexec_b32 s10, s25
	s_cbranch_execz .LBB6_290
; %bb.285:                              ;   in Loop: Header=BB6_130 Depth=2
	s_mov_b32 s25, exec_lo
                                        ; implicit-def: $vgpr30
	v_cmpx_ne_u64_e32 0, v[4:5]
	s_xor_b32 s25, exec_lo, s25
; %bb.286:                              ;   in Loop: Header=BB6_130 Depth=2
	v_or_b32_e32 v30, 0x7f, v1
                                        ; implicit-def: $vgpr0
; %bb.287:                              ;   in Loop: Header=BB6_130 Depth=2
	s_and_not1_saveexec_b32 s25, s25
; %bb.288:                              ;   in Loop: Header=BB6_130 Depth=2
	v_cmp_lt_i32_e32 vcc_lo, -1, v0
	v_cndmask_b32_e32 v30, 0xfc, v108, vcc_lo
; %bb.289:                              ;   in Loop: Header=BB6_130 Depth=2
	s_or_b32 exec_lo, exec_lo, s25
.LBB6_290:                              ;   in Loop: Header=BB6_130 Depth=2
	s_delay_alu instid0(SALU_CYCLE_1) | instskip(SKIP_4) | instid1(VALU_DEP_3)
	s_or_b32 exec_lo, exec_lo, s10
	v_and_b32_e32 v2, 0xff, v49
	v_dual_mov_b32 v4, v49 :: v_dual_mov_b32 v1, 0
	v_mov_b32_e32 v0, 0
	s_mov_b32 s10, exec_lo
	v_cmpx_ne_u16_e32 0, v2
	s_cbranch_execz .LBB6_300
; %bb.291:                              ;   in Loop: Header=BB6_130 Depth=2
	v_bfrev_b32_e32 v0, 1
	s_mov_b32 s25, exec_lo
	v_cmpx_ne_u16_e32 0x80, v2
	s_cbranch_execz .LBB6_299
; %bb.292:                              ;   in Loop: Header=BB6_130 Depth=2
	v_and_b32_e32 v0, 0x7c, v49
	v_and_b32_e32 v2, 3, v49
	s_delay_alu instid0(VALU_DEP_2) | instskip(SKIP_1) | instid1(SALU_CYCLE_1)
	v_cmp_ne_u32_e32 vcc_lo, 0x7c, v0
                                        ; implicit-def: $vgpr0
	s_and_saveexec_b32 s26, vcc_lo
	s_xor_b32 s26, exec_lo, s26
	s_cbranch_execz .LBB6_296
; %bb.293:                              ;   in Loop: Header=BB6_130 Depth=2
	v_bfe_u32 v0, v49, 2, 5
	s_mov_b32 s27, exec_lo
	s_delay_alu instid0(VALU_DEP_1)
	v_cmpx_eq_u32_e32 0, v0
; %bb.294:                              ;   in Loop: Header=BB6_130 Depth=2
	v_clz_i32_u32_e32 v0, v2
	s_delay_alu instid0(VALU_DEP_1) | instskip(NEXT) | instid1(VALU_DEP_1)
	v_min_u32_e32 v0, 32, v0
	v_subrev_nc_u32_e32 v2, 29, v0
	s_delay_alu instid0(VALU_DEP_1) | instskip(NEXT) | instid1(VALU_DEP_1)
	v_lshlrev_b64_e32 v[2:3], v2, v[4:5]
	v_dual_sub_nc_u32 v0, 30, v0 :: v_dual_bitop2_b32 v2, 3, v2 bitop3:0x40
; %bb.295:                              ;   in Loop: Header=BB6_130 Depth=2
	s_or_b32 exec_lo, exec_lo, s27
	v_lshlrev_b32_e32 v3, 24, v49
	s_delay_alu instid0(VALU_DEP_1) | instskip(NEXT) | instid1(VALU_DEP_1)
	v_and_b32_e32 v3, 0x80000000, v3
	v_lshl_add_u32 v0, v0, 23, v3
	s_delay_alu instid0(VALU_DEP_1) | instskip(NEXT) | instid1(VALU_DEP_1)
	v_lshl_or_b32 v0, v2, 21, v0
                                        ; implicit-def: $vgpr2
	v_add_nc_u32_e32 v0, 0x38000000, v0
.LBB6_296:                              ;   in Loop: Header=BB6_130 Depth=2
	s_and_not1_saveexec_b32 s26, s26
; %bb.297:                              ;   in Loop: Header=BB6_130 Depth=2
	v_bfe_i32 v0, v49, 0, 8
	s_delay_alu instid0(VALU_DEP_1) | instskip(SKIP_2) | instid1(VALU_DEP_2)
	v_cmp_lt_i16_e32 vcc_lo, -1, v0
	v_cndmask_b32_e32 v0, 0xff800000, v109, vcc_lo
	v_cmp_eq_u32_e32 vcc_lo, 0, v2
	v_cndmask_b32_e32 v0, 0x7f800001, v0, vcc_lo
; %bb.298:                              ;   in Loop: Header=BB6_130 Depth=2
	s_or_b32 exec_lo, exec_lo, s26
.LBB6_299:                              ;   in Loop: Header=BB6_130 Depth=2
	s_delay_alu instid0(SALU_CYCLE_1)
	s_or_b32 exec_lo, exec_lo, s25
.LBB6_300:                              ;   in Loop: Header=BB6_130 Depth=2
	s_delay_alu instid0(SALU_CYCLE_1) | instskip(SKIP_2) | instid1(VALU_DEP_1)
	s_or_b32 exec_lo, exec_lo, s10
	v_and_b32_e32 v2, 0xff, v37
	s_mov_b32 s10, exec_lo
	v_cmpx_ne_u16_e32 0, v2
	s_cbranch_execz .LBB6_310
; %bb.301:                              ;   in Loop: Header=BB6_130 Depth=2
	v_bfrev_b32_e32 v1, 1
	s_mov_b32 s25, exec_lo
	v_cmpx_ne_u16_e32 0x80, v2
	s_cbranch_execz .LBB6_309
; %bb.302:                              ;   in Loop: Header=BB6_130 Depth=2
	v_and_b32_e32 v1, 0x7c, v37
	v_and_b32_e32 v2, 3, v37
	s_delay_alu instid0(VALU_DEP_2) | instskip(SKIP_1) | instid1(SALU_CYCLE_1)
	v_cmp_ne_u32_e32 vcc_lo, 0x7c, v1
                                        ; implicit-def: $vgpr1
	s_and_saveexec_b32 s26, vcc_lo
	s_xor_b32 s26, exec_lo, s26
	s_cbranch_execz .LBB6_306
; %bb.303:                              ;   in Loop: Header=BB6_130 Depth=2
	v_bfe_u32 v1, v37, 2, 5
	s_mov_b32 s27, exec_lo
	s_delay_alu instid0(VALU_DEP_1)
	v_cmpx_eq_u32_e32 0, v1
; %bb.304:                              ;   in Loop: Header=BB6_130 Depth=2
	v_clz_i32_u32_e32 v1, v2
	v_dual_mov_b32 v2, v37 :: v_dual_mov_b32 v3, v5
	s_delay_alu instid0(VALU_DEP_2) | instskip(NEXT) | instid1(VALU_DEP_1)
	v_min_u32_e32 v1, 32, v1
	v_subrev_nc_u32_e32 v31, 29, v1
	s_delay_alu instid0(VALU_DEP_1) | instskip(NEXT) | instid1(VALU_DEP_1)
	v_lshlrev_b64_e32 v[2:3], v31, v[2:3]
	v_dual_sub_nc_u32 v1, 30, v1 :: v_dual_bitop2_b32 v2, 3, v2 bitop3:0x40
; %bb.305:                              ;   in Loop: Header=BB6_130 Depth=2
	s_or_b32 exec_lo, exec_lo, s27
	v_lshlrev_b32_e32 v3, 24, v37
	s_delay_alu instid0(VALU_DEP_1) | instskip(NEXT) | instid1(VALU_DEP_1)
	v_and_b32_e32 v3, 0x80000000, v3
	v_lshl_add_u32 v1, v1, 23, v3
	s_delay_alu instid0(VALU_DEP_1) | instskip(NEXT) | instid1(VALU_DEP_1)
	v_lshl_or_b32 v1, v2, 21, v1
                                        ; implicit-def: $vgpr2
	v_add_nc_u32_e32 v1, 0x38000000, v1
.LBB6_306:                              ;   in Loop: Header=BB6_130 Depth=2
	s_and_not1_saveexec_b32 s26, s26
; %bb.307:                              ;   in Loop: Header=BB6_130 Depth=2
	v_bfe_i32 v1, v37, 0, 8
	s_delay_alu instid0(VALU_DEP_1) | instskip(SKIP_2) | instid1(VALU_DEP_2)
	v_cmp_lt_i16_e32 vcc_lo, -1, v1
	v_cndmask_b32_e32 v1, 0xff800000, v109, vcc_lo
	v_cmp_eq_u32_e32 vcc_lo, 0, v2
	v_cndmask_b32_e32 v1, 0x7f800001, v1, vcc_lo
; %bb.308:                              ;   in Loop: Header=BB6_130 Depth=2
	s_or_b32 exec_lo, exec_lo, s26
.LBB6_309:                              ;   in Loop: Header=BB6_130 Depth=2
	s_delay_alu instid0(SALU_CYCLE_1)
	s_or_b32 exec_lo, exec_lo, s25
.LBB6_310:                              ;   in Loop: Header=BB6_130 Depth=2
	s_delay_alu instid0(SALU_CYCLE_1) | instskip(NEXT) | instid1(VALU_DEP_1)
	s_or_b32 exec_lo, exec_lo, s10
	v_dual_mul_f32 v2, v0, v1 :: v_dual_mov_b32 v53, v5
	v_mov_b32_e32 v1, v5
                                        ; implicit-def: $vgpr31
	s_mov_b32 s10, exec_lo
	s_delay_alu instid0(VALU_DEP_2) | instskip(SKIP_2) | instid1(VALU_DEP_3)
	v_and_b32_e32 v52, 0x7f800000, v2
	v_and_b32_e32 v0, 0x7fffff, v2
	v_lshrrev_b32_e32 v3, 24, v2
	v_cmpx_ne_u64_e32 0x7f800000, v[52:53]
	s_xor_b32 s25, exec_lo, s10
	s_cbranch_execz .LBB6_324
; %bb.311:                              ;   in Loop: Header=BB6_130 Depth=2
	v_and_b32_e32 v52, 0x7fffffff, v2
	v_mov_b32_e32 v53, v5
                                        ; implicit-def: $vgpr31
	s_delay_alu instid0(VALU_DEP_1) | instskip(SKIP_2) | instid1(SALU_CYCLE_1)
	v_cmp_gt_u64_e32 vcc_lo, 0x47600001, v[52:53]
	v_and_b32_e32 v52, 0x80, v3
	s_and_saveexec_b32 s10, vcc_lo
	s_xor_b32 s26, exec_lo, s10
	s_cbranch_execz .LBB6_321
; %bb.312:                              ;   in Loop: Header=BB6_130 Depth=2
	v_mov_b32_e32 v31, 0
	s_mov_b32 s27, exec_lo
	v_cmpx_ne_u32_e32 0, v2
	s_cbranch_execz .LBB6_320
; %bb.313:                              ;   in Loop: Header=BB6_130 Depth=2
	v_bfe_u32 v31, v2, 23, 8
	v_or_b32_e32 v54, 0x800000, v0
	s_delay_alu instid0(VALU_DEP_2) | instskip(SKIP_1) | instid1(VALU_DEP_2)
	v_sub_nc_u32_e32 v2, 0x71, v31
	v_cmp_gt_u32_e32 vcc_lo, 0x72, v31
	v_cndmask_b32_e32 v2, 0, v2, vcc_lo
	v_cmp_eq_u32_e32 vcc_lo, 0, v31
	s_delay_alu instid0(VALU_DEP_2) | instskip(NEXT) | instid1(VALU_DEP_1)
	v_cndmask_b32_e64 v53, v2, 0x70, vcc_lo
	v_dual_cndmask_b32 v0, v54, v0, vcc_lo :: v_dual_add_nc_u32 v2, 21, v53
	v_add_nc_u32_e32 v55, 20, v53
	s_delay_alu instid0(VALU_DEP_2) | instskip(NEXT) | instid1(VALU_DEP_2)
	v_lshlrev_b64_e64 v[2:3], v2, -1
	v_lshlrev_b64_e64 v[54:55], v55, 1
	s_delay_alu instid0(VALU_DEP_2) | instskip(SKIP_1) | instid1(VALU_DEP_4)
	v_bfi_b32 v2, v2, 0, v0
	v_lshrrev_b64 v[0:1], v53, v[0:1]
	v_bfi_b32 v3, v3, 0, 0
	s_delay_alu instid0(VALU_DEP_1) | instskip(NEXT) | instid1(VALU_DEP_3)
	v_cmp_eq_u64_e64 s10, v[2:3], v[54:55]
	v_mov_b64_e32 v[2:3], v[0:1]
	s_and_saveexec_b32 s28, s10
; %bb.314:                              ;   in Loop: Header=BB6_130 Depth=2
	v_bfe_u32 v2, v0, 21, 1
	v_mov_b32_e32 v3, v5
	s_delay_alu instid0(VALU_DEP_1) | instskip(NEXT) | instid1(VALU_DEP_1)
	v_add_nc_u64_e32 v[2:3], v[0:1], v[2:3]
	v_add_nc_u64_e32 v[2:3], -1, v[2:3]
; %bb.315:                              ;   in Loop: Header=BB6_130 Depth=2
	s_or_b32 exec_lo, exec_lo, s28
	v_add_nc_u32_e32 v1, 0xffffff81, v31
	v_lshrrev_b32_e32 v3, 23, v0
	s_mov_b32 s10, exec_lo
	s_delay_alu instid0(VALU_DEP_2) | instskip(NEXT) | instid1(VALU_DEP_1)
	v_cndmask_b32_e64 v1, v1, 0xffffff82, vcc_lo
	v_add3_u32 v3, v53, v1, v3
	v_and_b32_e32 v1, 0x1fffff, v2
                                        ; implicit-def: $vgpr2
	s_delay_alu instid0(VALU_DEP_1) | instskip(SKIP_1) | instid1(VALU_DEP_2)
	v_dual_add_nc_u32 v31, 14, v3 :: v_dual_add_nc_u32 v0, v1, v0
	v_mov_b32_e32 v1, v5
	v_cmpx_ne_u32_e32 0, v31
	s_xor_b32 s10, exec_lo, s10
; %bb.316:                              ;   in Loop: Header=BB6_130 Depth=2
	s_delay_alu instid0(VALU_DEP_2) | instskip(SKIP_2) | instid1(VALU_DEP_2)
	v_cmp_lt_u64_e32 vcc_lo, 0xffffff, v[0:1]
	v_add_nc_u32_e32 v2, 15, v3
	v_cndmask_b32_e64 v3, 0, 1, vcc_lo
	v_cndmask_b32_e32 v2, v31, v2, vcc_lo
	s_delay_alu instid0(VALU_DEP_2)
	v_lshrrev_b64 v[0:1], v3, v[0:1]
; %bb.317:                              ;   in Loop: Header=BB6_130 Depth=2
	s_and_not1_saveexec_b32 s10, s10
; %bb.318:                              ;   in Loop: Header=BB6_130 Depth=2
	s_delay_alu instid0(VALU_DEP_1)
	v_bfe_u32 v2, v0, 23, 1
; %bb.319:                              ;   in Loop: Header=BB6_130 Depth=2
	s_or_b32 exec_lo, exec_lo, s10
	s_delay_alu instid0(VALU_DEP_2) | instskip(NEXT) | instid1(VALU_DEP_2)
	v_lshrrev_b64 v[0:1], 21, v[0:1]
	v_cmp_gt_i32_e32 vcc_lo, 32, v2
	v_min_i32_e32 v3, 31, v2
	v_cmp_eq_u32_e64 s10, 0, v2
	s_delay_alu instid0(VALU_DEP_2) | instskip(SKIP_1) | instid1(VALU_DEP_2)
	v_dual_cndmask_b32 v1, 0, v1, vcc_lo :: v_dual_lshlrev_b32 v3, 2, v3
	v_cndmask_b32_e32 v0, 3, v0, vcc_lo
	v_and_b32_e32 v3, 0xfc, v3
	s_delay_alu instid0(VALU_DEP_2) | instskip(NEXT) | instid1(VALU_DEP_2)
	v_cmp_eq_u64_e32 vcc_lo, 0, v[0:1]
	v_and_or_b32 v0, v0, 3, v3
	s_and_b32 s10, s10, vcc_lo
	s_delay_alu instid0(VALU_DEP_1) | instid1(SALU_CYCLE_1)
	v_cndmask_b32_e64 v0, v0, 0, s10
	s_delay_alu instid0(VALU_DEP_1)
	v_or_b32_e32 v31, v0, v52
.LBB6_320:                              ;   in Loop: Header=BB6_130 Depth=2
	s_or_b32 exec_lo, exec_lo, s27
                                        ; implicit-def: $vgpr52
.LBB6_321:                              ;   in Loop: Header=BB6_130 Depth=2
	s_and_not1_saveexec_b32 s10, s26
; %bb.322:                              ;   in Loop: Header=BB6_130 Depth=2
	v_or_b32_e32 v31, 0x7b, v52
; %bb.323:                              ;   in Loop: Header=BB6_130 Depth=2
	s_or_b32 exec_lo, exec_lo, s10
                                        ; implicit-def: $vgpr2
                                        ; implicit-def: $vgpr0_vgpr1
                                        ; implicit-def: $vgpr3
.LBB6_324:                              ;   in Loop: Header=BB6_130 Depth=2
	s_and_not1_saveexec_b32 s10, s25
	s_cbranch_execz .LBB6_330
; %bb.325:                              ;   in Loop: Header=BB6_130 Depth=2
	s_mov_b32 s25, exec_lo
                                        ; implicit-def: $vgpr31
	v_cmpx_ne_u64_e32 0, v[0:1]
	s_xor_b32 s25, exec_lo, s25
; %bb.326:                              ;   in Loop: Header=BB6_130 Depth=2
	v_or_b32_e32 v31, 0x7f, v3
                                        ; implicit-def: $vgpr2
; %bb.327:                              ;   in Loop: Header=BB6_130 Depth=2
	s_and_not1_saveexec_b32 s25, s25
; %bb.328:                              ;   in Loop: Header=BB6_130 Depth=2
	v_cmp_lt_i32_e32 vcc_lo, -1, v2
	v_cndmask_b32_e32 v31, 0xfc, v108, vcc_lo
; %bb.329:                              ;   in Loop: Header=BB6_130 Depth=2
	s_or_b32 exec_lo, exec_lo, s25
.LBB6_330:                              ;   in Loop: Header=BB6_130 Depth=2
	s_delay_alu instid0(SALU_CYCLE_1) | instskip(SKIP_3) | instid1(VALU_DEP_2)
	s_or_b32 exec_lo, exec_lo, s10
	v_lshrrev_b16 v0, 8, v4
	v_dual_mov_b32 v2, 0 :: v_dual_mov_b32 v3, 0
	s_mov_b32 s10, exec_lo
	v_cmpx_ne_u16_e32 0, v0
	s_cbranch_execz .LBB6_340
; %bb.331:                              ;   in Loop: Header=BB6_130 Depth=2
	v_bfrev_b32_e32 v3, 1
	s_mov_b32 s25, exec_lo
	v_cmpx_ne_u16_e32 0x80, v0
	s_cbranch_execz .LBB6_339
; %bb.332:                              ;   in Loop: Header=BB6_130 Depth=2
	v_and_b32_e32 v52, 0xffff, v0
	s_delay_alu instid0(VALU_DEP_1) | instskip(SKIP_1) | instid1(VALU_DEP_2)
	v_and_b32_e32 v3, 0x7c, v52
	v_and_b32_e32 v1, 3, v52
	v_cmp_ne_u32_e32 vcc_lo, 0x7c, v3
                                        ; implicit-def: $vgpr3
	s_and_saveexec_b32 s26, vcc_lo
	s_delay_alu instid0(SALU_CYCLE_1)
	s_xor_b32 s26, exec_lo, s26
	s_cbranch_execz .LBB6_336
; %bb.333:                              ;   in Loop: Header=BB6_130 Depth=2
	v_bfe_u32 v3, v52, 2, 5
	s_mov_b32 s27, exec_lo
	s_delay_alu instid0(VALU_DEP_1)
	v_cmpx_eq_u32_e32 0, v3
	s_cbranch_execz .LBB6_335
; %bb.334:                              ;   in Loop: Header=BB6_130 Depth=2
	v_clz_i32_u32_e32 v1, v1
	s_delay_alu instid0(VALU_DEP_1) | instskip(SKIP_1) | instid1(VALU_DEP_2)
	v_min_u32_e32 v3, 32, v1
	v_mov_b32_e32 v1, v5
	v_subrev_nc_u32_e32 v52, 29, v3
	v_sub_nc_u32_e32 v3, 30, v3
	s_delay_alu instid0(VALU_DEP_2) | instskip(NEXT) | instid1(VALU_DEP_1)
	v_lshlrev_b64_e32 v[0:1], v52, v[0:1]
	v_and_b32_e32 v1, 3, v0
.LBB6_335:                              ;   in Loop: Header=BB6_130 Depth=2
	s_or_b32 exec_lo, exec_lo, s27
	v_lshlrev_b32_e32 v0, 16, v4
	s_delay_alu instid0(VALU_DEP_1) | instskip(NEXT) | instid1(VALU_DEP_1)
	v_and_b32_e32 v0, 0x80000000, v0
	v_lshl_add_u32 v0, v3, 23, v0
	s_delay_alu instid0(VALU_DEP_1) | instskip(NEXT) | instid1(VALU_DEP_1)
	v_lshl_or_b32 v0, v1, 21, v0
                                        ; implicit-def: $vgpr1
	v_add_nc_u32_e32 v3, 0x38000000, v0
.LBB6_336:                              ;   in Loop: Header=BB6_130 Depth=2
	s_and_not1_saveexec_b32 s26, s26
; %bb.337:                              ;   in Loop: Header=BB6_130 Depth=2
	v_cmp_lt_i16_e32 vcc_lo, -1, v4
	v_cndmask_b32_e32 v0, 0xff800000, v109, vcc_lo
	v_cmp_eq_u32_e32 vcc_lo, 0, v1
	s_delay_alu instid0(VALU_DEP_2)
	v_cndmask_b32_e32 v3, 0x7f800001, v0, vcc_lo
; %bb.338:                              ;   in Loop: Header=BB6_130 Depth=2
	s_or_b32 exec_lo, exec_lo, s26
.LBB6_339:                              ;   in Loop: Header=BB6_130 Depth=2
	s_delay_alu instid0(SALU_CYCLE_1)
	s_or_b32 exec_lo, exec_lo, s25
.LBB6_340:                              ;   in Loop: Header=BB6_130 Depth=2
	s_delay_alu instid0(SALU_CYCLE_1) | instskip(SKIP_2) | instid1(VALU_DEP_1)
	s_or_b32 exec_lo, exec_lo, s10
	v_lshrrev_b16 v0, 8, v37
	s_mov_b32 s10, exec_lo
	v_cmpx_ne_u16_e32 0, v0
	s_cbranch_execz .LBB6_350
; %bb.341:                              ;   in Loop: Header=BB6_130 Depth=2
	v_bfrev_b32_e32 v2, 1
	s_mov_b32 s25, exec_lo
	v_cmpx_ne_u16_e32 0x80, v0
	s_cbranch_execz .LBB6_349
; %bb.342:                              ;   in Loop: Header=BB6_130 Depth=2
	v_and_b32_e32 v4, 0xffff, v0
	s_delay_alu instid0(VALU_DEP_1) | instskip(SKIP_1) | instid1(VALU_DEP_2)
	v_and_b32_e32 v2, 0x7c, v4
	v_and_b32_e32 v1, 3, v4
	v_cmp_ne_u32_e32 vcc_lo, 0x7c, v2
                                        ; implicit-def: $vgpr2
	s_and_saveexec_b32 s26, vcc_lo
	s_delay_alu instid0(SALU_CYCLE_1)
	s_xor_b32 s26, exec_lo, s26
	s_cbranch_execz .LBB6_346
; %bb.343:                              ;   in Loop: Header=BB6_130 Depth=2
	v_bfe_u32 v2, v4, 2, 5
	s_mov_b32 s27, exec_lo
	s_delay_alu instid0(VALU_DEP_1)
	v_cmpx_eq_u32_e32 0, v2
	s_cbranch_execz .LBB6_345
; %bb.344:                              ;   in Loop: Header=BB6_130 Depth=2
	v_clz_i32_u32_e32 v1, v1
	s_delay_alu instid0(VALU_DEP_1) | instskip(SKIP_1) | instid1(VALU_DEP_2)
	v_min_u32_e32 v2, 32, v1
	v_mov_b32_e32 v1, v5
	v_subrev_nc_u32_e32 v4, 29, v2
	v_sub_nc_u32_e32 v2, 30, v2
	s_delay_alu instid0(VALU_DEP_2) | instskip(NEXT) | instid1(VALU_DEP_1)
	v_lshlrev_b64_e32 v[0:1], v4, v[0:1]
	v_and_b32_e32 v1, 3, v0
.LBB6_345:                              ;   in Loop: Header=BB6_130 Depth=2
	s_or_b32 exec_lo, exec_lo, s27
	v_lshlrev_b32_e32 v0, 16, v37
	s_delay_alu instid0(VALU_DEP_1) | instskip(NEXT) | instid1(VALU_DEP_1)
	v_and_b32_e32 v0, 0x80000000, v0
	v_lshl_add_u32 v0, v2, 23, v0
	s_delay_alu instid0(VALU_DEP_1) | instskip(NEXT) | instid1(VALU_DEP_1)
	v_lshl_or_b32 v0, v1, 21, v0
                                        ; implicit-def: $vgpr1
	v_add_nc_u32_e32 v2, 0x38000000, v0
.LBB6_346:                              ;   in Loop: Header=BB6_130 Depth=2
	s_and_not1_saveexec_b32 s26, s26
; %bb.347:                              ;   in Loop: Header=BB6_130 Depth=2
	v_cmp_lt_i16_e32 vcc_lo, -1, v37
	v_cndmask_b32_e32 v0, 0xff800000, v109, vcc_lo
	v_cmp_eq_u32_e32 vcc_lo, 0, v1
	s_delay_alu instid0(VALU_DEP_2)
	v_cndmask_b32_e32 v2, 0x7f800001, v0, vcc_lo
; %bb.348:                              ;   in Loop: Header=BB6_130 Depth=2
	s_or_b32 exec_lo, exec_lo, s26
.LBB6_349:                              ;   in Loop: Header=BB6_130 Depth=2
	s_delay_alu instid0(SALU_CYCLE_1)
	s_or_b32 exec_lo, exec_lo, s25
.LBB6_350:                              ;   in Loop: Header=BB6_130 Depth=2
	s_delay_alu instid0(SALU_CYCLE_1) | instskip(NEXT) | instid1(VALU_DEP_1)
	s_or_b32 exec_lo, exec_lo, s10
	v_dual_mul_f32 v0, v3, v2 :: v_dual_mov_b32 v3, v5
                                        ; implicit-def: $vgpr52
	s_mov_b32 s10, exec_lo
	s_delay_alu instid0(VALU_DEP_1) | instskip(SKIP_2) | instid1(VALU_DEP_3)
	v_and_b32_e32 v2, 0x7f800000, v0
	v_and_b32_e32 v4, 0x7fffff, v0
	v_lshrrev_b32_e32 v1, 24, v0
	v_cmpx_ne_u64_e32 0x7f800000, v[2:3]
	s_xor_b32 s25, exec_lo, s10
	s_cbranch_execz .LBB6_364
; %bb.351:                              ;   in Loop: Header=BB6_130 Depth=2
	v_and_b32_e32 v2, 0x7fffffff, v0
	v_mov_b32_e32 v3, v5
	v_and_b32_e32 v53, 0x80, v1
                                        ; implicit-def: $vgpr52
	s_mov_b32 s10, exec_lo
	s_delay_alu instid0(VALU_DEP_2)
	v_cmpx_gt_u64_e32 0x47600001, v[2:3]
	s_xor_b32 s26, exec_lo, s10
	s_cbranch_execz .LBB6_361
; %bb.352:                              ;   in Loop: Header=BB6_130 Depth=2
	v_mov_b32_e32 v52, 0
	s_mov_b32 s27, exec_lo
	v_cmpx_ne_u32_e32 0, v0
	s_cbranch_execz .LBB6_360
; %bb.353:                              ;   in Loop: Header=BB6_130 Depth=2
	v_bfe_u32 v52, v0, 23, 8
	v_or_b32_e32 v2, 0x800000, v4
	s_mov_b32 s28, exec_lo
	s_delay_alu instid0(VALU_DEP_2) | instskip(SKIP_1) | instid1(VALU_DEP_2)
	v_dual_mov_b32 v3, v5 :: v_dual_sub_nc_u32 v0, 0x71, v52
	v_cmp_gt_u32_e32 vcc_lo, 0x72, v52
	v_cndmask_b32_e32 v0, 0, v0, vcc_lo
	v_cmp_eq_u32_e32 vcc_lo, 0, v52
	s_delay_alu instid0(VALU_DEP_2) | instskip(NEXT) | instid1(VALU_DEP_1)
	v_cndmask_b32_e64 v54, v0, 0x70, vcc_lo
	v_dual_cndmask_b32 v2, v2, v4, vcc_lo :: v_dual_add_nc_u32 v0, 21, v54
	v_add_nc_u32_e32 v55, 20, v54
	s_delay_alu instid0(VALU_DEP_2) | instskip(NEXT) | instid1(VALU_DEP_2)
	v_lshlrev_b64_e64 v[0:1], v0, -1
	v_lshlrev_b64_e64 v[64:65], v55, 1
	s_delay_alu instid0(VALU_DEP_2) | instskip(NEXT) | instid1(VALU_DEP_3)
	v_bfi_b32 v67, v1, 0, 0
	v_bfi_b32 v66, v0, 0, v2
	v_lshrrev_b64 v[0:1], v54, v[2:3]
	s_delay_alu instid0(VALU_DEP_1) | instskip(NEXT) | instid1(VALU_DEP_3)
	v_mov_b64_e32 v[2:3], v[0:1]
	v_cmpx_eq_u64_e64 v[66:67], v[64:65]
; %bb.354:                              ;   in Loop: Header=BB6_130 Depth=2
	v_bfe_u32 v2, v0, 21, 1
	v_mov_b32_e32 v3, v5
	s_delay_alu instid0(VALU_DEP_1) | instskip(NEXT) | instid1(VALU_DEP_1)
	v_add_nc_u64_e32 v[2:3], v[0:1], v[2:3]
	v_add_nc_u64_e32 v[2:3], -1, v[2:3]
; %bb.355:                              ;   in Loop: Header=BB6_130 Depth=2
	s_or_b32 exec_lo, exec_lo, s28
	v_add_nc_u32_e32 v1, 0xffffff81, v52
	v_lshrrev_b32_e32 v3, 23, v0
	s_mov_b32 s10, exec_lo
	s_delay_alu instid0(VALU_DEP_2) | instskip(NEXT) | instid1(VALU_DEP_1)
	v_cndmask_b32_e64 v1, v1, 0xffffff82, vcc_lo
	v_add3_u32 v3, v54, v1, v3
	v_and_b32_e32 v1, 0x1fffff, v2
                                        ; implicit-def: $vgpr2
	s_delay_alu instid0(VALU_DEP_1) | instskip(NEXT) | instid1(VALU_DEP_1)
	v_dual_add_nc_u32 v52, 14, v3 :: v_dual_add_nc_u32 v4, v1, v0
                                        ; implicit-def: $vgpr0_vgpr1
	v_cmpx_ne_u32_e32 0, v52
	s_xor_b32 s10, exec_lo, s10
; %bb.356:                              ;   in Loop: Header=BB6_130 Depth=2
	s_delay_alu instid0(VALU_DEP_2) | instskip(SKIP_1) | instid1(VALU_DEP_1)
	v_cmp_lt_u64_e32 vcc_lo, 0xffffff, v[4:5]
	v_add_nc_u32_e32 v0, 15, v3
	v_cndmask_b32_e32 v2, v52, v0, vcc_lo
	v_cndmask_b32_e64 v0, 0, 1, vcc_lo
	s_delay_alu instid0(VALU_DEP_1)
	v_lshrrev_b64 v[0:1], v0, v[4:5]
; %bb.357:                              ;   in Loop: Header=BB6_130 Depth=2
	s_and_not1_saveexec_b32 s10, s10
; %bb.358:                              ;   in Loop: Header=BB6_130 Depth=2
	v_mov_b64_e32 v[0:1], v[4:5]
	v_bfe_u32 v2, v4, 23, 1
; %bb.359:                              ;   in Loop: Header=BB6_130 Depth=2
	s_or_b32 exec_lo, exec_lo, s10
	s_delay_alu instid0(VALU_DEP_2) | instskip(NEXT) | instid1(VALU_DEP_2)
	v_lshrrev_b64 v[0:1], 21, v[0:1]
	v_cmp_gt_i32_e32 vcc_lo, 32, v2
	v_min_i32_e32 v3, 31, v2
	v_cmp_eq_u32_e64 s10, 0, v2
	s_delay_alu instid0(VALU_DEP_2) | instskip(SKIP_1) | instid1(VALU_DEP_2)
	v_dual_cndmask_b32 v1, 0, v1, vcc_lo :: v_dual_lshlrev_b32 v3, 2, v3
	v_cndmask_b32_e32 v0, 3, v0, vcc_lo
	v_and_b32_e32 v3, 0xfc, v3
	s_delay_alu instid0(VALU_DEP_2) | instskip(NEXT) | instid1(VALU_DEP_2)
	v_cmp_eq_u64_e32 vcc_lo, 0, v[0:1]
	v_and_or_b32 v0, v0, 3, v3
	s_and_b32 s10, s10, vcc_lo
	s_delay_alu instid0(VALU_DEP_1) | instid1(SALU_CYCLE_1)
	v_cndmask_b32_e64 v0, v0, 0, s10
	s_delay_alu instid0(VALU_DEP_1)
	v_or_b32_e32 v52, v0, v53
.LBB6_360:                              ;   in Loop: Header=BB6_130 Depth=2
	s_or_b32 exec_lo, exec_lo, s27
                                        ; implicit-def: $vgpr53
.LBB6_361:                              ;   in Loop: Header=BB6_130 Depth=2
	s_and_not1_saveexec_b32 s10, s26
; %bb.362:                              ;   in Loop: Header=BB6_130 Depth=2
	v_or_b32_e32 v52, 0x7b, v53
; %bb.363:                              ;   in Loop: Header=BB6_130 Depth=2
	s_or_b32 exec_lo, exec_lo, s10
                                        ; implicit-def: $vgpr0
                                        ; implicit-def: $vgpr1
.LBB6_364:                              ;   in Loop: Header=BB6_130 Depth=2
	s_and_not1_saveexec_b32 s10, s25
	s_cbranch_execz .LBB6_370
; %bb.365:                              ;   in Loop: Header=BB6_130 Depth=2
	s_mov_b32 s25, exec_lo
                                        ; implicit-def: $vgpr52
	v_cmpx_ne_u64_e32 0, v[4:5]
	s_xor_b32 s25, exec_lo, s25
; %bb.366:                              ;   in Loop: Header=BB6_130 Depth=2
	v_or_b32_e32 v52, 0x7f, v1
                                        ; implicit-def: $vgpr0
; %bb.367:                              ;   in Loop: Header=BB6_130 Depth=2
	s_and_not1_saveexec_b32 s25, s25
; %bb.368:                              ;   in Loop: Header=BB6_130 Depth=2
	v_cmp_lt_i32_e32 vcc_lo, -1, v0
	v_cndmask_b32_e32 v52, 0xfc, v108, vcc_lo
; %bb.369:                              ;   in Loop: Header=BB6_130 Depth=2
	s_or_b32 exec_lo, exec_lo, s25
.LBB6_370:                              ;   in Loop: Header=BB6_130 Depth=2
	s_delay_alu instid0(SALU_CYCLE_1) | instskip(SKIP_3) | instid1(VALU_DEP_2)
	s_or_b32 exec_lo, exec_lo, s10
	v_dual_mov_b32 v1, 0 :: v_dual_lshrrev_b32 v0, 16, v49
	v_mov_b32_e32 v2, 0
	s_mov_b32 s10, exec_lo
	v_and_b32_e32 v3, 0xff, v0
	s_delay_alu instid0(VALU_DEP_1)
	v_cmpx_ne_u16_e32 0, v3
	s_cbranch_execz .LBB6_380
; %bb.371:                              ;   in Loop: Header=BB6_130 Depth=2
	v_bfrev_b32_e32 v2, 1
	s_mov_b32 s25, exec_lo
	v_cmpx_ne_u16_e32 0x80, v3
	s_cbranch_execz .LBB6_379
; %bb.372:                              ;   in Loop: Header=BB6_130 Depth=2
	v_and_b32_e32 v2, 0x7c0000, v49
	v_bfe_u32 v3, v49, 16, 2
	s_delay_alu instid0(VALU_DEP_2) | instskip(SKIP_1) | instid1(SALU_CYCLE_1)
	v_cmp_ne_u32_e32 vcc_lo, 0x7c0000, v2
                                        ; implicit-def: $vgpr2
	s_and_saveexec_b32 s26, vcc_lo
	s_xor_b32 s26, exec_lo, s26
	s_cbranch_execz .LBB6_376
; %bb.373:                              ;   in Loop: Header=BB6_130 Depth=2
	v_bfe_u32 v2, v49, 18, 5
	s_mov_b32 s27, exec_lo
	s_delay_alu instid0(VALU_DEP_1)
	v_cmpx_eq_u32_e32 0, v2
; %bb.374:                              ;   in Loop: Header=BB6_130 Depth=2
	v_clz_i32_u32_e32 v2, v3
	s_delay_alu instid0(VALU_DEP_1) | instskip(NEXT) | instid1(VALU_DEP_1)
	v_min_u32_e32 v2, 32, v2
	v_subrev_nc_u32_e32 v3, 29, v2
	v_sub_nc_u32_e32 v2, 30, v2
	s_delay_alu instid0(VALU_DEP_2) | instskip(NEXT) | instid1(VALU_DEP_1)
	v_lshlrev_b64_e32 v[54:55], v3, v[0:1]
	v_and_b32_e32 v3, 3, v54
; %bb.375:                              ;   in Loop: Header=BB6_130 Depth=2
	s_or_b32 exec_lo, exec_lo, s27
	v_lshlrev_b32_e32 v0, 24, v0
	s_delay_alu instid0(VALU_DEP_1) | instskip(NEXT) | instid1(VALU_DEP_1)
	v_and_b32_e32 v0, 0x80000000, v0
	v_lshl_add_u32 v0, v2, 23, v0
	s_delay_alu instid0(VALU_DEP_1) | instskip(NEXT) | instid1(VALU_DEP_1)
	v_lshl_or_b32 v0, v3, 21, v0
                                        ; implicit-def: $vgpr3
	v_add_nc_u32_e32 v2, 0x38000000, v0
                                        ; implicit-def: $vgpr0
.LBB6_376:                              ;   in Loop: Header=BB6_130 Depth=2
	s_and_not1_saveexec_b32 s26, s26
; %bb.377:                              ;   in Loop: Header=BB6_130 Depth=2
	v_bfe_i32 v0, v0, 0, 8
	s_delay_alu instid0(VALU_DEP_1) | instskip(SKIP_2) | instid1(VALU_DEP_2)
	v_cmp_lt_i16_e32 vcc_lo, -1, v0
	v_cndmask_b32_e32 v0, 0xff800000, v109, vcc_lo
	v_cmp_eq_u32_e32 vcc_lo, 0, v3
	v_cndmask_b32_e32 v2, 0x7f800001, v0, vcc_lo
; %bb.378:                              ;   in Loop: Header=BB6_130 Depth=2
	s_or_b32 exec_lo, exec_lo, s26
.LBB6_379:                              ;   in Loop: Header=BB6_130 Depth=2
	s_delay_alu instid0(SALU_CYCLE_1)
	s_or_b32 exec_lo, exec_lo, s25
.LBB6_380:                              ;   in Loop: Header=BB6_130 Depth=2
	s_delay_alu instid0(SALU_CYCLE_1) | instskip(SKIP_2) | instid1(VALU_DEP_1)
	s_or_b32 exec_lo, exec_lo, s10
	v_lshrrev_b32_e32 v0, 16, v37
	s_mov_b32 s10, exec_lo
	v_and_b32_e32 v3, 0xff, v0
	s_delay_alu instid0(VALU_DEP_1)
	v_cmpx_ne_u16_e32 0, v3
	s_cbranch_execz .LBB6_390
; %bb.381:                              ;   in Loop: Header=BB6_130 Depth=2
	v_bfrev_b32_e32 v1, 1
	s_mov_b32 s25, exec_lo
	v_cmpx_ne_u16_e32 0x80, v3
	s_cbranch_execz .LBB6_389
; %bb.382:                              ;   in Loop: Header=BB6_130 Depth=2
	v_and_b32_e32 v1, 0x7c0000, v37
	v_bfe_u32 v3, v37, 16, 2
	s_delay_alu instid0(VALU_DEP_2) | instskip(SKIP_1) | instid1(SALU_CYCLE_1)
	v_cmp_ne_u32_e32 vcc_lo, 0x7c0000, v1
                                        ; implicit-def: $vgpr1
	s_and_saveexec_b32 s26, vcc_lo
	s_xor_b32 s26, exec_lo, s26
	s_cbranch_execz .LBB6_386
; %bb.383:                              ;   in Loop: Header=BB6_130 Depth=2
	v_bfe_u32 v1, v37, 18, 5
	s_mov_b32 s27, exec_lo
	s_delay_alu instid0(VALU_DEP_1)
	v_cmpx_eq_u32_e32 0, v1
; %bb.384:                              ;   in Loop: Header=BB6_130 Depth=2
	v_clz_i32_u32_e32 v1, v3
	s_delay_alu instid0(VALU_DEP_1) | instskip(NEXT) | instid1(VALU_DEP_1)
	v_min_u32_e32 v1, 32, v1
	v_subrev_nc_u32_e32 v3, 29, v1
	s_delay_alu instid0(VALU_DEP_1) | instskip(NEXT) | instid1(VALU_DEP_1)
	v_lshlrev_b64_e32 v[54:55], v3, v[0:1]
	v_dual_sub_nc_u32 v1, 30, v1 :: v_dual_bitop2_b32 v3, 3, v54 bitop3:0x40
; %bb.385:                              ;   in Loop: Header=BB6_130 Depth=2
	s_or_b32 exec_lo, exec_lo, s27
	v_lshlrev_b32_e32 v0, 24, v0
	s_delay_alu instid0(VALU_DEP_1) | instskip(NEXT) | instid1(VALU_DEP_1)
	v_and_b32_e32 v0, 0x80000000, v0
	v_lshl_add_u32 v0, v1, 23, v0
	s_delay_alu instid0(VALU_DEP_1) | instskip(NEXT) | instid1(VALU_DEP_1)
	v_lshl_or_b32 v0, v3, 21, v0
                                        ; implicit-def: $vgpr3
	v_add_nc_u32_e32 v1, 0x38000000, v0
                                        ; implicit-def: $vgpr0
.LBB6_386:                              ;   in Loop: Header=BB6_130 Depth=2
	s_and_not1_saveexec_b32 s26, s26
; %bb.387:                              ;   in Loop: Header=BB6_130 Depth=2
	v_bfe_i32 v0, v0, 0, 8
	s_delay_alu instid0(VALU_DEP_1) | instskip(SKIP_2) | instid1(VALU_DEP_2)
	v_cmp_lt_i16_e32 vcc_lo, -1, v0
	v_cndmask_b32_e32 v0, 0xff800000, v109, vcc_lo
	v_cmp_eq_u32_e32 vcc_lo, 0, v3
	v_cndmask_b32_e32 v1, 0x7f800001, v0, vcc_lo
; %bb.388:                              ;   in Loop: Header=BB6_130 Depth=2
	s_or_b32 exec_lo, exec_lo, s26
.LBB6_389:                              ;   in Loop: Header=BB6_130 Depth=2
	s_delay_alu instid0(SALU_CYCLE_1)
	s_or_b32 exec_lo, exec_lo, s25
.LBB6_390:                              ;   in Loop: Header=BB6_130 Depth=2
	s_delay_alu instid0(SALU_CYCLE_1) | instskip(NEXT) | instid1(VALU_DEP_1)
	s_or_b32 exec_lo, exec_lo, s10
	v_dual_mul_f32 v0, v2, v1 :: v_dual_mov_b32 v3, v5
                                        ; implicit-def: $vgpr53
	s_mov_b32 s10, exec_lo
	s_delay_alu instid0(VALU_DEP_1) | instskip(SKIP_2) | instid1(VALU_DEP_3)
	v_and_b32_e32 v2, 0x7f800000, v0
	v_and_b32_e32 v4, 0x7fffff, v0
	v_lshrrev_b32_e32 v1, 24, v0
	v_cmpx_ne_u64_e32 0x7f800000, v[2:3]
	s_xor_b32 s25, exec_lo, s10
	s_cbranch_execz .LBB6_404
; %bb.391:                              ;   in Loop: Header=BB6_130 Depth=2
	v_and_b32_e32 v2, 0x7fffffff, v0
	v_mov_b32_e32 v3, v5
	v_and_b32_e32 v54, 0x80, v1
                                        ; implicit-def: $vgpr53
	s_mov_b32 s10, exec_lo
	s_delay_alu instid0(VALU_DEP_2)
	v_cmpx_gt_u64_e32 0x47600001, v[2:3]
	s_xor_b32 s26, exec_lo, s10
	s_cbranch_execz .LBB6_401
; %bb.392:                              ;   in Loop: Header=BB6_130 Depth=2
	v_mov_b32_e32 v53, 0
	s_mov_b32 s27, exec_lo
	v_cmpx_ne_u32_e32 0, v0
	s_cbranch_execz .LBB6_400
; %bb.393:                              ;   in Loop: Header=BB6_130 Depth=2
	v_bfe_u32 v53, v0, 23, 8
	v_or_b32_e32 v2, 0x800000, v4
	s_mov_b32 s28, exec_lo
	s_delay_alu instid0(VALU_DEP_2) | instskip(SKIP_1) | instid1(VALU_DEP_2)
	v_dual_mov_b32 v3, v5 :: v_dual_sub_nc_u32 v0, 0x71, v53
	v_cmp_gt_u32_e32 vcc_lo, 0x72, v53
	v_cndmask_b32_e32 v0, 0, v0, vcc_lo
	v_cmp_eq_u32_e32 vcc_lo, 0, v53
	s_delay_alu instid0(VALU_DEP_2) | instskip(NEXT) | instid1(VALU_DEP_1)
	v_cndmask_b32_e64 v55, v0, 0x70, vcc_lo
	v_dual_cndmask_b32 v2, v2, v4, vcc_lo :: v_dual_add_nc_u32 v0, 21, v55
	v_add_nc_u32_e32 v64, 20, v55
	s_delay_alu instid0(VALU_DEP_2) | instskip(NEXT) | instid1(VALU_DEP_2)
	v_lshlrev_b64_e64 v[0:1], v0, -1
	v_lshlrev_b64_e64 v[64:65], v64, 1
	s_delay_alu instid0(VALU_DEP_2) | instskip(NEXT) | instid1(VALU_DEP_3)
	v_bfi_b32 v67, v1, 0, 0
	v_bfi_b32 v66, v0, 0, v2
	v_lshrrev_b64 v[0:1], v55, v[2:3]
	s_delay_alu instid0(VALU_DEP_1) | instskip(NEXT) | instid1(VALU_DEP_3)
	v_mov_b64_e32 v[2:3], v[0:1]
	v_cmpx_eq_u64_e64 v[66:67], v[64:65]
; %bb.394:                              ;   in Loop: Header=BB6_130 Depth=2
	v_bfe_u32 v2, v0, 21, 1
	v_mov_b32_e32 v3, v5
	s_delay_alu instid0(VALU_DEP_1) | instskip(NEXT) | instid1(VALU_DEP_1)
	v_add_nc_u64_e32 v[2:3], v[0:1], v[2:3]
	v_add_nc_u64_e32 v[2:3], -1, v[2:3]
; %bb.395:                              ;   in Loop: Header=BB6_130 Depth=2
	s_or_b32 exec_lo, exec_lo, s28
	v_add_nc_u32_e32 v1, 0xffffff81, v53
	v_lshrrev_b32_e32 v3, 23, v0
	s_mov_b32 s10, exec_lo
	s_delay_alu instid0(VALU_DEP_2) | instskip(NEXT) | instid1(VALU_DEP_1)
	v_cndmask_b32_e64 v1, v1, 0xffffff82, vcc_lo
	v_add3_u32 v3, v55, v1, v3
	v_and_b32_e32 v1, 0x1fffff, v2
                                        ; implicit-def: $vgpr2
	s_delay_alu instid0(VALU_DEP_1) | instskip(NEXT) | instid1(VALU_DEP_1)
	v_dual_add_nc_u32 v53, 14, v3 :: v_dual_add_nc_u32 v4, v1, v0
                                        ; implicit-def: $vgpr0_vgpr1
	v_cmpx_ne_u32_e32 0, v53
	s_xor_b32 s10, exec_lo, s10
; %bb.396:                              ;   in Loop: Header=BB6_130 Depth=2
	s_delay_alu instid0(VALU_DEP_2) | instskip(SKIP_1) | instid1(VALU_DEP_1)
	v_cmp_lt_u64_e32 vcc_lo, 0xffffff, v[4:5]
	v_add_nc_u32_e32 v0, 15, v3
	v_cndmask_b32_e32 v2, v53, v0, vcc_lo
	v_cndmask_b32_e64 v0, 0, 1, vcc_lo
	s_delay_alu instid0(VALU_DEP_1)
	v_lshrrev_b64 v[0:1], v0, v[4:5]
; %bb.397:                              ;   in Loop: Header=BB6_130 Depth=2
	s_and_not1_saveexec_b32 s10, s10
; %bb.398:                              ;   in Loop: Header=BB6_130 Depth=2
	v_mov_b64_e32 v[0:1], v[4:5]
	v_bfe_u32 v2, v4, 23, 1
; %bb.399:                              ;   in Loop: Header=BB6_130 Depth=2
	s_or_b32 exec_lo, exec_lo, s10
	s_delay_alu instid0(VALU_DEP_2) | instskip(NEXT) | instid1(VALU_DEP_2)
	v_lshrrev_b64 v[0:1], 21, v[0:1]
	v_cmp_gt_i32_e32 vcc_lo, 32, v2
	v_min_i32_e32 v3, 31, v2
	v_cmp_eq_u32_e64 s10, 0, v2
	s_delay_alu instid0(VALU_DEP_2) | instskip(SKIP_1) | instid1(VALU_DEP_2)
	v_dual_cndmask_b32 v1, 0, v1, vcc_lo :: v_dual_lshlrev_b32 v3, 2, v3
	v_cndmask_b32_e32 v0, 3, v0, vcc_lo
	v_and_b32_e32 v3, 0xfc, v3
	s_delay_alu instid0(VALU_DEP_2) | instskip(NEXT) | instid1(VALU_DEP_2)
	v_cmp_eq_u64_e32 vcc_lo, 0, v[0:1]
	v_and_or_b32 v0, v0, 3, v3
	s_and_b32 s10, s10, vcc_lo
	s_delay_alu instid0(VALU_DEP_1) | instid1(SALU_CYCLE_1)
	v_cndmask_b32_e64 v0, v0, 0, s10
	s_delay_alu instid0(VALU_DEP_1)
	v_or_b32_e32 v53, v0, v54
.LBB6_400:                              ;   in Loop: Header=BB6_130 Depth=2
	s_or_b32 exec_lo, exec_lo, s27
                                        ; implicit-def: $vgpr54
.LBB6_401:                              ;   in Loop: Header=BB6_130 Depth=2
	s_and_not1_saveexec_b32 s10, s26
; %bb.402:                              ;   in Loop: Header=BB6_130 Depth=2
	v_or_b32_e32 v53, 0x7b, v54
; %bb.403:                              ;   in Loop: Header=BB6_130 Depth=2
	s_or_b32 exec_lo, exec_lo, s10
                                        ; implicit-def: $vgpr0
                                        ; implicit-def: $vgpr1
.LBB6_404:                              ;   in Loop: Header=BB6_130 Depth=2
	s_and_not1_saveexec_b32 s10, s25
	s_cbranch_execz .LBB6_410
; %bb.405:                              ;   in Loop: Header=BB6_130 Depth=2
	s_mov_b32 s25, exec_lo
                                        ; implicit-def: $vgpr53
	v_cmpx_ne_u64_e32 0, v[4:5]
	s_xor_b32 s25, exec_lo, s25
; %bb.406:                              ;   in Loop: Header=BB6_130 Depth=2
	v_or_b32_e32 v53, 0x7f, v1
                                        ; implicit-def: $vgpr0
; %bb.407:                              ;   in Loop: Header=BB6_130 Depth=2
	s_and_not1_saveexec_b32 s25, s25
; %bb.408:                              ;   in Loop: Header=BB6_130 Depth=2
	v_cmp_lt_i32_e32 vcc_lo, -1, v0
	v_cndmask_b32_e32 v53, 0xfc, v108, vcc_lo
; %bb.409:                              ;   in Loop: Header=BB6_130 Depth=2
	s_or_b32 exec_lo, exec_lo, s25
.LBB6_410:                              ;   in Loop: Header=BB6_130 Depth=2
	s_delay_alu instid0(SALU_CYCLE_1)
	s_or_b32 exec_lo, exec_lo, s10
	v_dual_mov_b32 v1, 0 :: v_dual_mov_b32 v2, 0
	s_mov_b32 s10, exec_lo
	v_cmpx_lt_u64_e64 s[12:13], v[48:49]
	s_cbranch_execz .LBB6_420
; %bb.411:                              ;   in Loop: Header=BB6_130 Depth=2
	v_lshrrev_b32_e32 v0, 24, v49
	v_bfrev_b32_e32 v2, 1
	s_mov_b32 s25, exec_lo
	s_delay_alu instid0(VALU_DEP_2)
	v_cmpx_ne_u32_e32 0x80, v0
	s_cbranch_execz .LBB6_419
; %bb.412:                              ;   in Loop: Header=BB6_130 Depth=2
	v_and_b32_e32 v2, 0x7c000000, v49
	v_bfe_u32 v3, v49, 24, 2
	s_delay_alu instid0(VALU_DEP_2) | instskip(SKIP_1) | instid1(SALU_CYCLE_1)
	v_cmp_ne_u32_e32 vcc_lo, 0x7c000000, v2
                                        ; implicit-def: $vgpr2
	s_and_saveexec_b32 s26, vcc_lo
	s_xor_b32 s26, exec_lo, s26
	s_cbranch_execz .LBB6_416
; %bb.413:                              ;   in Loop: Header=BB6_130 Depth=2
	v_bfe_u32 v2, v49, 26, 5
	s_mov_b32 s27, exec_lo
	s_delay_alu instid0(VALU_DEP_1)
	v_cmpx_eq_u32_e32 0, v2
; %bb.414:                              ;   in Loop: Header=BB6_130 Depth=2
	v_clz_i32_u32_e32 v2, v3
	s_delay_alu instid0(VALU_DEP_1) | instskip(NEXT) | instid1(VALU_DEP_1)
	v_min_u32_e32 v2, 32, v2
	v_subrev_nc_u32_e32 v3, 29, v2
	v_sub_nc_u32_e32 v2, 30, v2
	s_delay_alu instid0(VALU_DEP_2) | instskip(NEXT) | instid1(VALU_DEP_1)
	v_lshlrev_b64_e32 v[54:55], v3, v[0:1]
	v_and_b32_e32 v3, 3, v54
; %bb.415:                              ;   in Loop: Header=BB6_130 Depth=2
	s_or_b32 exec_lo, exec_lo, s27
	v_and_b32_e32 v0, 0x80000000, v49
	s_delay_alu instid0(VALU_DEP_1) | instskip(NEXT) | instid1(VALU_DEP_1)
	v_lshl_add_u32 v0, v2, 23, v0
	v_lshl_or_b32 v0, v3, 21, v0
                                        ; implicit-def: $vgpr3
	s_delay_alu instid0(VALU_DEP_1)
	v_add_nc_u32_e32 v2, 0x38000000, v0
.LBB6_416:                              ;   in Loop: Header=BB6_130 Depth=2
	s_and_not1_saveexec_b32 s26, s26
; %bb.417:                              ;   in Loop: Header=BB6_130 Depth=2
	v_cmp_lt_i64_e32 vcc_lo, -1, v[48:49]
	v_cndmask_b32_e32 v0, 0xff800000, v109, vcc_lo
	v_cmp_eq_u32_e32 vcc_lo, 0, v3
	s_delay_alu instid0(VALU_DEP_2)
	v_cndmask_b32_e32 v2, 0x7f800001, v0, vcc_lo
; %bb.418:                              ;   in Loop: Header=BB6_130 Depth=2
	s_or_b32 exec_lo, exec_lo, s26
.LBB6_419:                              ;   in Loop: Header=BB6_130 Depth=2
	s_delay_alu instid0(SALU_CYCLE_1)
	s_or_b32 exec_lo, exec_lo, s25
.LBB6_420:                              ;   in Loop: Header=BB6_130 Depth=2
	s_delay_alu instid0(SALU_CYCLE_1) | instskip(NEXT) | instid1(SALU_CYCLE_1)
	s_or_b32 exec_lo, exec_lo, s10
	s_mov_b32 s10, exec_lo
	v_cmpx_lt_u64_e64 s[12:13], v[36:37]
	s_cbranch_execz .LBB6_430
; %bb.421:                              ;   in Loop: Header=BB6_130 Depth=2
	v_lshrrev_b32_e32 v0, 24, v37
	v_bfrev_b32_e32 v1, 1
	s_mov_b32 s25, exec_lo
	s_delay_alu instid0(VALU_DEP_2)
	v_cmpx_ne_u32_e32 0x80, v0
	s_cbranch_execz .LBB6_429
; %bb.422:                              ;   in Loop: Header=BB6_130 Depth=2
	v_and_b32_e32 v1, 0x7c000000, v37
	v_bfe_u32 v3, v37, 24, 2
	s_delay_alu instid0(VALU_DEP_2) | instskip(SKIP_1) | instid1(SALU_CYCLE_1)
	v_cmp_ne_u32_e32 vcc_lo, 0x7c000000, v1
                                        ; implicit-def: $vgpr1
	s_and_saveexec_b32 s26, vcc_lo
	s_xor_b32 s26, exec_lo, s26
	s_cbranch_execz .LBB6_426
; %bb.423:                              ;   in Loop: Header=BB6_130 Depth=2
	v_bfe_u32 v1, v37, 26, 5
	s_mov_b32 s27, exec_lo
	s_delay_alu instid0(VALU_DEP_1)
	v_cmpx_eq_u32_e32 0, v1
; %bb.424:                              ;   in Loop: Header=BB6_130 Depth=2
	v_clz_i32_u32_e32 v1, v3
	s_delay_alu instid0(VALU_DEP_1) | instskip(NEXT) | instid1(VALU_DEP_1)
	v_min_u32_e32 v3, 32, v1
	v_subrev_nc_u32_e32 v1, 29, v3
	s_delay_alu instid0(VALU_DEP_1) | instskip(NEXT) | instid1(VALU_DEP_1)
	v_lshlrev_b64_e32 v[0:1], v1, v[0:1]
	v_dual_sub_nc_u32 v1, 30, v3 :: v_dual_bitop2_b32 v3, 3, v0 bitop3:0x40
; %bb.425:                              ;   in Loop: Header=BB6_130 Depth=2
	s_or_b32 exec_lo, exec_lo, s27
	v_and_b32_e32 v0, 0x80000000, v37
	s_delay_alu instid0(VALU_DEP_1) | instskip(NEXT) | instid1(VALU_DEP_1)
	v_lshl_add_u32 v0, v1, 23, v0
	v_lshl_or_b32 v0, v3, 21, v0
                                        ; implicit-def: $vgpr3
	s_delay_alu instid0(VALU_DEP_1)
	v_add_nc_u32_e32 v1, 0x38000000, v0
.LBB6_426:                              ;   in Loop: Header=BB6_130 Depth=2
	s_and_not1_saveexec_b32 s26, s26
; %bb.427:                              ;   in Loop: Header=BB6_130 Depth=2
	v_cmp_lt_i64_e32 vcc_lo, -1, v[36:37]
	v_cndmask_b32_e32 v0, 0xff800000, v109, vcc_lo
	v_cmp_eq_u32_e32 vcc_lo, 0, v3
	s_delay_alu instid0(VALU_DEP_2)
	v_cndmask_b32_e32 v1, 0x7f800001, v0, vcc_lo
; %bb.428:                              ;   in Loop: Header=BB6_130 Depth=2
	s_or_b32 exec_lo, exec_lo, s26
.LBB6_429:                              ;   in Loop: Header=BB6_130 Depth=2
	s_delay_alu instid0(SALU_CYCLE_1)
	s_or_b32 exec_lo, exec_lo, s25
.LBB6_430:                              ;   in Loop: Header=BB6_130 Depth=2
	s_delay_alu instid0(SALU_CYCLE_1) | instskip(NEXT) | instid1(VALU_DEP_1)
	s_or_b32 exec_lo, exec_lo, s10
	v_dual_mul_f32 v0, v2, v1 :: v_dual_mov_b32 v3, v5
                                        ; implicit-def: $vgpr36
	s_mov_b32 s10, exec_lo
	s_delay_alu instid0(VALU_DEP_1) | instskip(SKIP_2) | instid1(VALU_DEP_3)
	v_and_b32_e32 v2, 0x7f800000, v0
	v_and_b32_e32 v4, 0x7fffff, v0
	v_lshrrev_b32_e32 v1, 24, v0
	v_cmpx_ne_u64_e32 0x7f800000, v[2:3]
	s_xor_b32 s25, exec_lo, s10
	s_cbranch_execz .LBB6_444
; %bb.431:                              ;   in Loop: Header=BB6_130 Depth=2
	v_and_b32_e32 v2, 0x7fffffff, v0
	v_mov_b32_e32 v3, v5
	v_and_b32_e32 v37, 0x80, v1
                                        ; implicit-def: $vgpr36
	s_mov_b32 s10, exec_lo
	s_delay_alu instid0(VALU_DEP_2)
	v_cmpx_gt_u64_e32 0x47600001, v[2:3]
	s_xor_b32 s26, exec_lo, s10
	s_cbranch_execz .LBB6_441
; %bb.432:                              ;   in Loop: Header=BB6_130 Depth=2
	v_mov_b32_e32 v36, 0
	s_mov_b32 s27, exec_lo
	v_cmpx_ne_u32_e32 0, v0
	s_cbranch_execz .LBB6_440
; %bb.433:                              ;   in Loop: Header=BB6_130 Depth=2
	v_bfe_u32 v36, v0, 23, 8
	v_or_b32_e32 v2, 0x800000, v4
	s_mov_b32 s28, exec_lo
	s_delay_alu instid0(VALU_DEP_2) | instskip(SKIP_1) | instid1(VALU_DEP_2)
	v_dual_mov_b32 v3, v5 :: v_dual_sub_nc_u32 v0, 0x71, v36
	v_cmp_gt_u32_e32 vcc_lo, 0x72, v36
	v_cndmask_b32_e32 v0, 0, v0, vcc_lo
	v_cmp_eq_u32_e32 vcc_lo, 0, v36
	s_delay_alu instid0(VALU_DEP_2) | instskip(SKIP_1) | instid1(VALU_DEP_2)
	v_cndmask_b32_e64 v48, v0, 0x70, vcc_lo
	v_cndmask_b32_e32 v2, v2, v4, vcc_lo
	v_dual_add_nc_u32 v0, 21, v48 :: v_dual_add_nc_u32 v49, 20, v48
	s_delay_alu instid0(VALU_DEP_1) | instskip(NEXT) | instid1(VALU_DEP_2)
	v_lshlrev_b64_e64 v[0:1], v0, -1
	v_lshlrev_b64_e64 v[54:55], v49, 1
	s_delay_alu instid0(VALU_DEP_2) | instskip(NEXT) | instid1(VALU_DEP_3)
	v_bfi_b32 v65, v1, 0, 0
	v_bfi_b32 v64, v0, 0, v2
	v_lshrrev_b64 v[0:1], v48, v[2:3]
	s_delay_alu instid0(VALU_DEP_1) | instskip(NEXT) | instid1(VALU_DEP_3)
	v_mov_b64_e32 v[2:3], v[0:1]
	v_cmpx_eq_u64_e64 v[64:65], v[54:55]
; %bb.434:                              ;   in Loop: Header=BB6_130 Depth=2
	v_bfe_u32 v2, v0, 21, 1
	v_mov_b32_e32 v3, v5
	s_delay_alu instid0(VALU_DEP_1) | instskip(NEXT) | instid1(VALU_DEP_1)
	v_add_nc_u64_e32 v[2:3], v[0:1], v[2:3]
	v_add_nc_u64_e32 v[2:3], -1, v[2:3]
; %bb.435:                              ;   in Loop: Header=BB6_130 Depth=2
	s_or_b32 exec_lo, exec_lo, s28
	v_add_nc_u32_e32 v1, 0xffffff81, v36
	v_lshrrev_b32_e32 v3, 23, v0
	s_mov_b32 s10, exec_lo
	s_delay_alu instid0(VALU_DEP_2) | instskip(NEXT) | instid1(VALU_DEP_1)
	v_cndmask_b32_e64 v1, v1, 0xffffff82, vcc_lo
	v_add3_u32 v3, v48, v1, v3
	v_and_b32_e32 v1, 0x1fffff, v2
                                        ; implicit-def: $vgpr2
	s_delay_alu instid0(VALU_DEP_1) | instskip(NEXT) | instid1(VALU_DEP_1)
	v_dual_add_nc_u32 v36, 14, v3 :: v_dual_add_nc_u32 v4, v1, v0
                                        ; implicit-def: $vgpr0_vgpr1
	v_cmpx_ne_u32_e32 0, v36
	s_xor_b32 s10, exec_lo, s10
; %bb.436:                              ;   in Loop: Header=BB6_130 Depth=2
	s_delay_alu instid0(VALU_DEP_2) | instskip(SKIP_1) | instid1(VALU_DEP_1)
	v_cmp_lt_u64_e32 vcc_lo, 0xffffff, v[4:5]
	v_add_nc_u32_e32 v0, 15, v3
	v_cndmask_b32_e32 v2, v36, v0, vcc_lo
	v_cndmask_b32_e64 v0, 0, 1, vcc_lo
	s_delay_alu instid0(VALU_DEP_1)
	v_lshrrev_b64 v[0:1], v0, v[4:5]
; %bb.437:                              ;   in Loop: Header=BB6_130 Depth=2
	s_and_not1_saveexec_b32 s10, s10
; %bb.438:                              ;   in Loop: Header=BB6_130 Depth=2
	v_mov_b64_e32 v[0:1], v[4:5]
	v_bfe_u32 v2, v4, 23, 1
; %bb.439:                              ;   in Loop: Header=BB6_130 Depth=2
	s_or_b32 exec_lo, exec_lo, s10
	s_delay_alu instid0(VALU_DEP_2) | instskip(NEXT) | instid1(VALU_DEP_2)
	v_lshrrev_b64 v[0:1], 21, v[0:1]
	v_cmp_gt_i32_e32 vcc_lo, 32, v2
	v_min_i32_e32 v3, 31, v2
	v_cmp_eq_u32_e64 s10, 0, v2
	s_delay_alu instid0(VALU_DEP_2) | instskip(SKIP_1) | instid1(VALU_DEP_2)
	v_dual_cndmask_b32 v1, 0, v1, vcc_lo :: v_dual_lshlrev_b32 v3, 2, v3
	v_cndmask_b32_e32 v0, 3, v0, vcc_lo
	v_and_b32_e32 v3, 0xfc, v3
	s_delay_alu instid0(VALU_DEP_2) | instskip(NEXT) | instid1(VALU_DEP_2)
	v_cmp_eq_u64_e32 vcc_lo, 0, v[0:1]
	v_and_or_b32 v0, v0, 3, v3
	s_and_b32 s10, s10, vcc_lo
	s_delay_alu instid0(VALU_DEP_1) | instid1(SALU_CYCLE_1)
	v_cndmask_b32_e64 v0, v0, 0, s10
	s_delay_alu instid0(VALU_DEP_1)
	v_or_b32_e32 v36, v0, v37
.LBB6_440:                              ;   in Loop: Header=BB6_130 Depth=2
	s_or_b32 exec_lo, exec_lo, s27
                                        ; implicit-def: $vgpr37
.LBB6_441:                              ;   in Loop: Header=BB6_130 Depth=2
	s_and_not1_saveexec_b32 s10, s26
; %bb.442:                              ;   in Loop: Header=BB6_130 Depth=2
	v_or_b32_e32 v36, 0x7b, v37
; %bb.443:                              ;   in Loop: Header=BB6_130 Depth=2
	s_or_b32 exec_lo, exec_lo, s10
                                        ; implicit-def: $vgpr0
                                        ; implicit-def: $vgpr1
.LBB6_444:                              ;   in Loop: Header=BB6_130 Depth=2
	s_and_not1_saveexec_b32 s10, s25
	s_cbranch_execz .LBB6_450
; %bb.445:                              ;   in Loop: Header=BB6_130 Depth=2
	s_mov_b32 s25, exec_lo
                                        ; implicit-def: $vgpr36
	v_cmpx_ne_u64_e32 0, v[4:5]
	s_xor_b32 s25, exec_lo, s25
; %bb.446:                              ;   in Loop: Header=BB6_130 Depth=2
	v_or_b32_e32 v36, 0x7f, v1
                                        ; implicit-def: $vgpr0
; %bb.447:                              ;   in Loop: Header=BB6_130 Depth=2
	s_and_not1_saveexec_b32 s25, s25
; %bb.448:                              ;   in Loop: Header=BB6_130 Depth=2
	v_cmp_lt_i32_e32 vcc_lo, -1, v0
	v_cndmask_b32_e32 v36, 0xfc, v108, vcc_lo
; %bb.449:                              ;   in Loop: Header=BB6_130 Depth=2
	s_or_b32 exec_lo, exec_lo, s25
.LBB6_450:                              ;   in Loop: Header=BB6_130 Depth=2
	s_delay_alu instid0(SALU_CYCLE_1) | instskip(SKIP_2) | instid1(VALU_DEP_2)
	s_or_b32 exec_lo, exec_lo, s10
	v_and_b32_e32 v1, 0xff, v50
	v_mov_b32_e32 v0, 0
	v_cmp_ne_u16_e32 vcc_lo, 0, v1
	v_mov_b32_e32 v1, 0
	s_and_saveexec_b32 s10, vcc_lo
	s_cbranch_execz .LBB6_460
; %bb.451:                              ;   in Loop: Header=BB6_130 Depth=2
	v_bfe_i32 v3, v50, 0, 8
	v_bfrev_b32_e32 v1, 1
	s_mov_b32 s25, exec_lo
	s_delay_alu instid0(VALU_DEP_2)
	v_cmpx_ne_u16_e32 0xff80, v3
	s_cbranch_execz .LBB6_459
; %bb.452:                              ;   in Loop: Header=BB6_130 Depth=2
	v_and_b32_e32 v1, 0x7c, v50
	v_and_b32_e32 v2, 3, v50
	s_delay_alu instid0(VALU_DEP_2) | instskip(SKIP_1) | instid1(SALU_CYCLE_1)
	v_cmp_ne_u32_e32 vcc_lo, 0x7c, v1
                                        ; implicit-def: $vgpr1
	s_and_saveexec_b32 s26, vcc_lo
	s_xor_b32 s26, exec_lo, s26
	s_cbranch_execz .LBB6_456
; %bb.453:                              ;   in Loop: Header=BB6_130 Depth=2
	v_bfe_u32 v1, v50, 2, 5
	s_mov_b32 s27, exec_lo
	s_delay_alu instid0(VALU_DEP_1)
	v_cmpx_eq_u32_e32 0, v1
; %bb.454:                              ;   in Loop: Header=BB6_130 Depth=2
	v_clz_i32_u32_e32 v1, v2
	s_delay_alu instid0(VALU_DEP_1) | instskip(NEXT) | instid1(VALU_DEP_1)
	v_min_u32_e32 v1, 32, v1
	v_subrev_nc_u32_e32 v2, 29, v1
	s_delay_alu instid0(VALU_DEP_1) | instskip(NEXT) | instid1(VALU_DEP_1)
	v_lshlrev_b64_e32 v[2:3], v2, v[50:51]
	v_dual_sub_nc_u32 v1, 30, v1 :: v_dual_bitop2_b32 v2, 3, v2 bitop3:0x40
; %bb.455:                              ;   in Loop: Header=BB6_130 Depth=2
	s_or_b32 exec_lo, exec_lo, s27
	v_lshlrev_b32_e32 v3, 24, v50
	s_delay_alu instid0(VALU_DEP_1) | instskip(NEXT) | instid1(VALU_DEP_1)
	v_and_b32_e32 v3, 0x80000000, v3
	v_lshl_add_u32 v1, v1, 23, v3
                                        ; implicit-def: $vgpr3
	s_delay_alu instid0(VALU_DEP_1) | instskip(NEXT) | instid1(VALU_DEP_1)
	v_lshl_or_b32 v1, v2, 21, v1
                                        ; implicit-def: $vgpr2
	v_add_nc_u32_e32 v1, 0x38000000, v1
.LBB6_456:                              ;   in Loop: Header=BB6_130 Depth=2
	s_and_not1_saveexec_b32 s26, s26
; %bb.457:                              ;   in Loop: Header=BB6_130 Depth=2
	v_cmp_lt_i16_e32 vcc_lo, -1, v3
	v_cndmask_b32_e32 v1, 0xff800000, v109, vcc_lo
	v_cmp_eq_u32_e32 vcc_lo, 0, v2
	s_delay_alu instid0(VALU_DEP_2)
	v_cndmask_b32_e32 v1, 0x7f800001, v1, vcc_lo
; %bb.458:                              ;   in Loop: Header=BB6_130 Depth=2
	s_or_b32 exec_lo, exec_lo, s26
.LBB6_459:                              ;   in Loop: Header=BB6_130 Depth=2
	s_delay_alu instid0(SALU_CYCLE_1)
	s_or_b32 exec_lo, exec_lo, s25
.LBB6_460:                              ;   in Loop: Header=BB6_130 Depth=2
	s_delay_alu instid0(SALU_CYCLE_1) | instskip(SKIP_2) | instid1(VALU_DEP_1)
	s_or_b32 exec_lo, exec_lo, s10
	v_and_b32_e32 v2, 0xff, v38
	s_mov_b32 s10, exec_lo
	v_cmpx_ne_u16_e32 0, v2
	s_cbranch_execz .LBB6_470
; %bb.461:                              ;   in Loop: Header=BB6_130 Depth=2
	v_bfe_i32 v3, v38, 0, 8
	v_bfrev_b32_e32 v0, 1
	s_mov_b32 s25, exec_lo
	s_delay_alu instid0(VALU_DEP_2)
	v_cmpx_ne_u16_e32 0xff80, v3
	s_cbranch_execz .LBB6_469
; %bb.462:                              ;   in Loop: Header=BB6_130 Depth=2
	v_and_b32_e32 v0, 0x7c, v38
	v_and_b32_e32 v2, 3, v38
	s_delay_alu instid0(VALU_DEP_2) | instskip(SKIP_1) | instid1(SALU_CYCLE_1)
	v_cmp_ne_u32_e32 vcc_lo, 0x7c, v0
                                        ; implicit-def: $vgpr0
	s_and_saveexec_b32 s26, vcc_lo
	s_xor_b32 s26, exec_lo, s26
	s_cbranch_execz .LBB6_466
; %bb.463:                              ;   in Loop: Header=BB6_130 Depth=2
	v_bfe_u32 v0, v38, 2, 5
	s_mov_b32 s27, exec_lo
	s_delay_alu instid0(VALU_DEP_1)
	v_cmpx_eq_u32_e32 0, v0
; %bb.464:                              ;   in Loop: Header=BB6_130 Depth=2
	v_clz_i32_u32_e32 v0, v2
	s_delay_alu instid0(VALU_DEP_1) | instskip(NEXT) | instid1(VALU_DEP_1)
	v_min_u32_e32 v0, 32, v0
	v_subrev_nc_u32_e32 v2, 29, v0
	s_delay_alu instid0(VALU_DEP_1) | instskip(NEXT) | instid1(VALU_DEP_1)
	v_lshlrev_b64_e32 v[2:3], v2, v[38:39]
	v_dual_sub_nc_u32 v0, 30, v0 :: v_dual_bitop2_b32 v2, 3, v2 bitop3:0x40
; %bb.465:                              ;   in Loop: Header=BB6_130 Depth=2
	s_or_b32 exec_lo, exec_lo, s27
	v_lshlrev_b32_e32 v3, 24, v38
	s_delay_alu instid0(VALU_DEP_1) | instskip(NEXT) | instid1(VALU_DEP_1)
	v_and_b32_e32 v3, 0x80000000, v3
	v_lshl_add_u32 v0, v0, 23, v3
                                        ; implicit-def: $vgpr3
	s_delay_alu instid0(VALU_DEP_1) | instskip(NEXT) | instid1(VALU_DEP_1)
	v_lshl_or_b32 v0, v2, 21, v0
                                        ; implicit-def: $vgpr2
	v_add_nc_u32_e32 v0, 0x38000000, v0
.LBB6_466:                              ;   in Loop: Header=BB6_130 Depth=2
	s_and_not1_saveexec_b32 s26, s26
; %bb.467:                              ;   in Loop: Header=BB6_130 Depth=2
	v_cmp_lt_i16_e32 vcc_lo, -1, v3
	v_cndmask_b32_e32 v0, 0xff800000, v109, vcc_lo
	v_cmp_eq_u32_e32 vcc_lo, 0, v2
	s_delay_alu instid0(VALU_DEP_2)
	v_cndmask_b32_e32 v0, 0x7f800001, v0, vcc_lo
; %bb.468:                              ;   in Loop: Header=BB6_130 Depth=2
	s_or_b32 exec_lo, exec_lo, s26
.LBB6_469:                              ;   in Loop: Header=BB6_130 Depth=2
	s_delay_alu instid0(SALU_CYCLE_1)
	s_or_b32 exec_lo, exec_lo, s25
.LBB6_470:                              ;   in Loop: Header=BB6_130 Depth=2
	s_delay_alu instid0(SALU_CYCLE_1) | instskip(NEXT) | instid1(VALU_DEP_1)
	s_or_b32 exec_lo, exec_lo, s10
	v_mul_f32_e32 v0, v1, v0
	v_mov_b32_e32 v3, v5
                                        ; implicit-def: $vgpr37
	s_mov_b32 s10, exec_lo
	s_delay_alu instid0(VALU_DEP_2) | instskip(SKIP_2) | instid1(VALU_DEP_3)
	v_and_b32_e32 v2, 0x7f800000, v0
	v_and_b32_e32 v4, 0x7fffff, v0
	v_lshrrev_b32_e32 v1, 24, v0
	v_cmpx_ne_u64_e32 0x7f800000, v[2:3]
	s_xor_b32 s25, exec_lo, s10
	s_cbranch_execz .LBB6_484
; %bb.471:                              ;   in Loop: Header=BB6_130 Depth=2
	v_and_b32_e32 v2, 0x7fffffff, v0
	v_mov_b32_e32 v3, v5
	v_and_b32_e32 v48, 0x80, v1
                                        ; implicit-def: $vgpr37
	s_mov_b32 s10, exec_lo
	s_delay_alu instid0(VALU_DEP_2)
	v_cmpx_gt_u64_e32 0x47600001, v[2:3]
	s_xor_b32 s26, exec_lo, s10
	s_cbranch_execz .LBB6_481
; %bb.472:                              ;   in Loop: Header=BB6_130 Depth=2
	v_mov_b32_e32 v37, 0
	s_mov_b32 s27, exec_lo
	v_cmpx_ne_u32_e32 0, v0
	s_cbranch_execz .LBB6_480
; %bb.473:                              ;   in Loop: Header=BB6_130 Depth=2
	v_bfe_u32 v37, v0, 23, 8
	v_or_b32_e32 v2, 0x800000, v4
	s_mov_b32 s28, exec_lo
	s_delay_alu instid0(VALU_DEP_2) | instskip(SKIP_1) | instid1(VALU_DEP_2)
	v_dual_mov_b32 v3, v5 :: v_dual_sub_nc_u32 v0, 0x71, v37
	v_cmp_gt_u32_e32 vcc_lo, 0x72, v37
	v_cndmask_b32_e32 v0, 0, v0, vcc_lo
	v_cmp_eq_u32_e32 vcc_lo, 0, v37
	s_delay_alu instid0(VALU_DEP_2) | instskip(NEXT) | instid1(VALU_DEP_1)
	v_cndmask_b32_e64 v49, v0, 0x70, vcc_lo
	v_dual_cndmask_b32 v2, v2, v4, vcc_lo :: v_dual_add_nc_u32 v0, 21, v49
	v_add_nc_u32_e32 v54, 20, v49
	s_delay_alu instid0(VALU_DEP_2) | instskip(NEXT) | instid1(VALU_DEP_2)
	v_lshlrev_b64_e64 v[0:1], v0, -1
	v_lshlrev_b64_e64 v[54:55], v54, 1
	s_delay_alu instid0(VALU_DEP_2) | instskip(NEXT) | instid1(VALU_DEP_3)
	v_bfi_b32 v65, v1, 0, 0
	v_bfi_b32 v64, v0, 0, v2
	v_lshrrev_b64 v[0:1], v49, v[2:3]
	s_delay_alu instid0(VALU_DEP_1) | instskip(NEXT) | instid1(VALU_DEP_3)
	v_mov_b64_e32 v[2:3], v[0:1]
	v_cmpx_eq_u64_e64 v[64:65], v[54:55]
; %bb.474:                              ;   in Loop: Header=BB6_130 Depth=2
	v_bfe_u32 v2, v0, 21, 1
	v_mov_b32_e32 v3, v5
	s_delay_alu instid0(VALU_DEP_1) | instskip(NEXT) | instid1(VALU_DEP_1)
	v_add_nc_u64_e32 v[2:3], v[0:1], v[2:3]
	v_add_nc_u64_e32 v[2:3], -1, v[2:3]
; %bb.475:                              ;   in Loop: Header=BB6_130 Depth=2
	s_or_b32 exec_lo, exec_lo, s28
	v_add_nc_u32_e32 v1, 0xffffff81, v37
	v_lshrrev_b32_e32 v3, 23, v0
	s_mov_b32 s10, exec_lo
	s_delay_alu instid0(VALU_DEP_2) | instskip(NEXT) | instid1(VALU_DEP_1)
	v_cndmask_b32_e64 v1, v1, 0xffffff82, vcc_lo
	v_add3_u32 v3, v49, v1, v3
	v_and_b32_e32 v1, 0x1fffff, v2
                                        ; implicit-def: $vgpr2
	s_delay_alu instid0(VALU_DEP_1) | instskip(NEXT) | instid1(VALU_DEP_1)
	v_dual_add_nc_u32 v37, 14, v3 :: v_dual_add_nc_u32 v4, v1, v0
                                        ; implicit-def: $vgpr0_vgpr1
	v_cmpx_ne_u32_e32 0, v37
	s_xor_b32 s10, exec_lo, s10
; %bb.476:                              ;   in Loop: Header=BB6_130 Depth=2
	s_delay_alu instid0(VALU_DEP_2) | instskip(SKIP_1) | instid1(VALU_DEP_1)
	v_cmp_lt_u64_e32 vcc_lo, 0xffffff, v[4:5]
	v_add_nc_u32_e32 v0, 15, v3
	v_cndmask_b32_e32 v2, v37, v0, vcc_lo
	v_cndmask_b32_e64 v0, 0, 1, vcc_lo
	s_delay_alu instid0(VALU_DEP_1)
	v_lshrrev_b64 v[0:1], v0, v[4:5]
; %bb.477:                              ;   in Loop: Header=BB6_130 Depth=2
	s_and_not1_saveexec_b32 s10, s10
; %bb.478:                              ;   in Loop: Header=BB6_130 Depth=2
	v_mov_b64_e32 v[0:1], v[4:5]
	v_bfe_u32 v2, v4, 23, 1
; %bb.479:                              ;   in Loop: Header=BB6_130 Depth=2
	s_or_b32 exec_lo, exec_lo, s10
	s_delay_alu instid0(VALU_DEP_2) | instskip(NEXT) | instid1(VALU_DEP_2)
	v_lshrrev_b64 v[0:1], 21, v[0:1]
	v_cmp_gt_i32_e32 vcc_lo, 32, v2
	v_min_i32_e32 v3, 31, v2
	v_cmp_eq_u32_e64 s10, 0, v2
	s_delay_alu instid0(VALU_DEP_2) | instskip(SKIP_1) | instid1(VALU_DEP_2)
	v_dual_cndmask_b32 v1, 0, v1, vcc_lo :: v_dual_lshlrev_b32 v3, 2, v3
	v_cndmask_b32_e32 v0, 3, v0, vcc_lo
	v_and_b32_e32 v3, 0xfc, v3
	s_delay_alu instid0(VALU_DEP_2) | instskip(NEXT) | instid1(VALU_DEP_2)
	v_cmp_eq_u64_e32 vcc_lo, 0, v[0:1]
	v_and_or_b32 v0, v0, 3, v3
	s_and_b32 s10, s10, vcc_lo
	s_delay_alu instid0(VALU_DEP_1) | instid1(SALU_CYCLE_1)
	v_cndmask_b32_e64 v0, v0, 0, s10
	s_delay_alu instid0(VALU_DEP_1)
	v_or_b32_e32 v37, v0, v48
.LBB6_480:                              ;   in Loop: Header=BB6_130 Depth=2
	s_or_b32 exec_lo, exec_lo, s27
                                        ; implicit-def: $vgpr48
.LBB6_481:                              ;   in Loop: Header=BB6_130 Depth=2
	s_and_not1_saveexec_b32 s10, s26
; %bb.482:                              ;   in Loop: Header=BB6_130 Depth=2
	v_or_b32_e32 v37, 0x7b, v48
; %bb.483:                              ;   in Loop: Header=BB6_130 Depth=2
	s_or_b32 exec_lo, exec_lo, s10
                                        ; implicit-def: $vgpr0
                                        ; implicit-def: $vgpr1
.LBB6_484:                              ;   in Loop: Header=BB6_130 Depth=2
	s_and_not1_saveexec_b32 s10, s25
	s_cbranch_execz .LBB6_490
; %bb.485:                              ;   in Loop: Header=BB6_130 Depth=2
	s_mov_b32 s25, exec_lo
                                        ; implicit-def: $vgpr37
	v_cmpx_ne_u64_e32 0, v[4:5]
	s_xor_b32 s25, exec_lo, s25
; %bb.486:                              ;   in Loop: Header=BB6_130 Depth=2
	v_or_b32_e32 v37, 0x7f, v1
                                        ; implicit-def: $vgpr0
; %bb.487:                              ;   in Loop: Header=BB6_130 Depth=2
	s_and_not1_saveexec_b32 s25, s25
; %bb.488:                              ;   in Loop: Header=BB6_130 Depth=2
	v_cmp_lt_i32_e32 vcc_lo, -1, v0
	v_cndmask_b32_e32 v37, 0xfc, v108, vcc_lo
; %bb.489:                              ;   in Loop: Header=BB6_130 Depth=2
	s_or_b32 exec_lo, exec_lo, s25
.LBB6_490:                              ;   in Loop: Header=BB6_130 Depth=2
	s_delay_alu instid0(SALU_CYCLE_1) | instskip(SKIP_3) | instid1(VALU_DEP_2)
	s_or_b32 exec_lo, exec_lo, s10
	v_lshrrev_b16 v0, 8, v50
	v_dual_mov_b32 v2, 0 :: v_dual_mov_b32 v3, 0
	s_mov_b32 s10, exec_lo
	v_cmpx_ne_u16_e32 0, v0
	s_cbranch_execz .LBB6_500
; %bb.491:                              ;   in Loop: Header=BB6_130 Depth=2
	v_bfrev_b32_e32 v3, 1
	s_mov_b32 s25, exec_lo
	v_cmpx_ne_u16_e32 0x80, v0
	s_cbranch_execz .LBB6_499
; %bb.492:                              ;   in Loop: Header=BB6_130 Depth=2
	v_and_b32_e32 v4, 0xffff, v0
	s_delay_alu instid0(VALU_DEP_1) | instskip(SKIP_1) | instid1(VALU_DEP_2)
	v_and_b32_e32 v3, 0x7c, v4
	v_and_b32_e32 v1, 3, v4
	v_cmp_ne_u32_e32 vcc_lo, 0x7c, v3
                                        ; implicit-def: $vgpr3
	s_and_saveexec_b32 s26, vcc_lo
	s_delay_alu instid0(SALU_CYCLE_1)
	s_xor_b32 s26, exec_lo, s26
	s_cbranch_execz .LBB6_496
; %bb.493:                              ;   in Loop: Header=BB6_130 Depth=2
	v_bfe_u32 v3, v4, 2, 5
	s_mov_b32 s27, exec_lo
	s_delay_alu instid0(VALU_DEP_1)
	v_cmpx_eq_u32_e32 0, v3
	s_cbranch_execz .LBB6_495
; %bb.494:                              ;   in Loop: Header=BB6_130 Depth=2
	v_clz_i32_u32_e32 v1, v1
	s_delay_alu instid0(VALU_DEP_1) | instskip(SKIP_1) | instid1(VALU_DEP_2)
	v_min_u32_e32 v3, 32, v1
	v_mov_b32_e32 v1, v5
	v_subrev_nc_u32_e32 v4, 29, v3
	v_sub_nc_u32_e32 v3, 30, v3
	s_delay_alu instid0(VALU_DEP_2) | instskip(NEXT) | instid1(VALU_DEP_1)
	v_lshlrev_b64_e32 v[0:1], v4, v[0:1]
	v_and_b32_e32 v1, 3, v0
.LBB6_495:                              ;   in Loop: Header=BB6_130 Depth=2
	s_or_b32 exec_lo, exec_lo, s27
	v_lshlrev_b32_e32 v0, 16, v50
	s_delay_alu instid0(VALU_DEP_1) | instskip(NEXT) | instid1(VALU_DEP_1)
	v_and_b32_e32 v0, 0x80000000, v0
	v_lshl_add_u32 v0, v3, 23, v0
	s_delay_alu instid0(VALU_DEP_1) | instskip(NEXT) | instid1(VALU_DEP_1)
	v_lshl_or_b32 v0, v1, 21, v0
                                        ; implicit-def: $vgpr1
	v_add_nc_u32_e32 v3, 0x38000000, v0
.LBB6_496:                              ;   in Loop: Header=BB6_130 Depth=2
	s_and_not1_saveexec_b32 s26, s26
; %bb.497:                              ;   in Loop: Header=BB6_130 Depth=2
	v_cmp_lt_i16_e32 vcc_lo, -1, v50
	v_cndmask_b32_e32 v0, 0xff800000, v109, vcc_lo
	v_cmp_eq_u32_e32 vcc_lo, 0, v1
	s_delay_alu instid0(VALU_DEP_2)
	v_cndmask_b32_e32 v3, 0x7f800001, v0, vcc_lo
; %bb.498:                              ;   in Loop: Header=BB6_130 Depth=2
	s_or_b32 exec_lo, exec_lo, s26
.LBB6_499:                              ;   in Loop: Header=BB6_130 Depth=2
	s_delay_alu instid0(SALU_CYCLE_1)
	s_or_b32 exec_lo, exec_lo, s25
.LBB6_500:                              ;   in Loop: Header=BB6_130 Depth=2
	s_delay_alu instid0(SALU_CYCLE_1) | instskip(SKIP_2) | instid1(VALU_DEP_1)
	s_or_b32 exec_lo, exec_lo, s10
	v_lshrrev_b16 v0, 8, v38
	s_mov_b32 s10, exec_lo
	v_cmpx_ne_u16_e32 0, v0
	s_cbranch_execz .LBB6_510
; %bb.501:                              ;   in Loop: Header=BB6_130 Depth=2
	v_bfrev_b32_e32 v2, 1
	s_mov_b32 s25, exec_lo
	v_cmpx_ne_u16_e32 0x80, v0
	s_cbranch_execz .LBB6_509
; %bb.502:                              ;   in Loop: Header=BB6_130 Depth=2
	v_and_b32_e32 v4, 0xffff, v0
	s_delay_alu instid0(VALU_DEP_1) | instskip(SKIP_1) | instid1(VALU_DEP_2)
	v_and_b32_e32 v2, 0x7c, v4
	v_and_b32_e32 v1, 3, v4
	v_cmp_ne_u32_e32 vcc_lo, 0x7c, v2
                                        ; implicit-def: $vgpr2
	s_and_saveexec_b32 s26, vcc_lo
	s_delay_alu instid0(SALU_CYCLE_1)
	s_xor_b32 s26, exec_lo, s26
	s_cbranch_execz .LBB6_506
; %bb.503:                              ;   in Loop: Header=BB6_130 Depth=2
	v_bfe_u32 v2, v4, 2, 5
	s_mov_b32 s27, exec_lo
	s_delay_alu instid0(VALU_DEP_1)
	v_cmpx_eq_u32_e32 0, v2
	s_cbranch_execz .LBB6_505
; %bb.504:                              ;   in Loop: Header=BB6_130 Depth=2
	v_clz_i32_u32_e32 v1, v1
	s_delay_alu instid0(VALU_DEP_1) | instskip(SKIP_1) | instid1(VALU_DEP_2)
	v_min_u32_e32 v2, 32, v1
	v_mov_b32_e32 v1, v5
	v_subrev_nc_u32_e32 v4, 29, v2
	v_sub_nc_u32_e32 v2, 30, v2
	s_delay_alu instid0(VALU_DEP_2) | instskip(NEXT) | instid1(VALU_DEP_1)
	v_lshlrev_b64_e32 v[0:1], v4, v[0:1]
	v_and_b32_e32 v1, 3, v0
.LBB6_505:                              ;   in Loop: Header=BB6_130 Depth=2
	s_or_b32 exec_lo, exec_lo, s27
	v_lshlrev_b32_e32 v0, 16, v38
	s_delay_alu instid0(VALU_DEP_1) | instskip(NEXT) | instid1(VALU_DEP_1)
	v_and_b32_e32 v0, 0x80000000, v0
	v_lshl_add_u32 v0, v2, 23, v0
	s_delay_alu instid0(VALU_DEP_1) | instskip(NEXT) | instid1(VALU_DEP_1)
	v_lshl_or_b32 v0, v1, 21, v0
                                        ; implicit-def: $vgpr1
	v_add_nc_u32_e32 v2, 0x38000000, v0
.LBB6_506:                              ;   in Loop: Header=BB6_130 Depth=2
	s_and_not1_saveexec_b32 s26, s26
; %bb.507:                              ;   in Loop: Header=BB6_130 Depth=2
	v_cmp_lt_i16_e32 vcc_lo, -1, v38
	v_cndmask_b32_e32 v0, 0xff800000, v109, vcc_lo
	v_cmp_eq_u32_e32 vcc_lo, 0, v1
	s_delay_alu instid0(VALU_DEP_2)
	v_cndmask_b32_e32 v2, 0x7f800001, v0, vcc_lo
; %bb.508:                              ;   in Loop: Header=BB6_130 Depth=2
	s_or_b32 exec_lo, exec_lo, s26
.LBB6_509:                              ;   in Loop: Header=BB6_130 Depth=2
	s_delay_alu instid0(SALU_CYCLE_1)
	s_or_b32 exec_lo, exec_lo, s25
.LBB6_510:                              ;   in Loop: Header=BB6_130 Depth=2
	s_delay_alu instid0(SALU_CYCLE_1) | instskip(NEXT) | instid1(VALU_DEP_1)
	s_or_b32 exec_lo, exec_lo, s10
	v_dual_mul_f32 v0, v3, v2 :: v_dual_mov_b32 v3, v5
                                        ; implicit-def: $vgpr48
	s_mov_b32 s10, exec_lo
	s_delay_alu instid0(VALU_DEP_1) | instskip(SKIP_2) | instid1(VALU_DEP_3)
	v_and_b32_e32 v2, 0x7f800000, v0
	v_and_b32_e32 v4, 0x7fffff, v0
	v_lshrrev_b32_e32 v1, 24, v0
	v_cmpx_ne_u64_e32 0x7f800000, v[2:3]
	s_xor_b32 s25, exec_lo, s10
	s_cbranch_execz .LBB6_524
; %bb.511:                              ;   in Loop: Header=BB6_130 Depth=2
	v_and_b32_e32 v2, 0x7fffffff, v0
	v_mov_b32_e32 v3, v5
	v_and_b32_e32 v49, 0x80, v1
                                        ; implicit-def: $vgpr48
	s_mov_b32 s10, exec_lo
	s_delay_alu instid0(VALU_DEP_2)
	v_cmpx_gt_u64_e32 0x47600001, v[2:3]
	s_xor_b32 s26, exec_lo, s10
	s_cbranch_execz .LBB6_521
; %bb.512:                              ;   in Loop: Header=BB6_130 Depth=2
	v_mov_b32_e32 v48, 0
	s_mov_b32 s27, exec_lo
	v_cmpx_ne_u32_e32 0, v0
	s_cbranch_execz .LBB6_520
; %bb.513:                              ;   in Loop: Header=BB6_130 Depth=2
	v_bfe_u32 v48, v0, 23, 8
	v_or_b32_e32 v2, 0x800000, v4
	s_mov_b32 s28, exec_lo
	s_delay_alu instid0(VALU_DEP_2) | instskip(SKIP_1) | instid1(VALU_DEP_2)
	v_dual_mov_b32 v3, v5 :: v_dual_sub_nc_u32 v0, 0x71, v48
	v_cmp_gt_u32_e32 vcc_lo, 0x72, v48
	v_cndmask_b32_e32 v0, 0, v0, vcc_lo
	v_cmp_eq_u32_e32 vcc_lo, 0, v48
	s_delay_alu instid0(VALU_DEP_2) | instskip(NEXT) | instid1(VALU_DEP_1)
	v_cndmask_b32_e64 v54, v0, 0x70, vcc_lo
	v_dual_cndmask_b32 v2, v2, v4, vcc_lo :: v_dual_add_nc_u32 v0, 21, v54
	v_add_nc_u32_e32 v55, 20, v54
	s_delay_alu instid0(VALU_DEP_2) | instskip(NEXT) | instid1(VALU_DEP_2)
	v_lshlrev_b64_e64 v[0:1], v0, -1
	v_lshlrev_b64_e64 v[64:65], v55, 1
	s_delay_alu instid0(VALU_DEP_2) | instskip(NEXT) | instid1(VALU_DEP_3)
	v_bfi_b32 v67, v1, 0, 0
	v_bfi_b32 v66, v0, 0, v2
	v_lshrrev_b64 v[0:1], v54, v[2:3]
	s_delay_alu instid0(VALU_DEP_1) | instskip(NEXT) | instid1(VALU_DEP_3)
	v_mov_b64_e32 v[2:3], v[0:1]
	v_cmpx_eq_u64_e64 v[66:67], v[64:65]
; %bb.514:                              ;   in Loop: Header=BB6_130 Depth=2
	v_bfe_u32 v2, v0, 21, 1
	v_mov_b32_e32 v3, v5
	s_delay_alu instid0(VALU_DEP_1) | instskip(NEXT) | instid1(VALU_DEP_1)
	v_add_nc_u64_e32 v[2:3], v[0:1], v[2:3]
	v_add_nc_u64_e32 v[2:3], -1, v[2:3]
; %bb.515:                              ;   in Loop: Header=BB6_130 Depth=2
	s_or_b32 exec_lo, exec_lo, s28
	v_add_nc_u32_e32 v1, 0xffffff81, v48
	v_lshrrev_b32_e32 v3, 23, v0
	s_mov_b32 s10, exec_lo
	s_delay_alu instid0(VALU_DEP_2) | instskip(NEXT) | instid1(VALU_DEP_1)
	v_cndmask_b32_e64 v1, v1, 0xffffff82, vcc_lo
	v_add3_u32 v3, v54, v1, v3
	v_and_b32_e32 v1, 0x1fffff, v2
                                        ; implicit-def: $vgpr2
	s_delay_alu instid0(VALU_DEP_1) | instskip(NEXT) | instid1(VALU_DEP_1)
	v_dual_add_nc_u32 v48, 14, v3 :: v_dual_add_nc_u32 v4, v1, v0
                                        ; implicit-def: $vgpr0_vgpr1
	v_cmpx_ne_u32_e32 0, v48
	s_xor_b32 s10, exec_lo, s10
; %bb.516:                              ;   in Loop: Header=BB6_130 Depth=2
	s_delay_alu instid0(VALU_DEP_2) | instskip(SKIP_1) | instid1(VALU_DEP_1)
	v_cmp_lt_u64_e32 vcc_lo, 0xffffff, v[4:5]
	v_add_nc_u32_e32 v0, 15, v3
	v_cndmask_b32_e32 v2, v48, v0, vcc_lo
	v_cndmask_b32_e64 v0, 0, 1, vcc_lo
	s_delay_alu instid0(VALU_DEP_1)
	v_lshrrev_b64 v[0:1], v0, v[4:5]
; %bb.517:                              ;   in Loop: Header=BB6_130 Depth=2
	s_and_not1_saveexec_b32 s10, s10
; %bb.518:                              ;   in Loop: Header=BB6_130 Depth=2
	v_mov_b64_e32 v[0:1], v[4:5]
	v_bfe_u32 v2, v4, 23, 1
; %bb.519:                              ;   in Loop: Header=BB6_130 Depth=2
	s_or_b32 exec_lo, exec_lo, s10
	s_delay_alu instid0(VALU_DEP_2) | instskip(NEXT) | instid1(VALU_DEP_2)
	v_lshrrev_b64 v[0:1], 21, v[0:1]
	v_cmp_gt_i32_e32 vcc_lo, 32, v2
	v_min_i32_e32 v3, 31, v2
	v_cmp_eq_u32_e64 s10, 0, v2
	s_delay_alu instid0(VALU_DEP_2) | instskip(SKIP_1) | instid1(VALU_DEP_2)
	v_dual_cndmask_b32 v1, 0, v1, vcc_lo :: v_dual_lshlrev_b32 v3, 2, v3
	v_cndmask_b32_e32 v0, 3, v0, vcc_lo
	v_and_b32_e32 v3, 0xfc, v3
	s_delay_alu instid0(VALU_DEP_2) | instskip(NEXT) | instid1(VALU_DEP_2)
	v_cmp_eq_u64_e32 vcc_lo, 0, v[0:1]
	v_and_or_b32 v0, v0, 3, v3
	s_and_b32 s10, s10, vcc_lo
	s_delay_alu instid0(VALU_DEP_1) | instid1(SALU_CYCLE_1)
	v_cndmask_b32_e64 v0, v0, 0, s10
	s_delay_alu instid0(VALU_DEP_1)
	v_or_b32_e32 v48, v0, v49
.LBB6_520:                              ;   in Loop: Header=BB6_130 Depth=2
	s_or_b32 exec_lo, exec_lo, s27
                                        ; implicit-def: $vgpr49
.LBB6_521:                              ;   in Loop: Header=BB6_130 Depth=2
	s_and_not1_saveexec_b32 s10, s26
; %bb.522:                              ;   in Loop: Header=BB6_130 Depth=2
	v_or_b32_e32 v48, 0x7b, v49
; %bb.523:                              ;   in Loop: Header=BB6_130 Depth=2
	s_or_b32 exec_lo, exec_lo, s10
                                        ; implicit-def: $vgpr0
                                        ; implicit-def: $vgpr1
.LBB6_524:                              ;   in Loop: Header=BB6_130 Depth=2
	s_and_not1_saveexec_b32 s10, s25
	s_cbranch_execz .LBB6_530
; %bb.525:                              ;   in Loop: Header=BB6_130 Depth=2
	s_mov_b32 s25, exec_lo
                                        ; implicit-def: $vgpr48
	v_cmpx_ne_u64_e32 0, v[4:5]
	s_xor_b32 s25, exec_lo, s25
; %bb.526:                              ;   in Loop: Header=BB6_130 Depth=2
	v_or_b32_e32 v48, 0x7f, v1
                                        ; implicit-def: $vgpr0
; %bb.527:                              ;   in Loop: Header=BB6_130 Depth=2
	s_and_not1_saveexec_b32 s25, s25
; %bb.528:                              ;   in Loop: Header=BB6_130 Depth=2
	v_cmp_lt_i32_e32 vcc_lo, -1, v0
	v_cndmask_b32_e32 v48, 0xfc, v108, vcc_lo
; %bb.529:                              ;   in Loop: Header=BB6_130 Depth=2
	s_or_b32 exec_lo, exec_lo, s25
.LBB6_530:                              ;   in Loop: Header=BB6_130 Depth=2
	s_delay_alu instid0(SALU_CYCLE_1) | instskip(SKIP_3) | instid1(VALU_DEP_2)
	s_or_b32 exec_lo, exec_lo, s10
	v_dual_mov_b32 v1, 0 :: v_dual_lshrrev_b32 v0, 16, v50
	v_mov_b32_e32 v2, 0
	s_mov_b32 s10, exec_lo
	v_and_b32_e32 v3, 0xff, v0
	s_delay_alu instid0(VALU_DEP_1)
	v_cmpx_ne_u16_e32 0, v3
	s_cbranch_execz .LBB6_540
; %bb.531:                              ;   in Loop: Header=BB6_130 Depth=2
	v_bfrev_b32_e32 v2, 1
	s_mov_b32 s25, exec_lo
	v_cmpx_ne_u16_e32 0x80, v3
	s_cbranch_execz .LBB6_539
; %bb.532:                              ;   in Loop: Header=BB6_130 Depth=2
	v_and_b32_e32 v2, 0x7c0000, v50
	v_bfe_u32 v3, v50, 16, 2
	s_delay_alu instid0(VALU_DEP_2) | instskip(SKIP_1) | instid1(SALU_CYCLE_1)
	v_cmp_ne_u32_e32 vcc_lo, 0x7c0000, v2
                                        ; implicit-def: $vgpr2
	s_and_saveexec_b32 s26, vcc_lo
	s_xor_b32 s26, exec_lo, s26
	s_cbranch_execz .LBB6_536
; %bb.533:                              ;   in Loop: Header=BB6_130 Depth=2
	v_bfe_u32 v2, v50, 18, 5
	s_mov_b32 s27, exec_lo
	s_delay_alu instid0(VALU_DEP_1)
	v_cmpx_eq_u32_e32 0, v2
; %bb.534:                              ;   in Loop: Header=BB6_130 Depth=2
	v_clz_i32_u32_e32 v2, v3
	s_delay_alu instid0(VALU_DEP_1) | instskip(NEXT) | instid1(VALU_DEP_1)
	v_min_u32_e32 v2, 32, v2
	v_subrev_nc_u32_e32 v3, 29, v2
	v_sub_nc_u32_e32 v2, 30, v2
	s_delay_alu instid0(VALU_DEP_2) | instskip(NEXT) | instid1(VALU_DEP_1)
	v_lshlrev_b64_e32 v[54:55], v3, v[0:1]
	v_and_b32_e32 v3, 3, v54
; %bb.535:                              ;   in Loop: Header=BB6_130 Depth=2
	s_or_b32 exec_lo, exec_lo, s27
	v_lshlrev_b32_e32 v0, 24, v0
	s_delay_alu instid0(VALU_DEP_1) | instskip(NEXT) | instid1(VALU_DEP_1)
	v_and_b32_e32 v0, 0x80000000, v0
	v_lshl_add_u32 v0, v2, 23, v0
	s_delay_alu instid0(VALU_DEP_1) | instskip(NEXT) | instid1(VALU_DEP_1)
	v_lshl_or_b32 v0, v3, 21, v0
                                        ; implicit-def: $vgpr3
	v_add_nc_u32_e32 v2, 0x38000000, v0
                                        ; implicit-def: $vgpr0
.LBB6_536:                              ;   in Loop: Header=BB6_130 Depth=2
	s_and_not1_saveexec_b32 s26, s26
; %bb.537:                              ;   in Loop: Header=BB6_130 Depth=2
	v_bfe_i32 v0, v0, 0, 8
	s_delay_alu instid0(VALU_DEP_1) | instskip(SKIP_2) | instid1(VALU_DEP_2)
	v_cmp_lt_i16_e32 vcc_lo, -1, v0
	v_cndmask_b32_e32 v0, 0xff800000, v109, vcc_lo
	v_cmp_eq_u32_e32 vcc_lo, 0, v3
	v_cndmask_b32_e32 v2, 0x7f800001, v0, vcc_lo
; %bb.538:                              ;   in Loop: Header=BB6_130 Depth=2
	s_or_b32 exec_lo, exec_lo, s26
.LBB6_539:                              ;   in Loop: Header=BB6_130 Depth=2
	s_delay_alu instid0(SALU_CYCLE_1)
	s_or_b32 exec_lo, exec_lo, s25
.LBB6_540:                              ;   in Loop: Header=BB6_130 Depth=2
	s_delay_alu instid0(SALU_CYCLE_1) | instskip(SKIP_2) | instid1(VALU_DEP_1)
	s_or_b32 exec_lo, exec_lo, s10
	v_lshrrev_b32_e32 v0, 16, v38
	s_mov_b32 s10, exec_lo
	v_and_b32_e32 v3, 0xff, v0
	s_delay_alu instid0(VALU_DEP_1)
	v_cmpx_ne_u16_e32 0, v3
	s_cbranch_execz .LBB6_550
; %bb.541:                              ;   in Loop: Header=BB6_130 Depth=2
	v_bfrev_b32_e32 v1, 1
	s_mov_b32 s25, exec_lo
	v_cmpx_ne_u16_e32 0x80, v3
	s_cbranch_execz .LBB6_549
; %bb.542:                              ;   in Loop: Header=BB6_130 Depth=2
	v_and_b32_e32 v1, 0x7c0000, v38
	v_bfe_u32 v3, v38, 16, 2
	s_delay_alu instid0(VALU_DEP_2) | instskip(SKIP_1) | instid1(SALU_CYCLE_1)
	v_cmp_ne_u32_e32 vcc_lo, 0x7c0000, v1
                                        ; implicit-def: $vgpr1
	s_and_saveexec_b32 s26, vcc_lo
	s_xor_b32 s26, exec_lo, s26
	s_cbranch_execz .LBB6_546
; %bb.543:                              ;   in Loop: Header=BB6_130 Depth=2
	v_bfe_u32 v1, v38, 18, 5
	s_mov_b32 s27, exec_lo
	s_delay_alu instid0(VALU_DEP_1)
	v_cmpx_eq_u32_e32 0, v1
; %bb.544:                              ;   in Loop: Header=BB6_130 Depth=2
	v_clz_i32_u32_e32 v1, v3
	s_delay_alu instid0(VALU_DEP_1) | instskip(NEXT) | instid1(VALU_DEP_1)
	v_min_u32_e32 v1, 32, v1
	v_subrev_nc_u32_e32 v3, 29, v1
	s_delay_alu instid0(VALU_DEP_1) | instskip(NEXT) | instid1(VALU_DEP_1)
	v_lshlrev_b64_e32 v[54:55], v3, v[0:1]
	v_dual_sub_nc_u32 v1, 30, v1 :: v_dual_bitop2_b32 v3, 3, v54 bitop3:0x40
; %bb.545:                              ;   in Loop: Header=BB6_130 Depth=2
	s_or_b32 exec_lo, exec_lo, s27
	v_lshlrev_b32_e32 v0, 24, v0
	s_delay_alu instid0(VALU_DEP_1) | instskip(NEXT) | instid1(VALU_DEP_1)
	v_and_b32_e32 v0, 0x80000000, v0
	v_lshl_add_u32 v0, v1, 23, v0
	s_delay_alu instid0(VALU_DEP_1) | instskip(NEXT) | instid1(VALU_DEP_1)
	v_lshl_or_b32 v0, v3, 21, v0
                                        ; implicit-def: $vgpr3
	v_add_nc_u32_e32 v1, 0x38000000, v0
                                        ; implicit-def: $vgpr0
.LBB6_546:                              ;   in Loop: Header=BB6_130 Depth=2
	s_and_not1_saveexec_b32 s26, s26
; %bb.547:                              ;   in Loop: Header=BB6_130 Depth=2
	v_bfe_i32 v0, v0, 0, 8
	s_delay_alu instid0(VALU_DEP_1) | instskip(SKIP_2) | instid1(VALU_DEP_2)
	v_cmp_lt_i16_e32 vcc_lo, -1, v0
	v_cndmask_b32_e32 v0, 0xff800000, v109, vcc_lo
	v_cmp_eq_u32_e32 vcc_lo, 0, v3
	v_cndmask_b32_e32 v1, 0x7f800001, v0, vcc_lo
; %bb.548:                              ;   in Loop: Header=BB6_130 Depth=2
	s_or_b32 exec_lo, exec_lo, s26
.LBB6_549:                              ;   in Loop: Header=BB6_130 Depth=2
	s_delay_alu instid0(SALU_CYCLE_1)
	s_or_b32 exec_lo, exec_lo, s25
.LBB6_550:                              ;   in Loop: Header=BB6_130 Depth=2
	s_delay_alu instid0(SALU_CYCLE_1) | instskip(NEXT) | instid1(VALU_DEP_1)
	s_or_b32 exec_lo, exec_lo, s10
	v_dual_mul_f32 v0, v2, v1 :: v_dual_mov_b32 v3, v5
                                        ; implicit-def: $vgpr49
	s_mov_b32 s10, exec_lo
	s_delay_alu instid0(VALU_DEP_1) | instskip(SKIP_2) | instid1(VALU_DEP_3)
	v_and_b32_e32 v2, 0x7f800000, v0
	v_and_b32_e32 v4, 0x7fffff, v0
	v_lshrrev_b32_e32 v1, 24, v0
	v_cmpx_ne_u64_e32 0x7f800000, v[2:3]
	s_xor_b32 s25, exec_lo, s10
	s_cbranch_execz .LBB6_564
; %bb.551:                              ;   in Loop: Header=BB6_130 Depth=2
	v_and_b32_e32 v2, 0x7fffffff, v0
	v_mov_b32_e32 v3, v5
	v_and_b32_e32 v54, 0x80, v1
                                        ; implicit-def: $vgpr49
	s_mov_b32 s10, exec_lo
	s_delay_alu instid0(VALU_DEP_2)
	v_cmpx_gt_u64_e32 0x47600001, v[2:3]
	s_xor_b32 s26, exec_lo, s10
	s_cbranch_execz .LBB6_561
; %bb.552:                              ;   in Loop: Header=BB6_130 Depth=2
	v_mov_b32_e32 v49, 0
	s_mov_b32 s27, exec_lo
	v_cmpx_ne_u32_e32 0, v0
	s_cbranch_execz .LBB6_560
; %bb.553:                              ;   in Loop: Header=BB6_130 Depth=2
	v_bfe_u32 v49, v0, 23, 8
	v_or_b32_e32 v2, 0x800000, v4
	s_mov_b32 s28, exec_lo
	s_delay_alu instid0(VALU_DEP_2) | instskip(SKIP_1) | instid1(VALU_DEP_2)
	v_dual_mov_b32 v3, v5 :: v_dual_sub_nc_u32 v0, 0x71, v49
	v_cmp_gt_u32_e32 vcc_lo, 0x72, v49
	v_cndmask_b32_e32 v0, 0, v0, vcc_lo
	v_cmp_eq_u32_e32 vcc_lo, 0, v49
	s_delay_alu instid0(VALU_DEP_2) | instskip(NEXT) | instid1(VALU_DEP_1)
	v_cndmask_b32_e64 v55, v0, 0x70, vcc_lo
	v_dual_cndmask_b32 v2, v2, v4, vcc_lo :: v_dual_add_nc_u32 v0, 21, v55
	v_add_nc_u32_e32 v64, 20, v55
	s_delay_alu instid0(VALU_DEP_2) | instskip(NEXT) | instid1(VALU_DEP_2)
	v_lshlrev_b64_e64 v[0:1], v0, -1
	v_lshlrev_b64_e64 v[64:65], v64, 1
	s_delay_alu instid0(VALU_DEP_2) | instskip(NEXT) | instid1(VALU_DEP_3)
	v_bfi_b32 v67, v1, 0, 0
	v_bfi_b32 v66, v0, 0, v2
	v_lshrrev_b64 v[0:1], v55, v[2:3]
	s_delay_alu instid0(VALU_DEP_1) | instskip(NEXT) | instid1(VALU_DEP_3)
	v_mov_b64_e32 v[2:3], v[0:1]
	v_cmpx_eq_u64_e64 v[66:67], v[64:65]
; %bb.554:                              ;   in Loop: Header=BB6_130 Depth=2
	v_bfe_u32 v2, v0, 21, 1
	v_mov_b32_e32 v3, v5
	s_delay_alu instid0(VALU_DEP_1) | instskip(NEXT) | instid1(VALU_DEP_1)
	v_add_nc_u64_e32 v[2:3], v[0:1], v[2:3]
	v_add_nc_u64_e32 v[2:3], -1, v[2:3]
; %bb.555:                              ;   in Loop: Header=BB6_130 Depth=2
	s_or_b32 exec_lo, exec_lo, s28
	v_add_nc_u32_e32 v1, 0xffffff81, v49
	v_lshrrev_b32_e32 v3, 23, v0
	s_mov_b32 s10, exec_lo
	s_delay_alu instid0(VALU_DEP_2) | instskip(NEXT) | instid1(VALU_DEP_1)
	v_cndmask_b32_e64 v1, v1, 0xffffff82, vcc_lo
	v_add3_u32 v3, v55, v1, v3
	v_and_b32_e32 v1, 0x1fffff, v2
                                        ; implicit-def: $vgpr2
	s_delay_alu instid0(VALU_DEP_1) | instskip(NEXT) | instid1(VALU_DEP_1)
	v_dual_add_nc_u32 v49, 14, v3 :: v_dual_add_nc_u32 v4, v1, v0
                                        ; implicit-def: $vgpr0_vgpr1
	v_cmpx_ne_u32_e32 0, v49
	s_xor_b32 s10, exec_lo, s10
; %bb.556:                              ;   in Loop: Header=BB6_130 Depth=2
	s_delay_alu instid0(VALU_DEP_2) | instskip(SKIP_1) | instid1(VALU_DEP_1)
	v_cmp_lt_u64_e32 vcc_lo, 0xffffff, v[4:5]
	v_add_nc_u32_e32 v0, 15, v3
	v_cndmask_b32_e32 v2, v49, v0, vcc_lo
	v_cndmask_b32_e64 v0, 0, 1, vcc_lo
	s_delay_alu instid0(VALU_DEP_1)
	v_lshrrev_b64 v[0:1], v0, v[4:5]
; %bb.557:                              ;   in Loop: Header=BB6_130 Depth=2
	s_and_not1_saveexec_b32 s10, s10
; %bb.558:                              ;   in Loop: Header=BB6_130 Depth=2
	v_mov_b64_e32 v[0:1], v[4:5]
	v_bfe_u32 v2, v4, 23, 1
; %bb.559:                              ;   in Loop: Header=BB6_130 Depth=2
	s_or_b32 exec_lo, exec_lo, s10
	s_delay_alu instid0(VALU_DEP_2) | instskip(NEXT) | instid1(VALU_DEP_2)
	v_lshrrev_b64 v[0:1], 21, v[0:1]
	v_cmp_gt_i32_e32 vcc_lo, 32, v2
	v_min_i32_e32 v3, 31, v2
	v_cmp_eq_u32_e64 s10, 0, v2
	s_delay_alu instid0(VALU_DEP_2) | instskip(SKIP_1) | instid1(VALU_DEP_2)
	v_dual_cndmask_b32 v1, 0, v1, vcc_lo :: v_dual_lshlrev_b32 v3, 2, v3
	v_cndmask_b32_e32 v0, 3, v0, vcc_lo
	v_and_b32_e32 v3, 0xfc, v3
	s_delay_alu instid0(VALU_DEP_2) | instskip(NEXT) | instid1(VALU_DEP_2)
	v_cmp_eq_u64_e32 vcc_lo, 0, v[0:1]
	v_and_or_b32 v0, v0, 3, v3
	s_and_b32 s10, s10, vcc_lo
	s_delay_alu instid0(VALU_DEP_1) | instid1(SALU_CYCLE_1)
	v_cndmask_b32_e64 v0, v0, 0, s10
	s_delay_alu instid0(VALU_DEP_1)
	v_or_b32_e32 v49, v0, v54
.LBB6_560:                              ;   in Loop: Header=BB6_130 Depth=2
	s_or_b32 exec_lo, exec_lo, s27
                                        ; implicit-def: $vgpr54
.LBB6_561:                              ;   in Loop: Header=BB6_130 Depth=2
	s_and_not1_saveexec_b32 s10, s26
; %bb.562:                              ;   in Loop: Header=BB6_130 Depth=2
	v_or_b32_e32 v49, 0x7b, v54
; %bb.563:                              ;   in Loop: Header=BB6_130 Depth=2
	s_or_b32 exec_lo, exec_lo, s10
                                        ; implicit-def: $vgpr0
                                        ; implicit-def: $vgpr1
.LBB6_564:                              ;   in Loop: Header=BB6_130 Depth=2
	s_and_not1_saveexec_b32 s10, s25
	s_cbranch_execz .LBB6_570
; %bb.565:                              ;   in Loop: Header=BB6_130 Depth=2
	s_mov_b32 s25, exec_lo
                                        ; implicit-def: $vgpr49
	v_cmpx_ne_u64_e32 0, v[4:5]
	s_xor_b32 s25, exec_lo, s25
; %bb.566:                              ;   in Loop: Header=BB6_130 Depth=2
	v_or_b32_e32 v49, 0x7f, v1
                                        ; implicit-def: $vgpr0
; %bb.567:                              ;   in Loop: Header=BB6_130 Depth=2
	s_and_not1_saveexec_b32 s25, s25
; %bb.568:                              ;   in Loop: Header=BB6_130 Depth=2
	v_cmp_lt_i32_e32 vcc_lo, -1, v0
	v_cndmask_b32_e32 v49, 0xfc, v108, vcc_lo
; %bb.569:                              ;   in Loop: Header=BB6_130 Depth=2
	s_or_b32 exec_lo, exec_lo, s25
.LBB6_570:                              ;   in Loop: Header=BB6_130 Depth=2
	s_delay_alu instid0(SALU_CYCLE_1)
	s_or_b32 exec_lo, exec_lo, s10
	v_dual_mov_b32 v1, 0 :: v_dual_mov_b32 v2, 0
	s_mov_b32 s10, exec_lo
	v_cmpx_lt_u32_e32 0xffffff, v50
	s_cbranch_execz .LBB6_580
; %bb.571:                              ;   in Loop: Header=BB6_130 Depth=2
	v_lshrrev_b32_e32 v0, 24, v50
	v_bfrev_b32_e32 v2, 1
	s_mov_b32 s25, exec_lo
	s_delay_alu instid0(VALU_DEP_2)
	v_cmpx_ne_u32_e32 0x80, v0
	s_cbranch_execz .LBB6_579
; %bb.572:                              ;   in Loop: Header=BB6_130 Depth=2
	v_and_b32_e32 v2, 0x7c000000, v50
	v_bfe_u32 v3, v50, 24, 2
	s_delay_alu instid0(VALU_DEP_2) | instskip(SKIP_1) | instid1(SALU_CYCLE_1)
	v_cmp_ne_u32_e32 vcc_lo, 0x7c000000, v2
                                        ; implicit-def: $vgpr2
	s_and_saveexec_b32 s26, vcc_lo
	s_xor_b32 s26, exec_lo, s26
	s_cbranch_execz .LBB6_576
; %bb.573:                              ;   in Loop: Header=BB6_130 Depth=2
	v_bfe_u32 v2, v50, 26, 5
	s_mov_b32 s27, exec_lo
	s_delay_alu instid0(VALU_DEP_1)
	v_cmpx_eq_u32_e32 0, v2
; %bb.574:                              ;   in Loop: Header=BB6_130 Depth=2
	v_clz_i32_u32_e32 v2, v3
	s_delay_alu instid0(VALU_DEP_1) | instskip(NEXT) | instid1(VALU_DEP_1)
	v_min_u32_e32 v2, 32, v2
	v_subrev_nc_u32_e32 v3, 29, v2
	v_sub_nc_u32_e32 v2, 30, v2
	s_delay_alu instid0(VALU_DEP_2) | instskip(NEXT) | instid1(VALU_DEP_1)
	v_lshlrev_b64_e32 v[54:55], v3, v[0:1]
	v_and_b32_e32 v3, 3, v54
; %bb.575:                              ;   in Loop: Header=BB6_130 Depth=2
	s_or_b32 exec_lo, exec_lo, s27
	v_and_b32_e32 v0, 0x80000000, v50
	s_delay_alu instid0(VALU_DEP_1) | instskip(NEXT) | instid1(VALU_DEP_1)
	v_lshl_add_u32 v0, v2, 23, v0
	v_lshl_or_b32 v0, v3, 21, v0
                                        ; implicit-def: $vgpr3
	s_delay_alu instid0(VALU_DEP_1)
	v_add_nc_u32_e32 v2, 0x38000000, v0
.LBB6_576:                              ;   in Loop: Header=BB6_130 Depth=2
	s_and_not1_saveexec_b32 s26, s26
; %bb.577:                              ;   in Loop: Header=BB6_130 Depth=2
	v_cmp_lt_i32_e32 vcc_lo, -1, v50
	v_cndmask_b32_e32 v0, 0xff800000, v109, vcc_lo
	v_cmp_eq_u32_e32 vcc_lo, 0, v3
	s_delay_alu instid0(VALU_DEP_2)
	v_cndmask_b32_e32 v2, 0x7f800001, v0, vcc_lo
; %bb.578:                              ;   in Loop: Header=BB6_130 Depth=2
	s_or_b32 exec_lo, exec_lo, s26
.LBB6_579:                              ;   in Loop: Header=BB6_130 Depth=2
	s_delay_alu instid0(SALU_CYCLE_1)
	s_or_b32 exec_lo, exec_lo, s25
.LBB6_580:                              ;   in Loop: Header=BB6_130 Depth=2
	s_delay_alu instid0(SALU_CYCLE_1) | instskip(NEXT) | instid1(SALU_CYCLE_1)
	s_or_b32 exec_lo, exec_lo, s10
	s_mov_b32 s10, exec_lo
	v_cmpx_lt_u32_e32 0xffffff, v38
	s_cbranch_execz .LBB6_590
; %bb.581:                              ;   in Loop: Header=BB6_130 Depth=2
	v_lshrrev_b32_e32 v0, 24, v38
	v_bfrev_b32_e32 v1, 1
	s_mov_b32 s25, exec_lo
	s_delay_alu instid0(VALU_DEP_2)
	v_cmpx_ne_u32_e32 0x80, v0
	s_cbranch_execz .LBB6_589
; %bb.582:                              ;   in Loop: Header=BB6_130 Depth=2
	v_and_b32_e32 v1, 0x7c000000, v38
	v_bfe_u32 v3, v38, 24, 2
	s_delay_alu instid0(VALU_DEP_2) | instskip(SKIP_1) | instid1(SALU_CYCLE_1)
	v_cmp_ne_u32_e32 vcc_lo, 0x7c000000, v1
                                        ; implicit-def: $vgpr1
	s_and_saveexec_b32 s26, vcc_lo
	s_xor_b32 s26, exec_lo, s26
	s_cbranch_execz .LBB6_586
; %bb.583:                              ;   in Loop: Header=BB6_130 Depth=2
	v_bfe_u32 v1, v38, 26, 5
	s_mov_b32 s27, exec_lo
	s_delay_alu instid0(VALU_DEP_1)
	v_cmpx_eq_u32_e32 0, v1
; %bb.584:                              ;   in Loop: Header=BB6_130 Depth=2
	v_clz_i32_u32_e32 v1, v3
	s_delay_alu instid0(VALU_DEP_1) | instskip(NEXT) | instid1(VALU_DEP_1)
	v_min_u32_e32 v3, 32, v1
	v_subrev_nc_u32_e32 v1, 29, v3
	s_delay_alu instid0(VALU_DEP_1) | instskip(NEXT) | instid1(VALU_DEP_1)
	v_lshlrev_b64_e32 v[0:1], v1, v[0:1]
	v_dual_sub_nc_u32 v1, 30, v3 :: v_dual_bitop2_b32 v3, 3, v0 bitop3:0x40
; %bb.585:                              ;   in Loop: Header=BB6_130 Depth=2
	s_or_b32 exec_lo, exec_lo, s27
	v_and_b32_e32 v0, 0x80000000, v38
	s_delay_alu instid0(VALU_DEP_1) | instskip(NEXT) | instid1(VALU_DEP_1)
	v_lshl_add_u32 v0, v1, 23, v0
	v_lshl_or_b32 v0, v3, 21, v0
                                        ; implicit-def: $vgpr3
	s_delay_alu instid0(VALU_DEP_1)
	v_add_nc_u32_e32 v1, 0x38000000, v0
.LBB6_586:                              ;   in Loop: Header=BB6_130 Depth=2
	s_and_not1_saveexec_b32 s26, s26
; %bb.587:                              ;   in Loop: Header=BB6_130 Depth=2
	v_cmp_lt_i32_e32 vcc_lo, -1, v38
	v_cndmask_b32_e32 v0, 0xff800000, v109, vcc_lo
	v_cmp_eq_u32_e32 vcc_lo, 0, v3
	s_delay_alu instid0(VALU_DEP_2)
	v_cndmask_b32_e32 v1, 0x7f800001, v0, vcc_lo
; %bb.588:                              ;   in Loop: Header=BB6_130 Depth=2
	s_or_b32 exec_lo, exec_lo, s26
.LBB6_589:                              ;   in Loop: Header=BB6_130 Depth=2
	s_delay_alu instid0(SALU_CYCLE_1)
	s_or_b32 exec_lo, exec_lo, s25
.LBB6_590:                              ;   in Loop: Header=BB6_130 Depth=2
	s_delay_alu instid0(SALU_CYCLE_1) | instskip(NEXT) | instid1(VALU_DEP_1)
	s_or_b32 exec_lo, exec_lo, s10
	v_dual_mul_f32 v0, v2, v1 :: v_dual_mov_b32 v3, v5
                                        ; implicit-def: $vgpr54
	s_mov_b32 s10, exec_lo
	s_delay_alu instid0(VALU_DEP_1) | instskip(SKIP_2) | instid1(VALU_DEP_3)
	v_and_b32_e32 v2, 0x7f800000, v0
	v_and_b32_e32 v4, 0x7fffff, v0
	v_lshrrev_b32_e32 v1, 24, v0
	v_cmpx_ne_u64_e32 0x7f800000, v[2:3]
	s_xor_b32 s25, exec_lo, s10
	s_cbranch_execz .LBB6_604
; %bb.591:                              ;   in Loop: Header=BB6_130 Depth=2
	v_and_b32_e32 v2, 0x7fffffff, v0
	v_mov_b32_e32 v3, v5
	v_and_b32_e32 v55, 0x80, v1
                                        ; implicit-def: $vgpr54
	s_mov_b32 s10, exec_lo
	s_delay_alu instid0(VALU_DEP_2)
	v_cmpx_gt_u64_e32 0x47600001, v[2:3]
	s_xor_b32 s26, exec_lo, s10
	s_cbranch_execz .LBB6_601
; %bb.592:                              ;   in Loop: Header=BB6_130 Depth=2
	v_mov_b32_e32 v54, 0
	s_mov_b32 s27, exec_lo
	v_cmpx_ne_u32_e32 0, v0
	s_cbranch_execz .LBB6_600
; %bb.593:                              ;   in Loop: Header=BB6_130 Depth=2
	v_bfe_u32 v54, v0, 23, 8
	v_or_b32_e32 v2, 0x800000, v4
	s_mov_b32 s28, exec_lo
	s_delay_alu instid0(VALU_DEP_2) | instskip(SKIP_1) | instid1(VALU_DEP_2)
	v_dual_mov_b32 v3, v5 :: v_dual_sub_nc_u32 v0, 0x71, v54
	v_cmp_gt_u32_e32 vcc_lo, 0x72, v54
	v_cndmask_b32_e32 v0, 0, v0, vcc_lo
	v_cmp_eq_u32_e32 vcc_lo, 0, v54
	s_delay_alu instid0(VALU_DEP_2) | instskip(SKIP_1) | instid1(VALU_DEP_2)
	v_cndmask_b32_e64 v64, v0, 0x70, vcc_lo
	v_cndmask_b32_e32 v2, v2, v4, vcc_lo
	v_dual_add_nc_u32 v0, 21, v64 :: v_dual_add_nc_u32 v65, 20, v64
	s_delay_alu instid0(VALU_DEP_1) | instskip(NEXT) | instid1(VALU_DEP_2)
	v_lshlrev_b64_e64 v[0:1], v0, -1
	v_lshlrev_b64_e64 v[66:67], v65, 1
	s_delay_alu instid0(VALU_DEP_2) | instskip(NEXT) | instid1(VALU_DEP_3)
	v_bfi_b32 v69, v1, 0, 0
	v_bfi_b32 v68, v0, 0, v2
	v_lshrrev_b64 v[0:1], v64, v[2:3]
	s_delay_alu instid0(VALU_DEP_1) | instskip(NEXT) | instid1(VALU_DEP_3)
	v_mov_b64_e32 v[2:3], v[0:1]
	v_cmpx_eq_u64_e64 v[68:69], v[66:67]
; %bb.594:                              ;   in Loop: Header=BB6_130 Depth=2
	v_bfe_u32 v2, v0, 21, 1
	v_mov_b32_e32 v3, v5
	s_delay_alu instid0(VALU_DEP_1) | instskip(NEXT) | instid1(VALU_DEP_1)
	v_add_nc_u64_e32 v[2:3], v[0:1], v[2:3]
	v_add_nc_u64_e32 v[2:3], -1, v[2:3]
; %bb.595:                              ;   in Loop: Header=BB6_130 Depth=2
	s_or_b32 exec_lo, exec_lo, s28
	v_add_nc_u32_e32 v1, 0xffffff81, v54
	v_lshrrev_b32_e32 v3, 23, v0
	s_mov_b32 s10, exec_lo
	s_delay_alu instid0(VALU_DEP_2) | instskip(NEXT) | instid1(VALU_DEP_1)
	v_cndmask_b32_e64 v1, v1, 0xffffff82, vcc_lo
	v_add3_u32 v3, v64, v1, v3
	v_and_b32_e32 v1, 0x1fffff, v2
                                        ; implicit-def: $vgpr2
	s_delay_alu instid0(VALU_DEP_1) | instskip(NEXT) | instid1(VALU_DEP_1)
	v_dual_add_nc_u32 v54, 14, v3 :: v_dual_add_nc_u32 v4, v1, v0
                                        ; implicit-def: $vgpr0_vgpr1
	v_cmpx_ne_u32_e32 0, v54
	s_xor_b32 s10, exec_lo, s10
; %bb.596:                              ;   in Loop: Header=BB6_130 Depth=2
	s_delay_alu instid0(VALU_DEP_2) | instskip(SKIP_1) | instid1(VALU_DEP_1)
	v_cmp_lt_u64_e32 vcc_lo, 0xffffff, v[4:5]
	v_add_nc_u32_e32 v0, 15, v3
	v_cndmask_b32_e32 v2, v54, v0, vcc_lo
	v_cndmask_b32_e64 v0, 0, 1, vcc_lo
	s_delay_alu instid0(VALU_DEP_1)
	v_lshrrev_b64 v[0:1], v0, v[4:5]
; %bb.597:                              ;   in Loop: Header=BB6_130 Depth=2
	s_and_not1_saveexec_b32 s10, s10
; %bb.598:                              ;   in Loop: Header=BB6_130 Depth=2
	v_mov_b64_e32 v[0:1], v[4:5]
	v_bfe_u32 v2, v4, 23, 1
; %bb.599:                              ;   in Loop: Header=BB6_130 Depth=2
	s_or_b32 exec_lo, exec_lo, s10
	s_delay_alu instid0(VALU_DEP_2) | instskip(NEXT) | instid1(VALU_DEP_2)
	v_lshrrev_b64 v[0:1], 21, v[0:1]
	v_cmp_gt_i32_e32 vcc_lo, 32, v2
	v_min_i32_e32 v3, 31, v2
	v_cmp_eq_u32_e64 s10, 0, v2
	s_delay_alu instid0(VALU_DEP_2) | instskip(SKIP_1) | instid1(VALU_DEP_2)
	v_dual_cndmask_b32 v1, 0, v1, vcc_lo :: v_dual_lshlrev_b32 v3, 2, v3
	v_cndmask_b32_e32 v0, 3, v0, vcc_lo
	v_and_b32_e32 v3, 0xfc, v3
	s_delay_alu instid0(VALU_DEP_2) | instskip(NEXT) | instid1(VALU_DEP_2)
	v_cmp_eq_u64_e32 vcc_lo, 0, v[0:1]
	v_and_or_b32 v0, v0, 3, v3
	s_and_b32 s10, s10, vcc_lo
	s_delay_alu instid0(VALU_DEP_1) | instid1(SALU_CYCLE_1)
	v_cndmask_b32_e64 v0, v0, 0, s10
	s_delay_alu instid0(VALU_DEP_1)
	v_or_b32_e32 v54, v0, v55
.LBB6_600:                              ;   in Loop: Header=BB6_130 Depth=2
	s_or_b32 exec_lo, exec_lo, s27
                                        ; implicit-def: $vgpr55
.LBB6_601:                              ;   in Loop: Header=BB6_130 Depth=2
	s_and_not1_saveexec_b32 s10, s26
; %bb.602:                              ;   in Loop: Header=BB6_130 Depth=2
	v_or_b32_e32 v54, 0x7b, v55
; %bb.603:                              ;   in Loop: Header=BB6_130 Depth=2
	s_or_b32 exec_lo, exec_lo, s10
                                        ; implicit-def: $vgpr0
                                        ; implicit-def: $vgpr1
.LBB6_604:                              ;   in Loop: Header=BB6_130 Depth=2
	s_and_not1_saveexec_b32 s10, s25
	s_cbranch_execz .LBB6_610
; %bb.605:                              ;   in Loop: Header=BB6_130 Depth=2
	s_mov_b32 s25, exec_lo
                                        ; implicit-def: $vgpr54
	v_cmpx_ne_u64_e32 0, v[4:5]
	s_xor_b32 s25, exec_lo, s25
; %bb.606:                              ;   in Loop: Header=BB6_130 Depth=2
	v_or_b32_e32 v54, 0x7f, v1
                                        ; implicit-def: $vgpr0
; %bb.607:                              ;   in Loop: Header=BB6_130 Depth=2
	s_and_not1_saveexec_b32 s25, s25
; %bb.608:                              ;   in Loop: Header=BB6_130 Depth=2
	v_cmp_lt_i32_e32 vcc_lo, -1, v0
	v_cndmask_b32_e32 v54, 0xfc, v108, vcc_lo
; %bb.609:                              ;   in Loop: Header=BB6_130 Depth=2
	s_or_b32 exec_lo, exec_lo, s25
.LBB6_610:                              ;   in Loop: Header=BB6_130 Depth=2
	s_delay_alu instid0(SALU_CYCLE_1) | instskip(SKIP_4) | instid1(VALU_DEP_3)
	s_or_b32 exec_lo, exec_lo, s10
	v_and_b32_e32 v2, 0xff, v51
	v_dual_mov_b32 v4, v51 :: v_dual_mov_b32 v1, 0
	v_mov_b32_e32 v0, 0
	s_mov_b32 s10, exec_lo
	v_cmpx_ne_u16_e32 0, v2
	s_cbranch_execz .LBB6_620
; %bb.611:                              ;   in Loop: Header=BB6_130 Depth=2
	v_bfrev_b32_e32 v0, 1
	s_mov_b32 s25, exec_lo
	v_cmpx_ne_u16_e32 0x80, v2
	s_cbranch_execz .LBB6_619
; %bb.612:                              ;   in Loop: Header=BB6_130 Depth=2
	v_and_b32_e32 v0, 0x7c, v51
	v_and_b32_e32 v2, 3, v51
	s_delay_alu instid0(VALU_DEP_2) | instskip(SKIP_1) | instid1(SALU_CYCLE_1)
	v_cmp_ne_u32_e32 vcc_lo, 0x7c, v0
                                        ; implicit-def: $vgpr0
	s_and_saveexec_b32 s26, vcc_lo
	s_xor_b32 s26, exec_lo, s26
	s_cbranch_execz .LBB6_616
; %bb.613:                              ;   in Loop: Header=BB6_130 Depth=2
	v_bfe_u32 v0, v51, 2, 5
	s_mov_b32 s27, exec_lo
	s_delay_alu instid0(VALU_DEP_1)
	v_cmpx_eq_u32_e32 0, v0
; %bb.614:                              ;   in Loop: Header=BB6_130 Depth=2
	v_clz_i32_u32_e32 v0, v2
	s_delay_alu instid0(VALU_DEP_1) | instskip(NEXT) | instid1(VALU_DEP_1)
	v_min_u32_e32 v0, 32, v0
	v_subrev_nc_u32_e32 v2, 29, v0
	s_delay_alu instid0(VALU_DEP_1) | instskip(NEXT) | instid1(VALU_DEP_1)
	v_lshlrev_b64_e32 v[2:3], v2, v[4:5]
	v_dual_sub_nc_u32 v0, 30, v0 :: v_dual_bitop2_b32 v2, 3, v2 bitop3:0x40
; %bb.615:                              ;   in Loop: Header=BB6_130 Depth=2
	s_or_b32 exec_lo, exec_lo, s27
	v_lshlrev_b32_e32 v3, 24, v51
	s_delay_alu instid0(VALU_DEP_1) | instskip(NEXT) | instid1(VALU_DEP_1)
	v_and_b32_e32 v3, 0x80000000, v3
	v_lshl_add_u32 v0, v0, 23, v3
	s_delay_alu instid0(VALU_DEP_1) | instskip(NEXT) | instid1(VALU_DEP_1)
	v_lshl_or_b32 v0, v2, 21, v0
                                        ; implicit-def: $vgpr2
	v_add_nc_u32_e32 v0, 0x38000000, v0
.LBB6_616:                              ;   in Loop: Header=BB6_130 Depth=2
	s_and_not1_saveexec_b32 s26, s26
; %bb.617:                              ;   in Loop: Header=BB6_130 Depth=2
	v_bfe_i32 v0, v51, 0, 8
	s_delay_alu instid0(VALU_DEP_1) | instskip(SKIP_2) | instid1(VALU_DEP_2)
	v_cmp_lt_i16_e32 vcc_lo, -1, v0
	v_cndmask_b32_e32 v0, 0xff800000, v109, vcc_lo
	v_cmp_eq_u32_e32 vcc_lo, 0, v2
	v_cndmask_b32_e32 v0, 0x7f800001, v0, vcc_lo
; %bb.618:                              ;   in Loop: Header=BB6_130 Depth=2
	s_or_b32 exec_lo, exec_lo, s26
.LBB6_619:                              ;   in Loop: Header=BB6_130 Depth=2
	s_delay_alu instid0(SALU_CYCLE_1)
	s_or_b32 exec_lo, exec_lo, s25
.LBB6_620:                              ;   in Loop: Header=BB6_130 Depth=2
	s_delay_alu instid0(SALU_CYCLE_1) | instskip(SKIP_2) | instid1(VALU_DEP_1)
	s_or_b32 exec_lo, exec_lo, s10
	v_and_b32_e32 v2, 0xff, v39
	s_mov_b32 s10, exec_lo
	v_cmpx_ne_u16_e32 0, v2
	s_cbranch_execz .LBB6_630
; %bb.621:                              ;   in Loop: Header=BB6_130 Depth=2
	v_bfrev_b32_e32 v1, 1
	s_mov_b32 s25, exec_lo
	v_cmpx_ne_u16_e32 0x80, v2
	s_cbranch_execz .LBB6_629
; %bb.622:                              ;   in Loop: Header=BB6_130 Depth=2
	v_and_b32_e32 v1, 0x7c, v39
	v_and_b32_e32 v2, 3, v39
	s_delay_alu instid0(VALU_DEP_2) | instskip(SKIP_1) | instid1(SALU_CYCLE_1)
	v_cmp_ne_u32_e32 vcc_lo, 0x7c, v1
                                        ; implicit-def: $vgpr1
	s_and_saveexec_b32 s26, vcc_lo
	s_xor_b32 s26, exec_lo, s26
	s_cbranch_execz .LBB6_626
; %bb.623:                              ;   in Loop: Header=BB6_130 Depth=2
	v_bfe_u32 v1, v39, 2, 5
	s_mov_b32 s27, exec_lo
	s_delay_alu instid0(VALU_DEP_1)
	v_cmpx_eq_u32_e32 0, v1
; %bb.624:                              ;   in Loop: Header=BB6_130 Depth=2
	v_clz_i32_u32_e32 v1, v2
	v_dual_mov_b32 v2, v39 :: v_dual_mov_b32 v3, v5
	s_delay_alu instid0(VALU_DEP_2) | instskip(NEXT) | instid1(VALU_DEP_1)
	v_min_u32_e32 v1, 32, v1
	v_subrev_nc_u32_e32 v55, 29, v1
	s_delay_alu instid0(VALU_DEP_1) | instskip(NEXT) | instid1(VALU_DEP_1)
	v_lshlrev_b64_e32 v[2:3], v55, v[2:3]
	v_dual_sub_nc_u32 v1, 30, v1 :: v_dual_bitop2_b32 v2, 3, v2 bitop3:0x40
; %bb.625:                              ;   in Loop: Header=BB6_130 Depth=2
	s_or_b32 exec_lo, exec_lo, s27
	v_lshlrev_b32_e32 v3, 24, v39
	s_delay_alu instid0(VALU_DEP_1) | instskip(NEXT) | instid1(VALU_DEP_1)
	v_and_b32_e32 v3, 0x80000000, v3
	v_lshl_add_u32 v1, v1, 23, v3
	s_delay_alu instid0(VALU_DEP_1) | instskip(NEXT) | instid1(VALU_DEP_1)
	v_lshl_or_b32 v1, v2, 21, v1
                                        ; implicit-def: $vgpr2
	v_add_nc_u32_e32 v1, 0x38000000, v1
.LBB6_626:                              ;   in Loop: Header=BB6_130 Depth=2
	s_and_not1_saveexec_b32 s26, s26
; %bb.627:                              ;   in Loop: Header=BB6_130 Depth=2
	v_bfe_i32 v1, v39, 0, 8
	s_delay_alu instid0(VALU_DEP_1) | instskip(SKIP_2) | instid1(VALU_DEP_2)
	v_cmp_lt_i16_e32 vcc_lo, -1, v1
	v_cndmask_b32_e32 v1, 0xff800000, v109, vcc_lo
	v_cmp_eq_u32_e32 vcc_lo, 0, v2
	v_cndmask_b32_e32 v1, 0x7f800001, v1, vcc_lo
; %bb.628:                              ;   in Loop: Header=BB6_130 Depth=2
	s_or_b32 exec_lo, exec_lo, s26
.LBB6_629:                              ;   in Loop: Header=BB6_130 Depth=2
	s_delay_alu instid0(SALU_CYCLE_1)
	s_or_b32 exec_lo, exec_lo, s25
.LBB6_630:                              ;   in Loop: Header=BB6_130 Depth=2
	s_delay_alu instid0(SALU_CYCLE_1) | instskip(NEXT) | instid1(VALU_DEP_1)
	s_or_b32 exec_lo, exec_lo, s10
	v_dual_mul_f32 v2, v0, v1 :: v_dual_mov_b32 v65, v5
	v_mov_b32_e32 v1, v5
                                        ; implicit-def: $vgpr55
	s_mov_b32 s10, exec_lo
	s_delay_alu instid0(VALU_DEP_2) | instskip(SKIP_2) | instid1(VALU_DEP_3)
	v_and_b32_e32 v64, 0x7f800000, v2
	v_and_b32_e32 v0, 0x7fffff, v2
	v_lshrrev_b32_e32 v3, 24, v2
	v_cmpx_ne_u64_e32 0x7f800000, v[64:65]
	s_xor_b32 s25, exec_lo, s10
	s_cbranch_execz .LBB6_644
; %bb.631:                              ;   in Loop: Header=BB6_130 Depth=2
	v_and_b32_e32 v64, 0x7fffffff, v2
	v_mov_b32_e32 v65, v5
                                        ; implicit-def: $vgpr55
	s_delay_alu instid0(VALU_DEP_1) | instskip(SKIP_2) | instid1(SALU_CYCLE_1)
	v_cmp_gt_u64_e32 vcc_lo, 0x47600001, v[64:65]
	v_and_b32_e32 v64, 0x80, v3
	s_and_saveexec_b32 s10, vcc_lo
	s_xor_b32 s26, exec_lo, s10
	s_cbranch_execz .LBB6_641
; %bb.632:                              ;   in Loop: Header=BB6_130 Depth=2
	v_mov_b32_e32 v55, 0
	s_mov_b32 s27, exec_lo
	v_cmpx_ne_u32_e32 0, v2
	s_cbranch_execz .LBB6_640
; %bb.633:                              ;   in Loop: Header=BB6_130 Depth=2
	v_bfe_u32 v55, v2, 23, 8
	v_or_b32_e32 v66, 0x800000, v0
	s_delay_alu instid0(VALU_DEP_2) | instskip(SKIP_1) | instid1(VALU_DEP_2)
	v_sub_nc_u32_e32 v2, 0x71, v55
	v_cmp_gt_u32_e32 vcc_lo, 0x72, v55
	v_cndmask_b32_e32 v2, 0, v2, vcc_lo
	v_cmp_eq_u32_e32 vcc_lo, 0, v55
	s_delay_alu instid0(VALU_DEP_2) | instskip(NEXT) | instid1(VALU_DEP_1)
	v_cndmask_b32_e64 v65, v2, 0x70, vcc_lo
	v_dual_cndmask_b32 v0, v66, v0, vcc_lo :: v_dual_add_nc_u32 v2, 21, v65
	v_add_nc_u32_e32 v67, 20, v65
	s_delay_alu instid0(VALU_DEP_2) | instskip(NEXT) | instid1(VALU_DEP_2)
	v_lshlrev_b64_e64 v[2:3], v2, -1
	v_lshlrev_b64_e64 v[66:67], v67, 1
	s_delay_alu instid0(VALU_DEP_2) | instskip(SKIP_1) | instid1(VALU_DEP_4)
	v_bfi_b32 v2, v2, 0, v0
	v_lshrrev_b64 v[0:1], v65, v[0:1]
	v_bfi_b32 v3, v3, 0, 0
	s_delay_alu instid0(VALU_DEP_1) | instskip(NEXT) | instid1(VALU_DEP_3)
	v_cmp_eq_u64_e64 s10, v[2:3], v[66:67]
	v_mov_b64_e32 v[2:3], v[0:1]
	s_and_saveexec_b32 s28, s10
; %bb.634:                              ;   in Loop: Header=BB6_130 Depth=2
	v_bfe_u32 v2, v0, 21, 1
	v_mov_b32_e32 v3, v5
	s_delay_alu instid0(VALU_DEP_1) | instskip(NEXT) | instid1(VALU_DEP_1)
	v_add_nc_u64_e32 v[2:3], v[0:1], v[2:3]
	v_add_nc_u64_e32 v[2:3], -1, v[2:3]
; %bb.635:                              ;   in Loop: Header=BB6_130 Depth=2
	s_or_b32 exec_lo, exec_lo, s28
	v_add_nc_u32_e32 v1, 0xffffff81, v55
	v_lshrrev_b32_e32 v3, 23, v0
	s_mov_b32 s10, exec_lo
	s_delay_alu instid0(VALU_DEP_2) | instskip(NEXT) | instid1(VALU_DEP_1)
	v_cndmask_b32_e64 v1, v1, 0xffffff82, vcc_lo
	v_add3_u32 v3, v65, v1, v3
	v_and_b32_e32 v1, 0x1fffff, v2
                                        ; implicit-def: $vgpr2
	s_delay_alu instid0(VALU_DEP_1) | instskip(SKIP_1) | instid1(VALU_DEP_2)
	v_dual_add_nc_u32 v55, 14, v3 :: v_dual_add_nc_u32 v0, v1, v0
	v_mov_b32_e32 v1, v5
	v_cmpx_ne_u32_e32 0, v55
	s_xor_b32 s10, exec_lo, s10
; %bb.636:                              ;   in Loop: Header=BB6_130 Depth=2
	s_delay_alu instid0(VALU_DEP_2) | instskip(SKIP_2) | instid1(VALU_DEP_2)
	v_cmp_lt_u64_e32 vcc_lo, 0xffffff, v[0:1]
	v_add_nc_u32_e32 v2, 15, v3
	v_cndmask_b32_e64 v3, 0, 1, vcc_lo
	v_cndmask_b32_e32 v2, v55, v2, vcc_lo
	s_delay_alu instid0(VALU_DEP_2)
	v_lshrrev_b64 v[0:1], v3, v[0:1]
; %bb.637:                              ;   in Loop: Header=BB6_130 Depth=2
	s_and_not1_saveexec_b32 s10, s10
; %bb.638:                              ;   in Loop: Header=BB6_130 Depth=2
	s_delay_alu instid0(VALU_DEP_1)
	v_bfe_u32 v2, v0, 23, 1
; %bb.639:                              ;   in Loop: Header=BB6_130 Depth=2
	s_or_b32 exec_lo, exec_lo, s10
	s_delay_alu instid0(VALU_DEP_2) | instskip(NEXT) | instid1(VALU_DEP_2)
	v_lshrrev_b64 v[0:1], 21, v[0:1]
	v_cmp_gt_i32_e32 vcc_lo, 32, v2
	v_min_i32_e32 v3, 31, v2
	v_cmp_eq_u32_e64 s10, 0, v2
	s_delay_alu instid0(VALU_DEP_2) | instskip(SKIP_1) | instid1(VALU_DEP_2)
	v_dual_cndmask_b32 v1, 0, v1, vcc_lo :: v_dual_lshlrev_b32 v3, 2, v3
	v_cndmask_b32_e32 v0, 3, v0, vcc_lo
	v_and_b32_e32 v3, 0xfc, v3
	s_delay_alu instid0(VALU_DEP_2) | instskip(NEXT) | instid1(VALU_DEP_2)
	v_cmp_eq_u64_e32 vcc_lo, 0, v[0:1]
	v_and_or_b32 v0, v0, 3, v3
	s_and_b32 s10, s10, vcc_lo
	s_delay_alu instid0(VALU_DEP_1) | instid1(SALU_CYCLE_1)
	v_cndmask_b32_e64 v0, v0, 0, s10
	s_delay_alu instid0(VALU_DEP_1)
	v_or_b32_e32 v55, v0, v64
.LBB6_640:                              ;   in Loop: Header=BB6_130 Depth=2
	s_or_b32 exec_lo, exec_lo, s27
                                        ; implicit-def: $vgpr64
.LBB6_641:                              ;   in Loop: Header=BB6_130 Depth=2
	s_and_not1_saveexec_b32 s10, s26
; %bb.642:                              ;   in Loop: Header=BB6_130 Depth=2
	v_or_b32_e32 v55, 0x7b, v64
; %bb.643:                              ;   in Loop: Header=BB6_130 Depth=2
	s_or_b32 exec_lo, exec_lo, s10
                                        ; implicit-def: $vgpr2
                                        ; implicit-def: $vgpr0_vgpr1
                                        ; implicit-def: $vgpr3
.LBB6_644:                              ;   in Loop: Header=BB6_130 Depth=2
	s_and_not1_saveexec_b32 s10, s25
	s_cbranch_execz .LBB6_650
; %bb.645:                              ;   in Loop: Header=BB6_130 Depth=2
	s_mov_b32 s25, exec_lo
                                        ; implicit-def: $vgpr55
	v_cmpx_ne_u64_e32 0, v[0:1]
	s_xor_b32 s25, exec_lo, s25
; %bb.646:                              ;   in Loop: Header=BB6_130 Depth=2
	v_or_b32_e32 v55, 0x7f, v3
                                        ; implicit-def: $vgpr2
; %bb.647:                              ;   in Loop: Header=BB6_130 Depth=2
	s_and_not1_saveexec_b32 s25, s25
; %bb.648:                              ;   in Loop: Header=BB6_130 Depth=2
	v_cmp_lt_i32_e32 vcc_lo, -1, v2
	v_cndmask_b32_e32 v55, 0xfc, v108, vcc_lo
; %bb.649:                              ;   in Loop: Header=BB6_130 Depth=2
	s_or_b32 exec_lo, exec_lo, s25
.LBB6_650:                              ;   in Loop: Header=BB6_130 Depth=2
	s_delay_alu instid0(SALU_CYCLE_1) | instskip(SKIP_3) | instid1(VALU_DEP_2)
	s_or_b32 exec_lo, exec_lo, s10
	v_lshrrev_b16 v0, 8, v4
	v_dual_mov_b32 v2, 0 :: v_dual_mov_b32 v3, 0
	s_mov_b32 s10, exec_lo
	v_cmpx_ne_u16_e32 0, v0
	s_cbranch_execz .LBB6_660
; %bb.651:                              ;   in Loop: Header=BB6_130 Depth=2
	v_bfrev_b32_e32 v3, 1
	s_mov_b32 s25, exec_lo
	v_cmpx_ne_u16_e32 0x80, v0
	s_cbranch_execz .LBB6_659
; %bb.652:                              ;   in Loop: Header=BB6_130 Depth=2
	v_and_b32_e32 v64, 0xffff, v0
	s_delay_alu instid0(VALU_DEP_1) | instskip(SKIP_1) | instid1(VALU_DEP_2)
	v_and_b32_e32 v3, 0x7c, v64
	v_and_b32_e32 v1, 3, v64
	v_cmp_ne_u32_e32 vcc_lo, 0x7c, v3
                                        ; implicit-def: $vgpr3
	s_and_saveexec_b32 s26, vcc_lo
	s_delay_alu instid0(SALU_CYCLE_1)
	s_xor_b32 s26, exec_lo, s26
	s_cbranch_execz .LBB6_656
; %bb.653:                              ;   in Loop: Header=BB6_130 Depth=2
	v_bfe_u32 v3, v64, 2, 5
	s_mov_b32 s27, exec_lo
	s_delay_alu instid0(VALU_DEP_1)
	v_cmpx_eq_u32_e32 0, v3
	s_cbranch_execz .LBB6_655
; %bb.654:                              ;   in Loop: Header=BB6_130 Depth=2
	v_clz_i32_u32_e32 v1, v1
	s_delay_alu instid0(VALU_DEP_1) | instskip(SKIP_1) | instid1(VALU_DEP_2)
	v_min_u32_e32 v3, 32, v1
	v_mov_b32_e32 v1, v5
	v_subrev_nc_u32_e32 v64, 29, v3
	v_sub_nc_u32_e32 v3, 30, v3
	s_delay_alu instid0(VALU_DEP_2) | instskip(NEXT) | instid1(VALU_DEP_1)
	v_lshlrev_b64_e32 v[0:1], v64, v[0:1]
	v_and_b32_e32 v1, 3, v0
.LBB6_655:                              ;   in Loop: Header=BB6_130 Depth=2
	s_or_b32 exec_lo, exec_lo, s27
	v_lshlrev_b32_e32 v0, 16, v4
	s_delay_alu instid0(VALU_DEP_1) | instskip(NEXT) | instid1(VALU_DEP_1)
	v_and_b32_e32 v0, 0x80000000, v0
	v_lshl_add_u32 v0, v3, 23, v0
	s_delay_alu instid0(VALU_DEP_1) | instskip(NEXT) | instid1(VALU_DEP_1)
	v_lshl_or_b32 v0, v1, 21, v0
                                        ; implicit-def: $vgpr1
	v_add_nc_u32_e32 v3, 0x38000000, v0
.LBB6_656:                              ;   in Loop: Header=BB6_130 Depth=2
	s_and_not1_saveexec_b32 s26, s26
; %bb.657:                              ;   in Loop: Header=BB6_130 Depth=2
	v_cmp_lt_i16_e32 vcc_lo, -1, v4
	v_cndmask_b32_e32 v0, 0xff800000, v109, vcc_lo
	v_cmp_eq_u32_e32 vcc_lo, 0, v1
	s_delay_alu instid0(VALU_DEP_2)
	v_cndmask_b32_e32 v3, 0x7f800001, v0, vcc_lo
; %bb.658:                              ;   in Loop: Header=BB6_130 Depth=2
	s_or_b32 exec_lo, exec_lo, s26
.LBB6_659:                              ;   in Loop: Header=BB6_130 Depth=2
	s_delay_alu instid0(SALU_CYCLE_1)
	s_or_b32 exec_lo, exec_lo, s25
.LBB6_660:                              ;   in Loop: Header=BB6_130 Depth=2
	s_delay_alu instid0(SALU_CYCLE_1) | instskip(SKIP_2) | instid1(VALU_DEP_1)
	s_or_b32 exec_lo, exec_lo, s10
	v_lshrrev_b16 v0, 8, v39
	s_mov_b32 s10, exec_lo
	v_cmpx_ne_u16_e32 0, v0
	s_cbranch_execz .LBB6_670
; %bb.661:                              ;   in Loop: Header=BB6_130 Depth=2
	v_bfrev_b32_e32 v2, 1
	s_mov_b32 s25, exec_lo
	v_cmpx_ne_u16_e32 0x80, v0
	s_cbranch_execz .LBB6_669
; %bb.662:                              ;   in Loop: Header=BB6_130 Depth=2
	v_and_b32_e32 v4, 0xffff, v0
	s_delay_alu instid0(VALU_DEP_1) | instskip(SKIP_1) | instid1(VALU_DEP_2)
	v_and_b32_e32 v2, 0x7c, v4
	v_and_b32_e32 v1, 3, v4
	v_cmp_ne_u32_e32 vcc_lo, 0x7c, v2
                                        ; implicit-def: $vgpr2
	s_and_saveexec_b32 s26, vcc_lo
	s_delay_alu instid0(SALU_CYCLE_1)
	s_xor_b32 s26, exec_lo, s26
	s_cbranch_execz .LBB6_666
; %bb.663:                              ;   in Loop: Header=BB6_130 Depth=2
	v_bfe_u32 v2, v4, 2, 5
	s_mov_b32 s27, exec_lo
	s_delay_alu instid0(VALU_DEP_1)
	v_cmpx_eq_u32_e32 0, v2
	s_cbranch_execz .LBB6_665
; %bb.664:                              ;   in Loop: Header=BB6_130 Depth=2
	v_clz_i32_u32_e32 v1, v1
	s_delay_alu instid0(VALU_DEP_1) | instskip(SKIP_1) | instid1(VALU_DEP_2)
	v_min_u32_e32 v2, 32, v1
	v_mov_b32_e32 v1, v5
	v_subrev_nc_u32_e32 v4, 29, v2
	v_sub_nc_u32_e32 v2, 30, v2
	s_delay_alu instid0(VALU_DEP_2) | instskip(NEXT) | instid1(VALU_DEP_1)
	v_lshlrev_b64_e32 v[0:1], v4, v[0:1]
	v_and_b32_e32 v1, 3, v0
.LBB6_665:                              ;   in Loop: Header=BB6_130 Depth=2
	s_or_b32 exec_lo, exec_lo, s27
	v_lshlrev_b32_e32 v0, 16, v39
	s_delay_alu instid0(VALU_DEP_1) | instskip(NEXT) | instid1(VALU_DEP_1)
	v_and_b32_e32 v0, 0x80000000, v0
	v_lshl_add_u32 v0, v2, 23, v0
	s_delay_alu instid0(VALU_DEP_1) | instskip(NEXT) | instid1(VALU_DEP_1)
	v_lshl_or_b32 v0, v1, 21, v0
                                        ; implicit-def: $vgpr1
	v_add_nc_u32_e32 v2, 0x38000000, v0
.LBB6_666:                              ;   in Loop: Header=BB6_130 Depth=2
	s_and_not1_saveexec_b32 s26, s26
; %bb.667:                              ;   in Loop: Header=BB6_130 Depth=2
	v_cmp_lt_i16_e32 vcc_lo, -1, v39
	v_cndmask_b32_e32 v0, 0xff800000, v109, vcc_lo
	v_cmp_eq_u32_e32 vcc_lo, 0, v1
	s_delay_alu instid0(VALU_DEP_2)
	v_cndmask_b32_e32 v2, 0x7f800001, v0, vcc_lo
; %bb.668:                              ;   in Loop: Header=BB6_130 Depth=2
	s_or_b32 exec_lo, exec_lo, s26
.LBB6_669:                              ;   in Loop: Header=BB6_130 Depth=2
	s_delay_alu instid0(SALU_CYCLE_1)
	s_or_b32 exec_lo, exec_lo, s25
.LBB6_670:                              ;   in Loop: Header=BB6_130 Depth=2
	s_delay_alu instid0(SALU_CYCLE_1) | instskip(NEXT) | instid1(VALU_DEP_1)
	s_or_b32 exec_lo, exec_lo, s10
	v_dual_mul_f32 v0, v3, v2 :: v_dual_mov_b32 v3, v5
                                        ; implicit-def: $vgpr64
	s_mov_b32 s10, exec_lo
	s_delay_alu instid0(VALU_DEP_1) | instskip(SKIP_2) | instid1(VALU_DEP_3)
	v_and_b32_e32 v2, 0x7f800000, v0
	v_and_b32_e32 v4, 0x7fffff, v0
	v_lshrrev_b32_e32 v1, 24, v0
	v_cmpx_ne_u64_e32 0x7f800000, v[2:3]
	s_xor_b32 s25, exec_lo, s10
	s_cbranch_execz .LBB6_684
; %bb.671:                              ;   in Loop: Header=BB6_130 Depth=2
	v_and_b32_e32 v2, 0x7fffffff, v0
	v_mov_b32_e32 v3, v5
	v_and_b32_e32 v65, 0x80, v1
                                        ; implicit-def: $vgpr64
	s_mov_b32 s10, exec_lo
	s_delay_alu instid0(VALU_DEP_2)
	v_cmpx_gt_u64_e32 0x47600001, v[2:3]
	s_xor_b32 s26, exec_lo, s10
	s_cbranch_execz .LBB6_681
; %bb.672:                              ;   in Loop: Header=BB6_130 Depth=2
	v_mov_b32_e32 v64, 0
	s_mov_b32 s27, exec_lo
	v_cmpx_ne_u32_e32 0, v0
	s_cbranch_execz .LBB6_680
; %bb.673:                              ;   in Loop: Header=BB6_130 Depth=2
	v_bfe_u32 v64, v0, 23, 8
	v_or_b32_e32 v2, 0x800000, v4
	s_mov_b32 s28, exec_lo
	s_delay_alu instid0(VALU_DEP_2) | instskip(SKIP_1) | instid1(VALU_DEP_2)
	v_dual_mov_b32 v3, v5 :: v_dual_sub_nc_u32 v0, 0x71, v64
	v_cmp_gt_u32_e32 vcc_lo, 0x72, v64
	v_cndmask_b32_e32 v0, 0, v0, vcc_lo
	v_cmp_eq_u32_e32 vcc_lo, 0, v64
	s_delay_alu instid0(VALU_DEP_2) | instskip(NEXT) | instid1(VALU_DEP_1)
	v_cndmask_b32_e64 v66, v0, 0x70, vcc_lo
	v_dual_cndmask_b32 v2, v2, v4, vcc_lo :: v_dual_add_nc_u32 v0, 21, v66
	v_add_nc_u32_e32 v67, 20, v66
	s_delay_alu instid0(VALU_DEP_2) | instskip(NEXT) | instid1(VALU_DEP_2)
	v_lshlrev_b64_e64 v[0:1], v0, -1
	v_lshlrev_b64_e64 v[68:69], v67, 1
	s_delay_alu instid0(VALU_DEP_2) | instskip(NEXT) | instid1(VALU_DEP_3)
	v_bfi_b32 v71, v1, 0, 0
	v_bfi_b32 v70, v0, 0, v2
	v_lshrrev_b64 v[0:1], v66, v[2:3]
	s_delay_alu instid0(VALU_DEP_1) | instskip(NEXT) | instid1(VALU_DEP_3)
	v_mov_b64_e32 v[2:3], v[0:1]
	v_cmpx_eq_u64_e64 v[70:71], v[68:69]
; %bb.674:                              ;   in Loop: Header=BB6_130 Depth=2
	v_bfe_u32 v2, v0, 21, 1
	v_mov_b32_e32 v3, v5
	s_delay_alu instid0(VALU_DEP_1) | instskip(NEXT) | instid1(VALU_DEP_1)
	v_add_nc_u64_e32 v[2:3], v[0:1], v[2:3]
	v_add_nc_u64_e32 v[2:3], -1, v[2:3]
; %bb.675:                              ;   in Loop: Header=BB6_130 Depth=2
	s_or_b32 exec_lo, exec_lo, s28
	v_add_nc_u32_e32 v1, 0xffffff81, v64
	v_lshrrev_b32_e32 v3, 23, v0
	s_mov_b32 s10, exec_lo
	s_delay_alu instid0(VALU_DEP_2) | instskip(NEXT) | instid1(VALU_DEP_1)
	v_cndmask_b32_e64 v1, v1, 0xffffff82, vcc_lo
	v_add3_u32 v3, v66, v1, v3
	v_and_b32_e32 v1, 0x1fffff, v2
                                        ; implicit-def: $vgpr2
	s_delay_alu instid0(VALU_DEP_1) | instskip(NEXT) | instid1(VALU_DEP_1)
	v_dual_add_nc_u32 v64, 14, v3 :: v_dual_add_nc_u32 v4, v1, v0
                                        ; implicit-def: $vgpr0_vgpr1
	v_cmpx_ne_u32_e32 0, v64
	s_xor_b32 s10, exec_lo, s10
; %bb.676:                              ;   in Loop: Header=BB6_130 Depth=2
	s_delay_alu instid0(VALU_DEP_2) | instskip(SKIP_1) | instid1(VALU_DEP_1)
	v_cmp_lt_u64_e32 vcc_lo, 0xffffff, v[4:5]
	v_add_nc_u32_e32 v0, 15, v3
	v_cndmask_b32_e32 v2, v64, v0, vcc_lo
	v_cndmask_b32_e64 v0, 0, 1, vcc_lo
	s_delay_alu instid0(VALU_DEP_1)
	v_lshrrev_b64 v[0:1], v0, v[4:5]
; %bb.677:                              ;   in Loop: Header=BB6_130 Depth=2
	s_and_not1_saveexec_b32 s10, s10
; %bb.678:                              ;   in Loop: Header=BB6_130 Depth=2
	v_mov_b64_e32 v[0:1], v[4:5]
	v_bfe_u32 v2, v4, 23, 1
; %bb.679:                              ;   in Loop: Header=BB6_130 Depth=2
	s_or_b32 exec_lo, exec_lo, s10
	s_delay_alu instid0(VALU_DEP_2) | instskip(NEXT) | instid1(VALU_DEP_2)
	v_lshrrev_b64 v[0:1], 21, v[0:1]
	v_cmp_gt_i32_e32 vcc_lo, 32, v2
	v_min_i32_e32 v3, 31, v2
	v_cmp_eq_u32_e64 s10, 0, v2
	s_delay_alu instid0(VALU_DEP_2) | instskip(SKIP_1) | instid1(VALU_DEP_2)
	v_dual_cndmask_b32 v1, 0, v1, vcc_lo :: v_dual_lshlrev_b32 v3, 2, v3
	v_cndmask_b32_e32 v0, 3, v0, vcc_lo
	v_and_b32_e32 v3, 0xfc, v3
	s_delay_alu instid0(VALU_DEP_2) | instskip(NEXT) | instid1(VALU_DEP_2)
	v_cmp_eq_u64_e32 vcc_lo, 0, v[0:1]
	v_and_or_b32 v0, v0, 3, v3
	s_and_b32 s10, s10, vcc_lo
	s_delay_alu instid0(VALU_DEP_1) | instid1(SALU_CYCLE_1)
	v_cndmask_b32_e64 v0, v0, 0, s10
	s_delay_alu instid0(VALU_DEP_1)
	v_or_b32_e32 v64, v0, v65
.LBB6_680:                              ;   in Loop: Header=BB6_130 Depth=2
	s_or_b32 exec_lo, exec_lo, s27
                                        ; implicit-def: $vgpr65
.LBB6_681:                              ;   in Loop: Header=BB6_130 Depth=2
	s_and_not1_saveexec_b32 s10, s26
; %bb.682:                              ;   in Loop: Header=BB6_130 Depth=2
	v_or_b32_e32 v64, 0x7b, v65
; %bb.683:                              ;   in Loop: Header=BB6_130 Depth=2
	s_or_b32 exec_lo, exec_lo, s10
                                        ; implicit-def: $vgpr0
                                        ; implicit-def: $vgpr1
.LBB6_684:                              ;   in Loop: Header=BB6_130 Depth=2
	s_and_not1_saveexec_b32 s10, s25
	s_cbranch_execz .LBB6_690
; %bb.685:                              ;   in Loop: Header=BB6_130 Depth=2
	s_mov_b32 s25, exec_lo
                                        ; implicit-def: $vgpr64
	v_cmpx_ne_u64_e32 0, v[4:5]
	s_xor_b32 s25, exec_lo, s25
; %bb.686:                              ;   in Loop: Header=BB6_130 Depth=2
	v_or_b32_e32 v64, 0x7f, v1
                                        ; implicit-def: $vgpr0
; %bb.687:                              ;   in Loop: Header=BB6_130 Depth=2
	s_and_not1_saveexec_b32 s25, s25
; %bb.688:                              ;   in Loop: Header=BB6_130 Depth=2
	v_cmp_lt_i32_e32 vcc_lo, -1, v0
	v_cndmask_b32_e32 v64, 0xfc, v108, vcc_lo
; %bb.689:                              ;   in Loop: Header=BB6_130 Depth=2
	s_or_b32 exec_lo, exec_lo, s25
.LBB6_690:                              ;   in Loop: Header=BB6_130 Depth=2
	s_delay_alu instid0(SALU_CYCLE_1) | instskip(SKIP_3) | instid1(VALU_DEP_2)
	s_or_b32 exec_lo, exec_lo, s10
	v_dual_mov_b32 v1, 0 :: v_dual_lshrrev_b32 v0, 16, v51
	v_mov_b32_e32 v2, 0
	s_mov_b32 s10, exec_lo
	v_and_b32_e32 v3, 0xff, v0
	s_delay_alu instid0(VALU_DEP_1)
	v_cmpx_ne_u16_e32 0, v3
	s_cbranch_execz .LBB6_700
; %bb.691:                              ;   in Loop: Header=BB6_130 Depth=2
	v_bfrev_b32_e32 v2, 1
	s_mov_b32 s25, exec_lo
	v_cmpx_ne_u16_e32 0x80, v3
	s_cbranch_execz .LBB6_699
; %bb.692:                              ;   in Loop: Header=BB6_130 Depth=2
	v_and_b32_e32 v2, 0x7c0000, v51
	v_bfe_u32 v3, v51, 16, 2
	s_delay_alu instid0(VALU_DEP_2) | instskip(SKIP_1) | instid1(SALU_CYCLE_1)
	v_cmp_ne_u32_e32 vcc_lo, 0x7c0000, v2
                                        ; implicit-def: $vgpr2
	s_and_saveexec_b32 s26, vcc_lo
	s_xor_b32 s26, exec_lo, s26
	s_cbranch_execz .LBB6_696
; %bb.693:                              ;   in Loop: Header=BB6_130 Depth=2
	v_bfe_u32 v2, v51, 18, 5
	s_mov_b32 s27, exec_lo
	s_delay_alu instid0(VALU_DEP_1)
	v_cmpx_eq_u32_e32 0, v2
; %bb.694:                              ;   in Loop: Header=BB6_130 Depth=2
	v_clz_i32_u32_e32 v2, v3
	s_delay_alu instid0(VALU_DEP_1) | instskip(NEXT) | instid1(VALU_DEP_1)
	v_min_u32_e32 v2, 32, v2
	v_subrev_nc_u32_e32 v3, 29, v2
	v_sub_nc_u32_e32 v2, 30, v2
	s_delay_alu instid0(VALU_DEP_2) | instskip(NEXT) | instid1(VALU_DEP_1)
	v_lshlrev_b64_e32 v[66:67], v3, v[0:1]
	v_and_b32_e32 v3, 3, v66
; %bb.695:                              ;   in Loop: Header=BB6_130 Depth=2
	s_or_b32 exec_lo, exec_lo, s27
	v_lshlrev_b32_e32 v0, 24, v0
	s_delay_alu instid0(VALU_DEP_1) | instskip(NEXT) | instid1(VALU_DEP_1)
	v_and_b32_e32 v0, 0x80000000, v0
	v_lshl_add_u32 v0, v2, 23, v0
	s_delay_alu instid0(VALU_DEP_1) | instskip(NEXT) | instid1(VALU_DEP_1)
	v_lshl_or_b32 v0, v3, 21, v0
                                        ; implicit-def: $vgpr3
	v_add_nc_u32_e32 v2, 0x38000000, v0
                                        ; implicit-def: $vgpr0
.LBB6_696:                              ;   in Loop: Header=BB6_130 Depth=2
	s_and_not1_saveexec_b32 s26, s26
; %bb.697:                              ;   in Loop: Header=BB6_130 Depth=2
	v_bfe_i32 v0, v0, 0, 8
	s_delay_alu instid0(VALU_DEP_1) | instskip(SKIP_2) | instid1(VALU_DEP_2)
	v_cmp_lt_i16_e32 vcc_lo, -1, v0
	v_cndmask_b32_e32 v0, 0xff800000, v109, vcc_lo
	v_cmp_eq_u32_e32 vcc_lo, 0, v3
	v_cndmask_b32_e32 v2, 0x7f800001, v0, vcc_lo
; %bb.698:                              ;   in Loop: Header=BB6_130 Depth=2
	s_or_b32 exec_lo, exec_lo, s26
.LBB6_699:                              ;   in Loop: Header=BB6_130 Depth=2
	s_delay_alu instid0(SALU_CYCLE_1)
	s_or_b32 exec_lo, exec_lo, s25
.LBB6_700:                              ;   in Loop: Header=BB6_130 Depth=2
	s_delay_alu instid0(SALU_CYCLE_1) | instskip(SKIP_2) | instid1(VALU_DEP_1)
	s_or_b32 exec_lo, exec_lo, s10
	v_lshrrev_b32_e32 v0, 16, v39
	s_mov_b32 s10, exec_lo
	v_and_b32_e32 v3, 0xff, v0
	s_delay_alu instid0(VALU_DEP_1)
	v_cmpx_ne_u16_e32 0, v3
	s_cbranch_execz .LBB6_710
; %bb.701:                              ;   in Loop: Header=BB6_130 Depth=2
	v_bfrev_b32_e32 v1, 1
	s_mov_b32 s25, exec_lo
	v_cmpx_ne_u16_e32 0x80, v3
	s_cbranch_execz .LBB6_709
; %bb.702:                              ;   in Loop: Header=BB6_130 Depth=2
	v_and_b32_e32 v1, 0x7c0000, v39
	v_bfe_u32 v3, v39, 16, 2
	s_delay_alu instid0(VALU_DEP_2) | instskip(SKIP_1) | instid1(SALU_CYCLE_1)
	v_cmp_ne_u32_e32 vcc_lo, 0x7c0000, v1
                                        ; implicit-def: $vgpr1
	s_and_saveexec_b32 s26, vcc_lo
	s_xor_b32 s26, exec_lo, s26
	s_cbranch_execz .LBB6_706
; %bb.703:                              ;   in Loop: Header=BB6_130 Depth=2
	v_bfe_u32 v1, v39, 18, 5
	s_mov_b32 s27, exec_lo
	s_delay_alu instid0(VALU_DEP_1)
	v_cmpx_eq_u32_e32 0, v1
; %bb.704:                              ;   in Loop: Header=BB6_130 Depth=2
	v_clz_i32_u32_e32 v1, v3
	s_delay_alu instid0(VALU_DEP_1) | instskip(NEXT) | instid1(VALU_DEP_1)
	v_min_u32_e32 v1, 32, v1
	v_subrev_nc_u32_e32 v3, 29, v1
	s_delay_alu instid0(VALU_DEP_1) | instskip(NEXT) | instid1(VALU_DEP_1)
	v_lshlrev_b64_e32 v[66:67], v3, v[0:1]
	v_dual_sub_nc_u32 v1, 30, v1 :: v_dual_bitop2_b32 v3, 3, v66 bitop3:0x40
; %bb.705:                              ;   in Loop: Header=BB6_130 Depth=2
	s_or_b32 exec_lo, exec_lo, s27
	v_lshlrev_b32_e32 v0, 24, v0
	s_delay_alu instid0(VALU_DEP_1) | instskip(NEXT) | instid1(VALU_DEP_1)
	v_and_b32_e32 v0, 0x80000000, v0
	v_lshl_add_u32 v0, v1, 23, v0
	s_delay_alu instid0(VALU_DEP_1) | instskip(NEXT) | instid1(VALU_DEP_1)
	v_lshl_or_b32 v0, v3, 21, v0
                                        ; implicit-def: $vgpr3
	v_add_nc_u32_e32 v1, 0x38000000, v0
                                        ; implicit-def: $vgpr0
.LBB6_706:                              ;   in Loop: Header=BB6_130 Depth=2
	s_and_not1_saveexec_b32 s26, s26
; %bb.707:                              ;   in Loop: Header=BB6_130 Depth=2
	v_bfe_i32 v0, v0, 0, 8
	s_delay_alu instid0(VALU_DEP_1) | instskip(SKIP_2) | instid1(VALU_DEP_2)
	v_cmp_lt_i16_e32 vcc_lo, -1, v0
	v_cndmask_b32_e32 v0, 0xff800000, v109, vcc_lo
	v_cmp_eq_u32_e32 vcc_lo, 0, v3
	v_cndmask_b32_e32 v1, 0x7f800001, v0, vcc_lo
; %bb.708:                              ;   in Loop: Header=BB6_130 Depth=2
	s_or_b32 exec_lo, exec_lo, s26
.LBB6_709:                              ;   in Loop: Header=BB6_130 Depth=2
	s_delay_alu instid0(SALU_CYCLE_1)
	s_or_b32 exec_lo, exec_lo, s25
.LBB6_710:                              ;   in Loop: Header=BB6_130 Depth=2
	s_delay_alu instid0(SALU_CYCLE_1) | instskip(NEXT) | instid1(VALU_DEP_1)
	s_or_b32 exec_lo, exec_lo, s10
	v_dual_mul_f32 v0, v2, v1 :: v_dual_mov_b32 v3, v5
                                        ; implicit-def: $vgpr65
	s_mov_b32 s10, exec_lo
	s_delay_alu instid0(VALU_DEP_1) | instskip(SKIP_2) | instid1(VALU_DEP_3)
	v_and_b32_e32 v2, 0x7f800000, v0
	v_and_b32_e32 v4, 0x7fffff, v0
	v_lshrrev_b32_e32 v1, 24, v0
	v_cmpx_ne_u64_e32 0x7f800000, v[2:3]
	s_xor_b32 s25, exec_lo, s10
	s_cbranch_execz .LBB6_724
; %bb.711:                              ;   in Loop: Header=BB6_130 Depth=2
	v_and_b32_e32 v2, 0x7fffffff, v0
	v_mov_b32_e32 v3, v5
	v_and_b32_e32 v66, 0x80, v1
                                        ; implicit-def: $vgpr65
	s_mov_b32 s10, exec_lo
	s_delay_alu instid0(VALU_DEP_2)
	v_cmpx_gt_u64_e32 0x47600001, v[2:3]
	s_xor_b32 s26, exec_lo, s10
	s_cbranch_execz .LBB6_721
; %bb.712:                              ;   in Loop: Header=BB6_130 Depth=2
	v_mov_b32_e32 v65, 0
	s_mov_b32 s27, exec_lo
	v_cmpx_ne_u32_e32 0, v0
	s_cbranch_execz .LBB6_720
; %bb.713:                              ;   in Loop: Header=BB6_130 Depth=2
	v_bfe_u32 v65, v0, 23, 8
	v_or_b32_e32 v2, 0x800000, v4
	s_mov_b32 s28, exec_lo
	s_delay_alu instid0(VALU_DEP_2) | instskip(SKIP_1) | instid1(VALU_DEP_2)
	v_dual_mov_b32 v3, v5 :: v_dual_sub_nc_u32 v0, 0x71, v65
	v_cmp_gt_u32_e32 vcc_lo, 0x72, v65
	v_cndmask_b32_e32 v0, 0, v0, vcc_lo
	v_cmp_eq_u32_e32 vcc_lo, 0, v65
	s_delay_alu instid0(VALU_DEP_2) | instskip(NEXT) | instid1(VALU_DEP_1)
	v_cndmask_b32_e64 v67, v0, 0x70, vcc_lo
	v_dual_cndmask_b32 v2, v2, v4, vcc_lo :: v_dual_add_nc_u32 v0, 21, v67
	v_add_nc_u32_e32 v68, 20, v67
	s_delay_alu instid0(VALU_DEP_2) | instskip(NEXT) | instid1(VALU_DEP_2)
	v_lshlrev_b64_e64 v[0:1], v0, -1
	v_lshlrev_b64_e64 v[68:69], v68, 1
	s_delay_alu instid0(VALU_DEP_2) | instskip(NEXT) | instid1(VALU_DEP_3)
	v_bfi_b32 v71, v1, 0, 0
	v_bfi_b32 v70, v0, 0, v2
	v_lshrrev_b64 v[0:1], v67, v[2:3]
	s_delay_alu instid0(VALU_DEP_1) | instskip(NEXT) | instid1(VALU_DEP_3)
	v_mov_b64_e32 v[2:3], v[0:1]
	v_cmpx_eq_u64_e64 v[70:71], v[68:69]
; %bb.714:                              ;   in Loop: Header=BB6_130 Depth=2
	v_bfe_u32 v2, v0, 21, 1
	v_mov_b32_e32 v3, v5
	s_delay_alu instid0(VALU_DEP_1) | instskip(NEXT) | instid1(VALU_DEP_1)
	v_add_nc_u64_e32 v[2:3], v[0:1], v[2:3]
	v_add_nc_u64_e32 v[2:3], -1, v[2:3]
; %bb.715:                              ;   in Loop: Header=BB6_130 Depth=2
	s_or_b32 exec_lo, exec_lo, s28
	v_add_nc_u32_e32 v1, 0xffffff81, v65
	v_lshrrev_b32_e32 v3, 23, v0
	s_mov_b32 s10, exec_lo
	s_delay_alu instid0(VALU_DEP_2) | instskip(NEXT) | instid1(VALU_DEP_1)
	v_cndmask_b32_e64 v1, v1, 0xffffff82, vcc_lo
	v_add3_u32 v3, v67, v1, v3
	v_and_b32_e32 v1, 0x1fffff, v2
                                        ; implicit-def: $vgpr2
	s_delay_alu instid0(VALU_DEP_1) | instskip(NEXT) | instid1(VALU_DEP_1)
	v_dual_add_nc_u32 v65, 14, v3 :: v_dual_add_nc_u32 v4, v1, v0
                                        ; implicit-def: $vgpr0_vgpr1
	v_cmpx_ne_u32_e32 0, v65
	s_xor_b32 s10, exec_lo, s10
; %bb.716:                              ;   in Loop: Header=BB6_130 Depth=2
	s_delay_alu instid0(VALU_DEP_2) | instskip(SKIP_1) | instid1(VALU_DEP_1)
	v_cmp_lt_u64_e32 vcc_lo, 0xffffff, v[4:5]
	v_add_nc_u32_e32 v0, 15, v3
	v_cndmask_b32_e32 v2, v65, v0, vcc_lo
	v_cndmask_b32_e64 v0, 0, 1, vcc_lo
	s_delay_alu instid0(VALU_DEP_1)
	v_lshrrev_b64 v[0:1], v0, v[4:5]
; %bb.717:                              ;   in Loop: Header=BB6_130 Depth=2
	s_and_not1_saveexec_b32 s10, s10
; %bb.718:                              ;   in Loop: Header=BB6_130 Depth=2
	v_mov_b64_e32 v[0:1], v[4:5]
	v_bfe_u32 v2, v4, 23, 1
; %bb.719:                              ;   in Loop: Header=BB6_130 Depth=2
	s_or_b32 exec_lo, exec_lo, s10
	s_delay_alu instid0(VALU_DEP_2) | instskip(NEXT) | instid1(VALU_DEP_2)
	v_lshrrev_b64 v[0:1], 21, v[0:1]
	v_cmp_gt_i32_e32 vcc_lo, 32, v2
	v_min_i32_e32 v3, 31, v2
	v_cmp_eq_u32_e64 s10, 0, v2
	s_delay_alu instid0(VALU_DEP_2) | instskip(SKIP_1) | instid1(VALU_DEP_2)
	v_dual_cndmask_b32 v1, 0, v1, vcc_lo :: v_dual_lshlrev_b32 v3, 2, v3
	v_cndmask_b32_e32 v0, 3, v0, vcc_lo
	v_and_b32_e32 v3, 0xfc, v3
	s_delay_alu instid0(VALU_DEP_2) | instskip(NEXT) | instid1(VALU_DEP_2)
	v_cmp_eq_u64_e32 vcc_lo, 0, v[0:1]
	v_and_or_b32 v0, v0, 3, v3
	s_and_b32 s10, s10, vcc_lo
	s_delay_alu instid0(VALU_DEP_1) | instid1(SALU_CYCLE_1)
	v_cndmask_b32_e64 v0, v0, 0, s10
	s_delay_alu instid0(VALU_DEP_1)
	v_or_b32_e32 v65, v0, v66
.LBB6_720:                              ;   in Loop: Header=BB6_130 Depth=2
	s_or_b32 exec_lo, exec_lo, s27
                                        ; implicit-def: $vgpr66
.LBB6_721:                              ;   in Loop: Header=BB6_130 Depth=2
	s_and_not1_saveexec_b32 s10, s26
; %bb.722:                              ;   in Loop: Header=BB6_130 Depth=2
	v_or_b32_e32 v65, 0x7b, v66
; %bb.723:                              ;   in Loop: Header=BB6_130 Depth=2
	s_or_b32 exec_lo, exec_lo, s10
                                        ; implicit-def: $vgpr0
                                        ; implicit-def: $vgpr1
.LBB6_724:                              ;   in Loop: Header=BB6_130 Depth=2
	s_and_not1_saveexec_b32 s10, s25
	s_cbranch_execz .LBB6_730
; %bb.725:                              ;   in Loop: Header=BB6_130 Depth=2
	s_mov_b32 s25, exec_lo
                                        ; implicit-def: $vgpr65
	v_cmpx_ne_u64_e32 0, v[4:5]
	s_xor_b32 s25, exec_lo, s25
; %bb.726:                              ;   in Loop: Header=BB6_130 Depth=2
	v_or_b32_e32 v65, 0x7f, v1
                                        ; implicit-def: $vgpr0
; %bb.727:                              ;   in Loop: Header=BB6_130 Depth=2
	s_and_not1_saveexec_b32 s25, s25
; %bb.728:                              ;   in Loop: Header=BB6_130 Depth=2
	v_cmp_lt_i32_e32 vcc_lo, -1, v0
	v_cndmask_b32_e32 v65, 0xfc, v108, vcc_lo
; %bb.729:                              ;   in Loop: Header=BB6_130 Depth=2
	s_or_b32 exec_lo, exec_lo, s25
.LBB6_730:                              ;   in Loop: Header=BB6_130 Depth=2
	s_delay_alu instid0(SALU_CYCLE_1)
	s_or_b32 exec_lo, exec_lo, s10
	v_dual_mov_b32 v1, 0 :: v_dual_mov_b32 v2, 0
	s_mov_b32 s10, exec_lo
	v_cmpx_lt_u64_e64 s[12:13], v[50:51]
	s_cbranch_execz .LBB6_740
; %bb.731:                              ;   in Loop: Header=BB6_130 Depth=2
	v_lshrrev_b32_e32 v0, 24, v51
	v_bfrev_b32_e32 v2, 1
	s_mov_b32 s25, exec_lo
	s_delay_alu instid0(VALU_DEP_2)
	v_cmpx_ne_u32_e32 0x80, v0
	s_cbranch_execz .LBB6_739
; %bb.732:                              ;   in Loop: Header=BB6_130 Depth=2
	v_and_b32_e32 v2, 0x7c000000, v51
	v_bfe_u32 v3, v51, 24, 2
	s_delay_alu instid0(VALU_DEP_2) | instskip(SKIP_1) | instid1(SALU_CYCLE_1)
	v_cmp_ne_u32_e32 vcc_lo, 0x7c000000, v2
                                        ; implicit-def: $vgpr2
	s_and_saveexec_b32 s26, vcc_lo
	s_xor_b32 s26, exec_lo, s26
	s_cbranch_execz .LBB6_736
; %bb.733:                              ;   in Loop: Header=BB6_130 Depth=2
	v_bfe_u32 v2, v51, 26, 5
	s_mov_b32 s27, exec_lo
	s_delay_alu instid0(VALU_DEP_1)
	v_cmpx_eq_u32_e32 0, v2
; %bb.734:                              ;   in Loop: Header=BB6_130 Depth=2
	v_clz_i32_u32_e32 v2, v3
	s_delay_alu instid0(VALU_DEP_1) | instskip(NEXT) | instid1(VALU_DEP_1)
	v_min_u32_e32 v2, 32, v2
	v_subrev_nc_u32_e32 v3, 29, v2
	v_sub_nc_u32_e32 v2, 30, v2
	s_delay_alu instid0(VALU_DEP_2) | instskip(NEXT) | instid1(VALU_DEP_1)
	v_lshlrev_b64_e32 v[66:67], v3, v[0:1]
	v_and_b32_e32 v3, 3, v66
; %bb.735:                              ;   in Loop: Header=BB6_130 Depth=2
	s_or_b32 exec_lo, exec_lo, s27
	v_and_b32_e32 v0, 0x80000000, v51
                                        ; implicit-def: $vgpr50_vgpr51
	s_delay_alu instid0(VALU_DEP_1) | instskip(NEXT) | instid1(VALU_DEP_1)
	v_lshl_add_u32 v0, v2, 23, v0
	v_lshl_or_b32 v0, v3, 21, v0
                                        ; implicit-def: $vgpr3
	s_delay_alu instid0(VALU_DEP_1)
	v_add_nc_u32_e32 v2, 0x38000000, v0
.LBB6_736:                              ;   in Loop: Header=BB6_130 Depth=2
	s_and_not1_saveexec_b32 s26, s26
; %bb.737:                              ;   in Loop: Header=BB6_130 Depth=2
	v_cmp_lt_i64_e32 vcc_lo, -1, v[50:51]
	v_cndmask_b32_e32 v0, 0xff800000, v109, vcc_lo
	v_cmp_eq_u32_e32 vcc_lo, 0, v3
	s_delay_alu instid0(VALU_DEP_2)
	v_cndmask_b32_e32 v2, 0x7f800001, v0, vcc_lo
; %bb.738:                              ;   in Loop: Header=BB6_130 Depth=2
	s_or_b32 exec_lo, exec_lo, s26
.LBB6_739:                              ;   in Loop: Header=BB6_130 Depth=2
	s_delay_alu instid0(SALU_CYCLE_1)
	s_or_b32 exec_lo, exec_lo, s25
.LBB6_740:                              ;   in Loop: Header=BB6_130 Depth=2
	s_delay_alu instid0(SALU_CYCLE_1) | instskip(NEXT) | instid1(SALU_CYCLE_1)
	s_or_b32 exec_lo, exec_lo, s10
	s_mov_b32 s10, exec_lo
	v_cmpx_lt_u64_e64 s[12:13], v[38:39]
	s_cbranch_execz .LBB6_750
; %bb.741:                              ;   in Loop: Header=BB6_130 Depth=2
	v_lshrrev_b32_e32 v0, 24, v39
	v_bfrev_b32_e32 v1, 1
	s_mov_b32 s25, exec_lo
	s_delay_alu instid0(VALU_DEP_2)
	v_cmpx_ne_u32_e32 0x80, v0
	s_cbranch_execz .LBB6_749
; %bb.742:                              ;   in Loop: Header=BB6_130 Depth=2
	v_and_b32_e32 v1, 0x7c000000, v39
	v_bfe_u32 v3, v39, 24, 2
	s_delay_alu instid0(VALU_DEP_2) | instskip(SKIP_1) | instid1(SALU_CYCLE_1)
	v_cmp_ne_u32_e32 vcc_lo, 0x7c000000, v1
                                        ; implicit-def: $vgpr1
	s_and_saveexec_b32 s26, vcc_lo
	s_xor_b32 s26, exec_lo, s26
	s_cbranch_execz .LBB6_746
; %bb.743:                              ;   in Loop: Header=BB6_130 Depth=2
	v_bfe_u32 v1, v39, 26, 5
	s_mov_b32 s27, exec_lo
	s_delay_alu instid0(VALU_DEP_1)
	v_cmpx_eq_u32_e32 0, v1
; %bb.744:                              ;   in Loop: Header=BB6_130 Depth=2
	v_clz_i32_u32_e32 v1, v3
	s_delay_alu instid0(VALU_DEP_1) | instskip(NEXT) | instid1(VALU_DEP_1)
	v_min_u32_e32 v3, 32, v1
	v_subrev_nc_u32_e32 v1, 29, v3
	s_delay_alu instid0(VALU_DEP_1) | instskip(NEXT) | instid1(VALU_DEP_1)
	v_lshlrev_b64_e32 v[0:1], v1, v[0:1]
	v_dual_sub_nc_u32 v1, 30, v3 :: v_dual_bitop2_b32 v3, 3, v0 bitop3:0x40
; %bb.745:                              ;   in Loop: Header=BB6_130 Depth=2
	s_or_b32 exec_lo, exec_lo, s27
	v_and_b32_e32 v0, 0x80000000, v39
                                        ; implicit-def: $vgpr38_vgpr39
	s_delay_alu instid0(VALU_DEP_1) | instskip(NEXT) | instid1(VALU_DEP_1)
	v_lshl_add_u32 v0, v1, 23, v0
	v_lshl_or_b32 v0, v3, 21, v0
                                        ; implicit-def: $vgpr3
	s_delay_alu instid0(VALU_DEP_1)
	v_add_nc_u32_e32 v1, 0x38000000, v0
.LBB6_746:                              ;   in Loop: Header=BB6_130 Depth=2
	s_and_not1_saveexec_b32 s26, s26
; %bb.747:                              ;   in Loop: Header=BB6_130 Depth=2
	v_cmp_lt_i64_e32 vcc_lo, -1, v[38:39]
	v_cndmask_b32_e32 v0, 0xff800000, v109, vcc_lo
	v_cmp_eq_u32_e32 vcc_lo, 0, v3
	s_delay_alu instid0(VALU_DEP_2)
	v_cndmask_b32_e32 v1, 0x7f800001, v0, vcc_lo
; %bb.748:                              ;   in Loop: Header=BB6_130 Depth=2
	s_or_b32 exec_lo, exec_lo, s26
.LBB6_749:                              ;   in Loop: Header=BB6_130 Depth=2
	s_delay_alu instid0(SALU_CYCLE_1)
	s_or_b32 exec_lo, exec_lo, s25
.LBB6_750:                              ;   in Loop: Header=BB6_130 Depth=2
	s_delay_alu instid0(SALU_CYCLE_1) | instskip(NEXT) | instid1(VALU_DEP_1)
	s_or_b32 exec_lo, exec_lo, s10
	v_dual_mul_f32 v0, v2, v1 :: v_dual_mov_b32 v3, v5
                                        ; implicit-def: $vgpr38
	s_mov_b32 s10, exec_lo
	s_delay_alu instid0(VALU_DEP_1) | instskip(SKIP_2) | instid1(VALU_DEP_3)
	v_and_b32_e32 v2, 0x7f800000, v0
	v_and_b32_e32 v4, 0x7fffff, v0
	v_lshrrev_b32_e32 v1, 24, v0
	v_cmpx_ne_u64_e32 0x7f800000, v[2:3]
	s_xor_b32 s25, exec_lo, s10
	s_cbranch_execz .LBB6_764
; %bb.751:                              ;   in Loop: Header=BB6_130 Depth=2
	v_and_b32_e32 v2, 0x7fffffff, v0
	v_mov_b32_e32 v3, v5
	v_and_b32_e32 v39, 0x80, v1
                                        ; implicit-def: $vgpr38
	s_mov_b32 s10, exec_lo
	s_delay_alu instid0(VALU_DEP_2)
	v_cmpx_gt_u64_e32 0x47600001, v[2:3]
	s_xor_b32 s26, exec_lo, s10
	s_cbranch_execz .LBB6_761
; %bb.752:                              ;   in Loop: Header=BB6_130 Depth=2
	v_mov_b32_e32 v38, 0
	s_mov_b32 s27, exec_lo
	v_cmpx_ne_u32_e32 0, v0
	s_cbranch_execz .LBB6_760
; %bb.753:                              ;   in Loop: Header=BB6_130 Depth=2
	v_bfe_u32 v38, v0, 23, 8
	v_or_b32_e32 v2, 0x800000, v4
	s_mov_b32 s28, exec_lo
	s_delay_alu instid0(VALU_DEP_2) | instskip(SKIP_1) | instid1(VALU_DEP_2)
	v_dual_mov_b32 v3, v5 :: v_dual_sub_nc_u32 v0, 0x71, v38
	v_cmp_gt_u32_e32 vcc_lo, 0x72, v38
	v_cndmask_b32_e32 v0, 0, v0, vcc_lo
	v_cmp_eq_u32_e32 vcc_lo, 0, v38
	s_delay_alu instid0(VALU_DEP_2) | instskip(NEXT) | instid1(VALU_DEP_1)
	v_cndmask_b32_e64 v50, v0, 0x70, vcc_lo
	v_dual_cndmask_b32 v2, v2, v4, vcc_lo :: v_dual_add_nc_u32 v0, 21, v50
	v_add_nc_u32_e32 v51, 20, v50
	s_delay_alu instid0(VALU_DEP_2) | instskip(NEXT) | instid1(VALU_DEP_2)
	v_lshlrev_b64_e64 v[0:1], v0, -1
	v_lshlrev_b64_e64 v[66:67], v51, 1
	s_delay_alu instid0(VALU_DEP_2) | instskip(NEXT) | instid1(VALU_DEP_3)
	v_bfi_b32 v69, v1, 0, 0
	v_bfi_b32 v68, v0, 0, v2
	v_lshrrev_b64 v[0:1], v50, v[2:3]
	s_delay_alu instid0(VALU_DEP_1) | instskip(NEXT) | instid1(VALU_DEP_3)
	v_mov_b64_e32 v[2:3], v[0:1]
	v_cmpx_eq_u64_e64 v[68:69], v[66:67]
; %bb.754:                              ;   in Loop: Header=BB6_130 Depth=2
	v_bfe_u32 v2, v0, 21, 1
	v_mov_b32_e32 v3, v5
	s_delay_alu instid0(VALU_DEP_1) | instskip(NEXT) | instid1(VALU_DEP_1)
	v_add_nc_u64_e32 v[2:3], v[0:1], v[2:3]
	v_add_nc_u64_e32 v[2:3], -1, v[2:3]
; %bb.755:                              ;   in Loop: Header=BB6_130 Depth=2
	s_or_b32 exec_lo, exec_lo, s28
	v_add_nc_u32_e32 v1, 0xffffff81, v38
	v_lshrrev_b32_e32 v3, 23, v0
	s_mov_b32 s10, exec_lo
	s_delay_alu instid0(VALU_DEP_2) | instskip(NEXT) | instid1(VALU_DEP_1)
	v_cndmask_b32_e64 v1, v1, 0xffffff82, vcc_lo
	v_add3_u32 v3, v50, v1, v3
	v_and_b32_e32 v1, 0x1fffff, v2
                                        ; implicit-def: $vgpr2
	s_delay_alu instid0(VALU_DEP_1) | instskip(NEXT) | instid1(VALU_DEP_1)
	v_dual_add_nc_u32 v38, 14, v3 :: v_dual_add_nc_u32 v4, v1, v0
                                        ; implicit-def: $vgpr0_vgpr1
	v_cmpx_ne_u32_e32 0, v38
	s_xor_b32 s10, exec_lo, s10
; %bb.756:                              ;   in Loop: Header=BB6_130 Depth=2
	s_delay_alu instid0(VALU_DEP_2) | instskip(SKIP_1) | instid1(VALU_DEP_1)
	v_cmp_lt_u64_e32 vcc_lo, 0xffffff, v[4:5]
	v_add_nc_u32_e32 v0, 15, v3
	v_cndmask_b32_e32 v2, v38, v0, vcc_lo
	v_cndmask_b32_e64 v0, 0, 1, vcc_lo
	s_delay_alu instid0(VALU_DEP_1)
	v_lshrrev_b64 v[0:1], v0, v[4:5]
; %bb.757:                              ;   in Loop: Header=BB6_130 Depth=2
	s_and_not1_saveexec_b32 s10, s10
; %bb.758:                              ;   in Loop: Header=BB6_130 Depth=2
	v_mov_b64_e32 v[0:1], v[4:5]
	v_bfe_u32 v2, v4, 23, 1
; %bb.759:                              ;   in Loop: Header=BB6_130 Depth=2
	s_or_b32 exec_lo, exec_lo, s10
	s_delay_alu instid0(VALU_DEP_2) | instskip(NEXT) | instid1(VALU_DEP_2)
	v_lshrrev_b64 v[0:1], 21, v[0:1]
	v_cmp_gt_i32_e32 vcc_lo, 32, v2
	v_min_i32_e32 v3, 31, v2
	v_cmp_eq_u32_e64 s10, 0, v2
	s_delay_alu instid0(VALU_DEP_2) | instskip(SKIP_1) | instid1(VALU_DEP_2)
	v_dual_cndmask_b32 v1, 0, v1, vcc_lo :: v_dual_lshlrev_b32 v3, 2, v3
	v_cndmask_b32_e32 v0, 3, v0, vcc_lo
	v_and_b32_e32 v3, 0xfc, v3
	s_delay_alu instid0(VALU_DEP_2) | instskip(NEXT) | instid1(VALU_DEP_2)
	v_cmp_eq_u64_e32 vcc_lo, 0, v[0:1]
	v_and_or_b32 v0, v0, 3, v3
	s_and_b32 s10, s10, vcc_lo
	s_delay_alu instid0(VALU_DEP_1) | instid1(SALU_CYCLE_1)
	v_cndmask_b32_e64 v0, v0, 0, s10
	s_delay_alu instid0(VALU_DEP_1)
	v_or_b32_e32 v38, v0, v39
.LBB6_760:                              ;   in Loop: Header=BB6_130 Depth=2
	s_or_b32 exec_lo, exec_lo, s27
                                        ; implicit-def: $vgpr39
.LBB6_761:                              ;   in Loop: Header=BB6_130 Depth=2
	s_and_not1_saveexec_b32 s10, s26
; %bb.762:                              ;   in Loop: Header=BB6_130 Depth=2
	v_or_b32_e32 v38, 0x7b, v39
; %bb.763:                              ;   in Loop: Header=BB6_130 Depth=2
	s_or_b32 exec_lo, exec_lo, s10
                                        ; implicit-def: $vgpr0
                                        ; implicit-def: $vgpr1
.LBB6_764:                              ;   in Loop: Header=BB6_130 Depth=2
	s_and_not1_saveexec_b32 s10, s25
	s_cbranch_execz .LBB6_770
; %bb.765:                              ;   in Loop: Header=BB6_130 Depth=2
	s_mov_b32 s25, exec_lo
                                        ; implicit-def: $vgpr38
	v_cmpx_ne_u64_e32 0, v[4:5]
	s_xor_b32 s25, exec_lo, s25
; %bb.766:                              ;   in Loop: Header=BB6_130 Depth=2
	v_or_b32_e32 v38, 0x7f, v1
                                        ; implicit-def: $vgpr0
; %bb.767:                              ;   in Loop: Header=BB6_130 Depth=2
	s_and_not1_saveexec_b32 s25, s25
; %bb.768:                              ;   in Loop: Header=BB6_130 Depth=2
	v_cmp_lt_i32_e32 vcc_lo, -1, v0
	v_cndmask_b32_e32 v38, 0xfc, v108, vcc_lo
; %bb.769:                              ;   in Loop: Header=BB6_130 Depth=2
	s_or_b32 exec_lo, exec_lo, s25
.LBB6_770:                              ;   in Loop: Header=BB6_130 Depth=2
	s_delay_alu instid0(SALU_CYCLE_1) | instskip(SKIP_2) | instid1(VALU_DEP_2)
	s_or_b32 exec_lo, exec_lo, s10
	v_and_b32_e32 v1, 0xff, v32
	v_mov_b32_e32 v0, 0
	v_cmp_ne_u16_e32 vcc_lo, 0, v1
	v_mov_b32_e32 v1, 0
	s_and_saveexec_b32 s10, vcc_lo
	s_cbranch_execz .LBB6_780
; %bb.771:                              ;   in Loop: Header=BB6_130 Depth=2
	v_bfe_i32 v3, v32, 0, 8
	v_bfrev_b32_e32 v1, 1
	s_mov_b32 s25, exec_lo
	s_delay_alu instid0(VALU_DEP_2)
	v_cmpx_ne_u16_e32 0xff80, v3
	s_cbranch_execz .LBB6_779
; %bb.772:                              ;   in Loop: Header=BB6_130 Depth=2
	v_and_b32_e32 v1, 0x7c, v32
	v_and_b32_e32 v2, 3, v32
	s_delay_alu instid0(VALU_DEP_2) | instskip(SKIP_1) | instid1(SALU_CYCLE_1)
	v_cmp_ne_u32_e32 vcc_lo, 0x7c, v1
                                        ; implicit-def: $vgpr1
	s_and_saveexec_b32 s26, vcc_lo
	s_xor_b32 s26, exec_lo, s26
	s_cbranch_execz .LBB6_776
; %bb.773:                              ;   in Loop: Header=BB6_130 Depth=2
	v_bfe_u32 v1, v32, 2, 5
	s_mov_b32 s27, exec_lo
	s_delay_alu instid0(VALU_DEP_1)
	v_cmpx_eq_u32_e32 0, v1
; %bb.774:                              ;   in Loop: Header=BB6_130 Depth=2
	v_clz_i32_u32_e32 v1, v2
	s_delay_alu instid0(VALU_DEP_1) | instskip(NEXT) | instid1(VALU_DEP_1)
	v_min_u32_e32 v1, 32, v1
	v_subrev_nc_u32_e32 v2, 29, v1
	s_delay_alu instid0(VALU_DEP_1) | instskip(NEXT) | instid1(VALU_DEP_1)
	v_lshlrev_b64_e32 v[2:3], v2, v[32:33]
	v_dual_sub_nc_u32 v1, 30, v1 :: v_dual_bitop2_b32 v2, 3, v2 bitop3:0x40
; %bb.775:                              ;   in Loop: Header=BB6_130 Depth=2
	s_or_b32 exec_lo, exec_lo, s27
	v_lshlrev_b32_e32 v3, 24, v32
	s_delay_alu instid0(VALU_DEP_1) | instskip(NEXT) | instid1(VALU_DEP_1)
	v_and_b32_e32 v3, 0x80000000, v3
	v_lshl_add_u32 v1, v1, 23, v3
                                        ; implicit-def: $vgpr3
	s_delay_alu instid0(VALU_DEP_1) | instskip(NEXT) | instid1(VALU_DEP_1)
	v_lshl_or_b32 v1, v2, 21, v1
                                        ; implicit-def: $vgpr2
	v_add_nc_u32_e32 v1, 0x38000000, v1
.LBB6_776:                              ;   in Loop: Header=BB6_130 Depth=2
	s_and_not1_saveexec_b32 s26, s26
; %bb.777:                              ;   in Loop: Header=BB6_130 Depth=2
	v_cmp_lt_i16_e32 vcc_lo, -1, v3
	v_cndmask_b32_e32 v1, 0xff800000, v109, vcc_lo
	v_cmp_eq_u32_e32 vcc_lo, 0, v2
	s_delay_alu instid0(VALU_DEP_2)
	v_cndmask_b32_e32 v1, 0x7f800001, v1, vcc_lo
; %bb.778:                              ;   in Loop: Header=BB6_130 Depth=2
	s_or_b32 exec_lo, exec_lo, s26
.LBB6_779:                              ;   in Loop: Header=BB6_130 Depth=2
	s_delay_alu instid0(SALU_CYCLE_1)
	s_or_b32 exec_lo, exec_lo, s25
.LBB6_780:                              ;   in Loop: Header=BB6_130 Depth=2
	s_delay_alu instid0(SALU_CYCLE_1) | instskip(SKIP_3) | instid1(VALU_DEP_1)
	s_or_b32 exec_lo, exec_lo, s10
	s_wait_loadcnt 0x2
	v_and_b32_e32 v2, 0xff, v26
	s_mov_b32 s10, exec_lo
	v_cmpx_ne_u16_e32 0, v2
	s_cbranch_execz .LBB6_790
; %bb.781:                              ;   in Loop: Header=BB6_130 Depth=2
	v_bfe_i32 v3, v26, 0, 8
	v_bfrev_b32_e32 v0, 1
	s_mov_b32 s25, exec_lo
	s_delay_alu instid0(VALU_DEP_2)
	v_cmpx_ne_u16_e32 0xff80, v3
	s_cbranch_execz .LBB6_789
; %bb.782:                              ;   in Loop: Header=BB6_130 Depth=2
	v_and_b32_e32 v0, 0x7c, v26
	v_and_b32_e32 v2, 3, v26
	s_delay_alu instid0(VALU_DEP_2) | instskip(SKIP_1) | instid1(SALU_CYCLE_1)
	v_cmp_ne_u32_e32 vcc_lo, 0x7c, v0
                                        ; implicit-def: $vgpr0
	s_and_saveexec_b32 s26, vcc_lo
	s_xor_b32 s26, exec_lo, s26
	s_cbranch_execz .LBB6_786
; %bb.783:                              ;   in Loop: Header=BB6_130 Depth=2
	v_bfe_u32 v0, v26, 2, 5
	s_mov_b32 s27, exec_lo
	s_delay_alu instid0(VALU_DEP_1)
	v_cmpx_eq_u32_e32 0, v0
; %bb.784:                              ;   in Loop: Header=BB6_130 Depth=2
	v_clz_i32_u32_e32 v0, v2
	s_delay_alu instid0(VALU_DEP_1) | instskip(NEXT) | instid1(VALU_DEP_1)
	v_min_u32_e32 v0, 32, v0
	v_subrev_nc_u32_e32 v2, 29, v0
	s_delay_alu instid0(VALU_DEP_1) | instskip(NEXT) | instid1(VALU_DEP_1)
	v_lshlrev_b64_e32 v[2:3], v2, v[26:27]
	v_dual_sub_nc_u32 v0, 30, v0 :: v_dual_bitop2_b32 v2, 3, v2 bitop3:0x40
; %bb.785:                              ;   in Loop: Header=BB6_130 Depth=2
	s_or_b32 exec_lo, exec_lo, s27
	v_lshlrev_b32_e32 v3, 24, v26
	s_delay_alu instid0(VALU_DEP_1) | instskip(NEXT) | instid1(VALU_DEP_1)
	v_and_b32_e32 v3, 0x80000000, v3
	v_lshl_add_u32 v0, v0, 23, v3
                                        ; implicit-def: $vgpr3
	s_delay_alu instid0(VALU_DEP_1) | instskip(NEXT) | instid1(VALU_DEP_1)
	v_lshl_or_b32 v0, v2, 21, v0
                                        ; implicit-def: $vgpr2
	v_add_nc_u32_e32 v0, 0x38000000, v0
.LBB6_786:                              ;   in Loop: Header=BB6_130 Depth=2
	s_and_not1_saveexec_b32 s26, s26
; %bb.787:                              ;   in Loop: Header=BB6_130 Depth=2
	v_cmp_lt_i16_e32 vcc_lo, -1, v3
	v_cndmask_b32_e32 v0, 0xff800000, v109, vcc_lo
	v_cmp_eq_u32_e32 vcc_lo, 0, v2
	s_delay_alu instid0(VALU_DEP_2)
	v_cndmask_b32_e32 v0, 0x7f800001, v0, vcc_lo
; %bb.788:                              ;   in Loop: Header=BB6_130 Depth=2
	s_or_b32 exec_lo, exec_lo, s26
.LBB6_789:                              ;   in Loop: Header=BB6_130 Depth=2
	s_delay_alu instid0(SALU_CYCLE_1)
	s_or_b32 exec_lo, exec_lo, s25
.LBB6_790:                              ;   in Loop: Header=BB6_130 Depth=2
	s_delay_alu instid0(SALU_CYCLE_1) | instskip(NEXT) | instid1(VALU_DEP_1)
	s_or_b32 exec_lo, exec_lo, s10
	v_mul_f32_e32 v0, v1, v0
	v_mov_b32_e32 v3, v5
                                        ; implicit-def: $vgpr39
	s_mov_b32 s10, exec_lo
	s_delay_alu instid0(VALU_DEP_2) | instskip(SKIP_2) | instid1(VALU_DEP_3)
	v_and_b32_e32 v2, 0x7f800000, v0
	v_and_b32_e32 v4, 0x7fffff, v0
	v_lshrrev_b32_e32 v1, 24, v0
	v_cmpx_ne_u64_e32 0x7f800000, v[2:3]
	s_xor_b32 s25, exec_lo, s10
	s_cbranch_execz .LBB6_804
; %bb.791:                              ;   in Loop: Header=BB6_130 Depth=2
	v_and_b32_e32 v2, 0x7fffffff, v0
	v_mov_b32_e32 v3, v5
	v_and_b32_e32 v50, 0x80, v1
                                        ; implicit-def: $vgpr39
	s_mov_b32 s10, exec_lo
	s_delay_alu instid0(VALU_DEP_2)
	v_cmpx_gt_u64_e32 0x47600001, v[2:3]
	s_xor_b32 s26, exec_lo, s10
	s_cbranch_execz .LBB6_801
; %bb.792:                              ;   in Loop: Header=BB6_130 Depth=2
	v_mov_b32_e32 v39, 0
	s_mov_b32 s27, exec_lo
	v_cmpx_ne_u32_e32 0, v0
	s_cbranch_execz .LBB6_800
; %bb.793:                              ;   in Loop: Header=BB6_130 Depth=2
	v_bfe_u32 v39, v0, 23, 8
	v_or_b32_e32 v2, 0x800000, v4
	s_mov_b32 s28, exec_lo
	s_delay_alu instid0(VALU_DEP_2) | instskip(SKIP_1) | instid1(VALU_DEP_2)
	v_dual_mov_b32 v3, v5 :: v_dual_sub_nc_u32 v0, 0x71, v39
	v_cmp_gt_u32_e32 vcc_lo, 0x72, v39
	v_cndmask_b32_e32 v0, 0, v0, vcc_lo
	v_cmp_eq_u32_e32 vcc_lo, 0, v39
	s_delay_alu instid0(VALU_DEP_2) | instskip(NEXT) | instid1(VALU_DEP_1)
	v_cndmask_b32_e64 v51, v0, 0x70, vcc_lo
	v_dual_cndmask_b32 v2, v2, v4, vcc_lo :: v_dual_add_nc_u32 v0, 21, v51
	v_add_nc_u32_e32 v66, 20, v51
	s_delay_alu instid0(VALU_DEP_2) | instskip(NEXT) | instid1(VALU_DEP_2)
	v_lshlrev_b64_e64 v[0:1], v0, -1
	v_lshlrev_b64_e64 v[66:67], v66, 1
	s_delay_alu instid0(VALU_DEP_2) | instskip(NEXT) | instid1(VALU_DEP_3)
	v_bfi_b32 v69, v1, 0, 0
	v_bfi_b32 v68, v0, 0, v2
	v_lshrrev_b64 v[0:1], v51, v[2:3]
	s_delay_alu instid0(VALU_DEP_1) | instskip(NEXT) | instid1(VALU_DEP_3)
	v_mov_b64_e32 v[2:3], v[0:1]
	v_cmpx_eq_u64_e64 v[68:69], v[66:67]
; %bb.794:                              ;   in Loop: Header=BB6_130 Depth=2
	v_bfe_u32 v2, v0, 21, 1
	v_mov_b32_e32 v3, v5
	s_delay_alu instid0(VALU_DEP_1) | instskip(NEXT) | instid1(VALU_DEP_1)
	v_add_nc_u64_e32 v[2:3], v[0:1], v[2:3]
	v_add_nc_u64_e32 v[2:3], -1, v[2:3]
; %bb.795:                              ;   in Loop: Header=BB6_130 Depth=2
	s_or_b32 exec_lo, exec_lo, s28
	v_add_nc_u32_e32 v1, 0xffffff81, v39
	v_lshrrev_b32_e32 v3, 23, v0
	s_mov_b32 s10, exec_lo
	s_delay_alu instid0(VALU_DEP_2) | instskip(NEXT) | instid1(VALU_DEP_1)
	v_cndmask_b32_e64 v1, v1, 0xffffff82, vcc_lo
	v_add3_u32 v3, v51, v1, v3
	v_and_b32_e32 v1, 0x1fffff, v2
                                        ; implicit-def: $vgpr2
	s_delay_alu instid0(VALU_DEP_1) | instskip(NEXT) | instid1(VALU_DEP_1)
	v_dual_add_nc_u32 v39, 14, v3 :: v_dual_add_nc_u32 v4, v1, v0
                                        ; implicit-def: $vgpr0_vgpr1
	v_cmpx_ne_u32_e32 0, v39
	s_xor_b32 s10, exec_lo, s10
; %bb.796:                              ;   in Loop: Header=BB6_130 Depth=2
	s_delay_alu instid0(VALU_DEP_2) | instskip(SKIP_1) | instid1(VALU_DEP_1)
	v_cmp_lt_u64_e32 vcc_lo, 0xffffff, v[4:5]
	v_add_nc_u32_e32 v0, 15, v3
	v_cndmask_b32_e32 v2, v39, v0, vcc_lo
	v_cndmask_b32_e64 v0, 0, 1, vcc_lo
	s_delay_alu instid0(VALU_DEP_1)
	v_lshrrev_b64 v[0:1], v0, v[4:5]
; %bb.797:                              ;   in Loop: Header=BB6_130 Depth=2
	s_and_not1_saveexec_b32 s10, s10
; %bb.798:                              ;   in Loop: Header=BB6_130 Depth=2
	v_mov_b64_e32 v[0:1], v[4:5]
	v_bfe_u32 v2, v4, 23, 1
; %bb.799:                              ;   in Loop: Header=BB6_130 Depth=2
	s_or_b32 exec_lo, exec_lo, s10
	s_delay_alu instid0(VALU_DEP_2) | instskip(NEXT) | instid1(VALU_DEP_2)
	v_lshrrev_b64 v[0:1], 21, v[0:1]
	v_cmp_gt_i32_e32 vcc_lo, 32, v2
	v_min_i32_e32 v3, 31, v2
	v_cmp_eq_u32_e64 s10, 0, v2
	s_delay_alu instid0(VALU_DEP_2) | instskip(SKIP_1) | instid1(VALU_DEP_2)
	v_dual_cndmask_b32 v1, 0, v1, vcc_lo :: v_dual_lshlrev_b32 v3, 2, v3
	v_cndmask_b32_e32 v0, 3, v0, vcc_lo
	v_and_b32_e32 v3, 0xfc, v3
	s_delay_alu instid0(VALU_DEP_2) | instskip(NEXT) | instid1(VALU_DEP_2)
	v_cmp_eq_u64_e32 vcc_lo, 0, v[0:1]
	v_and_or_b32 v0, v0, 3, v3
	s_and_b32 s10, s10, vcc_lo
	s_delay_alu instid0(VALU_DEP_1) | instid1(SALU_CYCLE_1)
	v_cndmask_b32_e64 v0, v0, 0, s10
	s_delay_alu instid0(VALU_DEP_1)
	v_or_b32_e32 v39, v0, v50
.LBB6_800:                              ;   in Loop: Header=BB6_130 Depth=2
	s_or_b32 exec_lo, exec_lo, s27
                                        ; implicit-def: $vgpr50
.LBB6_801:                              ;   in Loop: Header=BB6_130 Depth=2
	s_and_not1_saveexec_b32 s10, s26
; %bb.802:                              ;   in Loop: Header=BB6_130 Depth=2
	v_or_b32_e32 v39, 0x7b, v50
; %bb.803:                              ;   in Loop: Header=BB6_130 Depth=2
	s_or_b32 exec_lo, exec_lo, s10
                                        ; implicit-def: $vgpr0
                                        ; implicit-def: $vgpr1
.LBB6_804:                              ;   in Loop: Header=BB6_130 Depth=2
	s_and_not1_saveexec_b32 s10, s25
	s_cbranch_execz .LBB6_810
; %bb.805:                              ;   in Loop: Header=BB6_130 Depth=2
	s_mov_b32 s25, exec_lo
                                        ; implicit-def: $vgpr39
	v_cmpx_ne_u64_e32 0, v[4:5]
	s_xor_b32 s25, exec_lo, s25
; %bb.806:                              ;   in Loop: Header=BB6_130 Depth=2
	v_or_b32_e32 v39, 0x7f, v1
                                        ; implicit-def: $vgpr0
; %bb.807:                              ;   in Loop: Header=BB6_130 Depth=2
	s_and_not1_saveexec_b32 s25, s25
; %bb.808:                              ;   in Loop: Header=BB6_130 Depth=2
	v_cmp_lt_i32_e32 vcc_lo, -1, v0
	v_cndmask_b32_e32 v39, 0xfc, v108, vcc_lo
; %bb.809:                              ;   in Loop: Header=BB6_130 Depth=2
	s_or_b32 exec_lo, exec_lo, s25
.LBB6_810:                              ;   in Loop: Header=BB6_130 Depth=2
	s_delay_alu instid0(SALU_CYCLE_1) | instskip(SKIP_3) | instid1(VALU_DEP_2)
	s_or_b32 exec_lo, exec_lo, s10
	v_lshrrev_b16 v0, 8, v32
	v_dual_mov_b32 v2, 0 :: v_dual_mov_b32 v3, 0
	s_mov_b32 s10, exec_lo
	v_cmpx_ne_u16_e32 0, v0
	s_cbranch_execz .LBB6_820
; %bb.811:                              ;   in Loop: Header=BB6_130 Depth=2
	v_bfrev_b32_e32 v3, 1
	s_mov_b32 s25, exec_lo
	v_cmpx_ne_u16_e32 0x80, v0
	s_cbranch_execz .LBB6_819
; %bb.812:                              ;   in Loop: Header=BB6_130 Depth=2
	v_and_b32_e32 v4, 0xffff, v0
	s_delay_alu instid0(VALU_DEP_1) | instskip(SKIP_1) | instid1(VALU_DEP_2)
	v_and_b32_e32 v3, 0x7c, v4
	v_and_b32_e32 v1, 3, v4
	v_cmp_ne_u32_e32 vcc_lo, 0x7c, v3
                                        ; implicit-def: $vgpr3
	s_and_saveexec_b32 s26, vcc_lo
	s_delay_alu instid0(SALU_CYCLE_1)
	s_xor_b32 s26, exec_lo, s26
	s_cbranch_execz .LBB6_816
; %bb.813:                              ;   in Loop: Header=BB6_130 Depth=2
	v_bfe_u32 v3, v4, 2, 5
	s_mov_b32 s27, exec_lo
	s_delay_alu instid0(VALU_DEP_1)
	v_cmpx_eq_u32_e32 0, v3
	s_cbranch_execz .LBB6_815
; %bb.814:                              ;   in Loop: Header=BB6_130 Depth=2
	v_clz_i32_u32_e32 v1, v1
	s_delay_alu instid0(VALU_DEP_1) | instskip(SKIP_1) | instid1(VALU_DEP_2)
	v_min_u32_e32 v3, 32, v1
	v_mov_b32_e32 v1, v5
	v_subrev_nc_u32_e32 v4, 29, v3
	v_sub_nc_u32_e32 v3, 30, v3
	s_delay_alu instid0(VALU_DEP_2) | instskip(NEXT) | instid1(VALU_DEP_1)
	v_lshlrev_b64_e32 v[0:1], v4, v[0:1]
	v_and_b32_e32 v1, 3, v0
.LBB6_815:                              ;   in Loop: Header=BB6_130 Depth=2
	s_or_b32 exec_lo, exec_lo, s27
	v_lshlrev_b32_e32 v0, 16, v32
	s_delay_alu instid0(VALU_DEP_1) | instskip(NEXT) | instid1(VALU_DEP_1)
	v_and_b32_e32 v0, 0x80000000, v0
	v_lshl_add_u32 v0, v3, 23, v0
	s_delay_alu instid0(VALU_DEP_1) | instskip(NEXT) | instid1(VALU_DEP_1)
	v_lshl_or_b32 v0, v1, 21, v0
                                        ; implicit-def: $vgpr1
	v_add_nc_u32_e32 v3, 0x38000000, v0
.LBB6_816:                              ;   in Loop: Header=BB6_130 Depth=2
	s_and_not1_saveexec_b32 s26, s26
; %bb.817:                              ;   in Loop: Header=BB6_130 Depth=2
	v_cmp_lt_i16_e32 vcc_lo, -1, v32
	v_cndmask_b32_e32 v0, 0xff800000, v109, vcc_lo
	v_cmp_eq_u32_e32 vcc_lo, 0, v1
	s_delay_alu instid0(VALU_DEP_2)
	v_cndmask_b32_e32 v3, 0x7f800001, v0, vcc_lo
; %bb.818:                              ;   in Loop: Header=BB6_130 Depth=2
	s_or_b32 exec_lo, exec_lo, s26
.LBB6_819:                              ;   in Loop: Header=BB6_130 Depth=2
	s_delay_alu instid0(SALU_CYCLE_1)
	s_or_b32 exec_lo, exec_lo, s25
.LBB6_820:                              ;   in Loop: Header=BB6_130 Depth=2
	s_delay_alu instid0(SALU_CYCLE_1) | instskip(SKIP_2) | instid1(VALU_DEP_1)
	s_or_b32 exec_lo, exec_lo, s10
	v_lshrrev_b16 v0, 8, v26
	s_mov_b32 s10, exec_lo
	v_cmpx_ne_u16_e32 0, v0
	s_cbranch_execz .LBB6_830
; %bb.821:                              ;   in Loop: Header=BB6_130 Depth=2
	v_bfrev_b32_e32 v2, 1
	s_mov_b32 s25, exec_lo
	v_cmpx_ne_u16_e32 0x80, v0
	s_cbranch_execz .LBB6_829
; %bb.822:                              ;   in Loop: Header=BB6_130 Depth=2
	v_and_b32_e32 v4, 0xffff, v0
	s_delay_alu instid0(VALU_DEP_1) | instskip(SKIP_1) | instid1(VALU_DEP_2)
	v_and_b32_e32 v2, 0x7c, v4
	v_and_b32_e32 v1, 3, v4
	v_cmp_ne_u32_e32 vcc_lo, 0x7c, v2
                                        ; implicit-def: $vgpr2
	s_and_saveexec_b32 s26, vcc_lo
	s_delay_alu instid0(SALU_CYCLE_1)
	s_xor_b32 s26, exec_lo, s26
	s_cbranch_execz .LBB6_826
; %bb.823:                              ;   in Loop: Header=BB6_130 Depth=2
	v_bfe_u32 v2, v4, 2, 5
	s_mov_b32 s27, exec_lo
	s_delay_alu instid0(VALU_DEP_1)
	v_cmpx_eq_u32_e32 0, v2
	s_cbranch_execz .LBB6_825
; %bb.824:                              ;   in Loop: Header=BB6_130 Depth=2
	v_clz_i32_u32_e32 v1, v1
	s_delay_alu instid0(VALU_DEP_1) | instskip(SKIP_1) | instid1(VALU_DEP_2)
	v_min_u32_e32 v2, 32, v1
	v_mov_b32_e32 v1, v5
	v_subrev_nc_u32_e32 v4, 29, v2
	v_sub_nc_u32_e32 v2, 30, v2
	s_delay_alu instid0(VALU_DEP_2) | instskip(NEXT) | instid1(VALU_DEP_1)
	v_lshlrev_b64_e32 v[0:1], v4, v[0:1]
	v_and_b32_e32 v1, 3, v0
.LBB6_825:                              ;   in Loop: Header=BB6_130 Depth=2
	s_or_b32 exec_lo, exec_lo, s27
	v_lshlrev_b32_e32 v0, 16, v26
	s_delay_alu instid0(VALU_DEP_1) | instskip(NEXT) | instid1(VALU_DEP_1)
	v_and_b32_e32 v0, 0x80000000, v0
	v_lshl_add_u32 v0, v2, 23, v0
	s_delay_alu instid0(VALU_DEP_1) | instskip(NEXT) | instid1(VALU_DEP_1)
	v_lshl_or_b32 v0, v1, 21, v0
                                        ; implicit-def: $vgpr1
	v_add_nc_u32_e32 v2, 0x38000000, v0
.LBB6_826:                              ;   in Loop: Header=BB6_130 Depth=2
	s_and_not1_saveexec_b32 s26, s26
; %bb.827:                              ;   in Loop: Header=BB6_130 Depth=2
	v_cmp_lt_i16_e32 vcc_lo, -1, v26
	v_cndmask_b32_e32 v0, 0xff800000, v109, vcc_lo
	v_cmp_eq_u32_e32 vcc_lo, 0, v1
	s_delay_alu instid0(VALU_DEP_2)
	v_cndmask_b32_e32 v2, 0x7f800001, v0, vcc_lo
; %bb.828:                              ;   in Loop: Header=BB6_130 Depth=2
	s_or_b32 exec_lo, exec_lo, s26
.LBB6_829:                              ;   in Loop: Header=BB6_130 Depth=2
	s_delay_alu instid0(SALU_CYCLE_1)
	s_or_b32 exec_lo, exec_lo, s25
.LBB6_830:                              ;   in Loop: Header=BB6_130 Depth=2
	s_delay_alu instid0(SALU_CYCLE_1) | instskip(NEXT) | instid1(VALU_DEP_1)
	s_or_b32 exec_lo, exec_lo, s10
	v_dual_mul_f32 v0, v3, v2 :: v_dual_mov_b32 v3, v5
                                        ; implicit-def: $vgpr50
	s_mov_b32 s10, exec_lo
	s_delay_alu instid0(VALU_DEP_1) | instskip(SKIP_2) | instid1(VALU_DEP_3)
	v_and_b32_e32 v2, 0x7f800000, v0
	v_and_b32_e32 v4, 0x7fffff, v0
	v_lshrrev_b32_e32 v1, 24, v0
	v_cmpx_ne_u64_e32 0x7f800000, v[2:3]
	s_xor_b32 s25, exec_lo, s10
	s_cbranch_execz .LBB6_844
; %bb.831:                              ;   in Loop: Header=BB6_130 Depth=2
	v_and_b32_e32 v2, 0x7fffffff, v0
	v_mov_b32_e32 v3, v5
	v_and_b32_e32 v51, 0x80, v1
                                        ; implicit-def: $vgpr50
	s_mov_b32 s10, exec_lo
	s_delay_alu instid0(VALU_DEP_2)
	v_cmpx_gt_u64_e32 0x47600001, v[2:3]
	s_xor_b32 s26, exec_lo, s10
	s_cbranch_execz .LBB6_841
; %bb.832:                              ;   in Loop: Header=BB6_130 Depth=2
	v_mov_b32_e32 v50, 0
	s_mov_b32 s27, exec_lo
	v_cmpx_ne_u32_e32 0, v0
	s_cbranch_execz .LBB6_840
; %bb.833:                              ;   in Loop: Header=BB6_130 Depth=2
	v_bfe_u32 v50, v0, 23, 8
	v_or_b32_e32 v2, 0x800000, v4
	s_mov_b32 s28, exec_lo
	s_delay_alu instid0(VALU_DEP_2) | instskip(SKIP_1) | instid1(VALU_DEP_2)
	v_dual_mov_b32 v3, v5 :: v_dual_sub_nc_u32 v0, 0x71, v50
	v_cmp_gt_u32_e32 vcc_lo, 0x72, v50
	v_cndmask_b32_e32 v0, 0, v0, vcc_lo
	v_cmp_eq_u32_e32 vcc_lo, 0, v50
	s_delay_alu instid0(VALU_DEP_2) | instskip(NEXT) | instid1(VALU_DEP_1)
	v_cndmask_b32_e64 v66, v0, 0x70, vcc_lo
	v_dual_cndmask_b32 v2, v2, v4, vcc_lo :: v_dual_add_nc_u32 v0, 21, v66
	v_add_nc_u32_e32 v67, 20, v66
	s_delay_alu instid0(VALU_DEP_2) | instskip(NEXT) | instid1(VALU_DEP_2)
	v_lshlrev_b64_e64 v[0:1], v0, -1
	v_lshlrev_b64_e64 v[68:69], v67, 1
	s_delay_alu instid0(VALU_DEP_2) | instskip(NEXT) | instid1(VALU_DEP_3)
	v_bfi_b32 v71, v1, 0, 0
	v_bfi_b32 v70, v0, 0, v2
	v_lshrrev_b64 v[0:1], v66, v[2:3]
	s_delay_alu instid0(VALU_DEP_1) | instskip(NEXT) | instid1(VALU_DEP_3)
	v_mov_b64_e32 v[2:3], v[0:1]
	v_cmpx_eq_u64_e64 v[70:71], v[68:69]
; %bb.834:                              ;   in Loop: Header=BB6_130 Depth=2
	v_bfe_u32 v2, v0, 21, 1
	v_mov_b32_e32 v3, v5
	s_delay_alu instid0(VALU_DEP_1) | instskip(NEXT) | instid1(VALU_DEP_1)
	v_add_nc_u64_e32 v[2:3], v[0:1], v[2:3]
	v_add_nc_u64_e32 v[2:3], -1, v[2:3]
; %bb.835:                              ;   in Loop: Header=BB6_130 Depth=2
	s_or_b32 exec_lo, exec_lo, s28
	v_add_nc_u32_e32 v1, 0xffffff81, v50
	v_lshrrev_b32_e32 v3, 23, v0
	s_mov_b32 s10, exec_lo
	s_delay_alu instid0(VALU_DEP_2) | instskip(NEXT) | instid1(VALU_DEP_1)
	v_cndmask_b32_e64 v1, v1, 0xffffff82, vcc_lo
	v_add3_u32 v3, v66, v1, v3
	v_and_b32_e32 v1, 0x1fffff, v2
                                        ; implicit-def: $vgpr2
	s_delay_alu instid0(VALU_DEP_1) | instskip(NEXT) | instid1(VALU_DEP_1)
	v_dual_add_nc_u32 v50, 14, v3 :: v_dual_add_nc_u32 v4, v1, v0
                                        ; implicit-def: $vgpr0_vgpr1
	v_cmpx_ne_u32_e32 0, v50
	s_xor_b32 s10, exec_lo, s10
; %bb.836:                              ;   in Loop: Header=BB6_130 Depth=2
	s_delay_alu instid0(VALU_DEP_2) | instskip(SKIP_1) | instid1(VALU_DEP_1)
	v_cmp_lt_u64_e32 vcc_lo, 0xffffff, v[4:5]
	v_add_nc_u32_e32 v0, 15, v3
	v_cndmask_b32_e32 v2, v50, v0, vcc_lo
	v_cndmask_b32_e64 v0, 0, 1, vcc_lo
	s_delay_alu instid0(VALU_DEP_1)
	v_lshrrev_b64 v[0:1], v0, v[4:5]
; %bb.837:                              ;   in Loop: Header=BB6_130 Depth=2
	s_and_not1_saveexec_b32 s10, s10
; %bb.838:                              ;   in Loop: Header=BB6_130 Depth=2
	v_mov_b64_e32 v[0:1], v[4:5]
	v_bfe_u32 v2, v4, 23, 1
; %bb.839:                              ;   in Loop: Header=BB6_130 Depth=2
	s_or_b32 exec_lo, exec_lo, s10
	s_delay_alu instid0(VALU_DEP_2) | instskip(NEXT) | instid1(VALU_DEP_2)
	v_lshrrev_b64 v[0:1], 21, v[0:1]
	v_cmp_gt_i32_e32 vcc_lo, 32, v2
	v_min_i32_e32 v3, 31, v2
	v_cmp_eq_u32_e64 s10, 0, v2
	s_delay_alu instid0(VALU_DEP_2) | instskip(SKIP_1) | instid1(VALU_DEP_2)
	v_dual_cndmask_b32 v1, 0, v1, vcc_lo :: v_dual_lshlrev_b32 v3, 2, v3
	v_cndmask_b32_e32 v0, 3, v0, vcc_lo
	v_and_b32_e32 v3, 0xfc, v3
	s_delay_alu instid0(VALU_DEP_2) | instskip(NEXT) | instid1(VALU_DEP_2)
	v_cmp_eq_u64_e32 vcc_lo, 0, v[0:1]
	v_and_or_b32 v0, v0, 3, v3
	s_and_b32 s10, s10, vcc_lo
	s_delay_alu instid0(VALU_DEP_1) | instid1(SALU_CYCLE_1)
	v_cndmask_b32_e64 v0, v0, 0, s10
	s_delay_alu instid0(VALU_DEP_1)
	v_or_b32_e32 v50, v0, v51
.LBB6_840:                              ;   in Loop: Header=BB6_130 Depth=2
	s_or_b32 exec_lo, exec_lo, s27
                                        ; implicit-def: $vgpr51
.LBB6_841:                              ;   in Loop: Header=BB6_130 Depth=2
	s_and_not1_saveexec_b32 s10, s26
; %bb.842:                              ;   in Loop: Header=BB6_130 Depth=2
	v_or_b32_e32 v50, 0x7b, v51
; %bb.843:                              ;   in Loop: Header=BB6_130 Depth=2
	s_or_b32 exec_lo, exec_lo, s10
                                        ; implicit-def: $vgpr0
                                        ; implicit-def: $vgpr1
.LBB6_844:                              ;   in Loop: Header=BB6_130 Depth=2
	s_and_not1_saveexec_b32 s10, s25
	s_cbranch_execz .LBB6_850
; %bb.845:                              ;   in Loop: Header=BB6_130 Depth=2
	s_mov_b32 s25, exec_lo
                                        ; implicit-def: $vgpr50
	v_cmpx_ne_u64_e32 0, v[4:5]
	s_xor_b32 s25, exec_lo, s25
; %bb.846:                              ;   in Loop: Header=BB6_130 Depth=2
	v_or_b32_e32 v50, 0x7f, v1
                                        ; implicit-def: $vgpr0
; %bb.847:                              ;   in Loop: Header=BB6_130 Depth=2
	s_and_not1_saveexec_b32 s25, s25
; %bb.848:                              ;   in Loop: Header=BB6_130 Depth=2
	v_cmp_lt_i32_e32 vcc_lo, -1, v0
	v_cndmask_b32_e32 v50, 0xfc, v108, vcc_lo
; %bb.849:                              ;   in Loop: Header=BB6_130 Depth=2
	s_or_b32 exec_lo, exec_lo, s25
.LBB6_850:                              ;   in Loop: Header=BB6_130 Depth=2
	s_delay_alu instid0(SALU_CYCLE_1) | instskip(SKIP_3) | instid1(VALU_DEP_2)
	s_or_b32 exec_lo, exec_lo, s10
	v_dual_mov_b32 v1, 0 :: v_dual_lshrrev_b32 v0, 16, v32
	v_mov_b32_e32 v2, 0
	s_mov_b32 s10, exec_lo
	v_and_b32_e32 v3, 0xff, v0
	s_delay_alu instid0(VALU_DEP_1)
	v_cmpx_ne_u16_e32 0, v3
	s_cbranch_execz .LBB6_860
; %bb.851:                              ;   in Loop: Header=BB6_130 Depth=2
	v_bfrev_b32_e32 v2, 1
	s_mov_b32 s25, exec_lo
	v_cmpx_ne_u16_e32 0x80, v3
	s_cbranch_execz .LBB6_859
; %bb.852:                              ;   in Loop: Header=BB6_130 Depth=2
	v_and_b32_e32 v2, 0x7c0000, v32
	v_bfe_u32 v3, v32, 16, 2
	s_delay_alu instid0(VALU_DEP_2) | instskip(SKIP_1) | instid1(SALU_CYCLE_1)
	v_cmp_ne_u32_e32 vcc_lo, 0x7c0000, v2
                                        ; implicit-def: $vgpr2
	s_and_saveexec_b32 s26, vcc_lo
	s_xor_b32 s26, exec_lo, s26
	s_cbranch_execz .LBB6_856
; %bb.853:                              ;   in Loop: Header=BB6_130 Depth=2
	v_bfe_u32 v2, v32, 18, 5
	s_mov_b32 s27, exec_lo
	s_delay_alu instid0(VALU_DEP_1)
	v_cmpx_eq_u32_e32 0, v2
; %bb.854:                              ;   in Loop: Header=BB6_130 Depth=2
	v_clz_i32_u32_e32 v2, v3
	s_delay_alu instid0(VALU_DEP_1) | instskip(NEXT) | instid1(VALU_DEP_1)
	v_min_u32_e32 v2, 32, v2
	v_subrev_nc_u32_e32 v3, 29, v2
	v_sub_nc_u32_e32 v2, 30, v2
	s_delay_alu instid0(VALU_DEP_2) | instskip(NEXT) | instid1(VALU_DEP_1)
	v_lshlrev_b64_e32 v[66:67], v3, v[0:1]
	v_and_b32_e32 v3, 3, v66
; %bb.855:                              ;   in Loop: Header=BB6_130 Depth=2
	s_or_b32 exec_lo, exec_lo, s27
	v_lshlrev_b32_e32 v0, 24, v0
	s_delay_alu instid0(VALU_DEP_1) | instskip(NEXT) | instid1(VALU_DEP_1)
	v_and_b32_e32 v0, 0x80000000, v0
	v_lshl_add_u32 v0, v2, 23, v0
	s_delay_alu instid0(VALU_DEP_1) | instskip(NEXT) | instid1(VALU_DEP_1)
	v_lshl_or_b32 v0, v3, 21, v0
                                        ; implicit-def: $vgpr3
	v_add_nc_u32_e32 v2, 0x38000000, v0
                                        ; implicit-def: $vgpr0
.LBB6_856:                              ;   in Loop: Header=BB6_130 Depth=2
	s_and_not1_saveexec_b32 s26, s26
; %bb.857:                              ;   in Loop: Header=BB6_130 Depth=2
	v_bfe_i32 v0, v0, 0, 8
	s_delay_alu instid0(VALU_DEP_1) | instskip(SKIP_2) | instid1(VALU_DEP_2)
	v_cmp_lt_i16_e32 vcc_lo, -1, v0
	v_cndmask_b32_e32 v0, 0xff800000, v109, vcc_lo
	v_cmp_eq_u32_e32 vcc_lo, 0, v3
	v_cndmask_b32_e32 v2, 0x7f800001, v0, vcc_lo
; %bb.858:                              ;   in Loop: Header=BB6_130 Depth=2
	s_or_b32 exec_lo, exec_lo, s26
.LBB6_859:                              ;   in Loop: Header=BB6_130 Depth=2
	s_delay_alu instid0(SALU_CYCLE_1)
	s_or_b32 exec_lo, exec_lo, s25
.LBB6_860:                              ;   in Loop: Header=BB6_130 Depth=2
	s_delay_alu instid0(SALU_CYCLE_1) | instskip(SKIP_2) | instid1(VALU_DEP_1)
	s_or_b32 exec_lo, exec_lo, s10
	v_lshrrev_b32_e32 v0, 16, v26
	s_mov_b32 s10, exec_lo
	v_and_b32_e32 v3, 0xff, v0
	s_delay_alu instid0(VALU_DEP_1)
	v_cmpx_ne_u16_e32 0, v3
	s_cbranch_execz .LBB6_870
; %bb.861:                              ;   in Loop: Header=BB6_130 Depth=2
	v_bfrev_b32_e32 v1, 1
	s_mov_b32 s25, exec_lo
	v_cmpx_ne_u16_e32 0x80, v3
	s_cbranch_execz .LBB6_869
; %bb.862:                              ;   in Loop: Header=BB6_130 Depth=2
	v_and_b32_e32 v1, 0x7c0000, v26
	v_bfe_u32 v3, v26, 16, 2
	s_delay_alu instid0(VALU_DEP_2) | instskip(SKIP_1) | instid1(SALU_CYCLE_1)
	v_cmp_ne_u32_e32 vcc_lo, 0x7c0000, v1
                                        ; implicit-def: $vgpr1
	s_and_saveexec_b32 s26, vcc_lo
	s_xor_b32 s26, exec_lo, s26
	s_cbranch_execz .LBB6_866
; %bb.863:                              ;   in Loop: Header=BB6_130 Depth=2
	v_bfe_u32 v1, v26, 18, 5
	s_mov_b32 s27, exec_lo
	s_delay_alu instid0(VALU_DEP_1)
	v_cmpx_eq_u32_e32 0, v1
; %bb.864:                              ;   in Loop: Header=BB6_130 Depth=2
	v_clz_i32_u32_e32 v1, v3
	s_delay_alu instid0(VALU_DEP_1) | instskip(NEXT) | instid1(VALU_DEP_1)
	v_min_u32_e32 v1, 32, v1
	v_subrev_nc_u32_e32 v3, 29, v1
	s_delay_alu instid0(VALU_DEP_1) | instskip(NEXT) | instid1(VALU_DEP_1)
	v_lshlrev_b64_e32 v[66:67], v3, v[0:1]
	v_dual_sub_nc_u32 v1, 30, v1 :: v_dual_bitop2_b32 v3, 3, v66 bitop3:0x40
; %bb.865:                              ;   in Loop: Header=BB6_130 Depth=2
	s_or_b32 exec_lo, exec_lo, s27
	v_lshlrev_b32_e32 v0, 24, v0
	s_delay_alu instid0(VALU_DEP_1) | instskip(NEXT) | instid1(VALU_DEP_1)
	v_and_b32_e32 v0, 0x80000000, v0
	v_lshl_add_u32 v0, v1, 23, v0
	s_delay_alu instid0(VALU_DEP_1) | instskip(NEXT) | instid1(VALU_DEP_1)
	v_lshl_or_b32 v0, v3, 21, v0
                                        ; implicit-def: $vgpr3
	v_add_nc_u32_e32 v1, 0x38000000, v0
                                        ; implicit-def: $vgpr0
.LBB6_866:                              ;   in Loop: Header=BB6_130 Depth=2
	s_and_not1_saveexec_b32 s26, s26
; %bb.867:                              ;   in Loop: Header=BB6_130 Depth=2
	v_bfe_i32 v0, v0, 0, 8
	s_delay_alu instid0(VALU_DEP_1) | instskip(SKIP_2) | instid1(VALU_DEP_2)
	v_cmp_lt_i16_e32 vcc_lo, -1, v0
	v_cndmask_b32_e32 v0, 0xff800000, v109, vcc_lo
	v_cmp_eq_u32_e32 vcc_lo, 0, v3
	v_cndmask_b32_e32 v1, 0x7f800001, v0, vcc_lo
; %bb.868:                              ;   in Loop: Header=BB6_130 Depth=2
	s_or_b32 exec_lo, exec_lo, s26
.LBB6_869:                              ;   in Loop: Header=BB6_130 Depth=2
	s_delay_alu instid0(SALU_CYCLE_1)
	s_or_b32 exec_lo, exec_lo, s25
.LBB6_870:                              ;   in Loop: Header=BB6_130 Depth=2
	s_delay_alu instid0(SALU_CYCLE_1) | instskip(NEXT) | instid1(VALU_DEP_1)
	s_or_b32 exec_lo, exec_lo, s10
	v_dual_mul_f32 v0, v2, v1 :: v_dual_mov_b32 v3, v5
                                        ; implicit-def: $vgpr51
	s_mov_b32 s10, exec_lo
	s_delay_alu instid0(VALU_DEP_1) | instskip(SKIP_2) | instid1(VALU_DEP_3)
	v_and_b32_e32 v2, 0x7f800000, v0
	v_and_b32_e32 v4, 0x7fffff, v0
	v_lshrrev_b32_e32 v1, 24, v0
	v_cmpx_ne_u64_e32 0x7f800000, v[2:3]
	s_xor_b32 s25, exec_lo, s10
	s_cbranch_execz .LBB6_884
; %bb.871:                              ;   in Loop: Header=BB6_130 Depth=2
	v_and_b32_e32 v2, 0x7fffffff, v0
	v_mov_b32_e32 v3, v5
	v_and_b32_e32 v66, 0x80, v1
                                        ; implicit-def: $vgpr51
	s_mov_b32 s10, exec_lo
	s_delay_alu instid0(VALU_DEP_2)
	v_cmpx_gt_u64_e32 0x47600001, v[2:3]
	s_xor_b32 s26, exec_lo, s10
	s_cbranch_execz .LBB6_881
; %bb.872:                              ;   in Loop: Header=BB6_130 Depth=2
	v_mov_b32_e32 v51, 0
	s_mov_b32 s27, exec_lo
	v_cmpx_ne_u32_e32 0, v0
	s_cbranch_execz .LBB6_880
; %bb.873:                              ;   in Loop: Header=BB6_130 Depth=2
	v_bfe_u32 v51, v0, 23, 8
	v_or_b32_e32 v2, 0x800000, v4
	s_mov_b32 s28, exec_lo
	s_delay_alu instid0(VALU_DEP_2) | instskip(SKIP_1) | instid1(VALU_DEP_2)
	v_dual_mov_b32 v3, v5 :: v_dual_sub_nc_u32 v0, 0x71, v51
	v_cmp_gt_u32_e32 vcc_lo, 0x72, v51
	v_cndmask_b32_e32 v0, 0, v0, vcc_lo
	v_cmp_eq_u32_e32 vcc_lo, 0, v51
	s_delay_alu instid0(VALU_DEP_2) | instskip(NEXT) | instid1(VALU_DEP_1)
	v_cndmask_b32_e64 v67, v0, 0x70, vcc_lo
	v_dual_cndmask_b32 v2, v2, v4, vcc_lo :: v_dual_add_nc_u32 v0, 21, v67
	v_add_nc_u32_e32 v68, 20, v67
	s_delay_alu instid0(VALU_DEP_2) | instskip(NEXT) | instid1(VALU_DEP_2)
	v_lshlrev_b64_e64 v[0:1], v0, -1
	v_lshlrev_b64_e64 v[68:69], v68, 1
	s_delay_alu instid0(VALU_DEP_2) | instskip(NEXT) | instid1(VALU_DEP_3)
	v_bfi_b32 v71, v1, 0, 0
	v_bfi_b32 v70, v0, 0, v2
	v_lshrrev_b64 v[0:1], v67, v[2:3]
	s_delay_alu instid0(VALU_DEP_1) | instskip(NEXT) | instid1(VALU_DEP_3)
	v_mov_b64_e32 v[2:3], v[0:1]
	v_cmpx_eq_u64_e64 v[70:71], v[68:69]
; %bb.874:                              ;   in Loop: Header=BB6_130 Depth=2
	v_bfe_u32 v2, v0, 21, 1
	v_mov_b32_e32 v3, v5
	s_delay_alu instid0(VALU_DEP_1) | instskip(NEXT) | instid1(VALU_DEP_1)
	v_add_nc_u64_e32 v[2:3], v[0:1], v[2:3]
	v_add_nc_u64_e32 v[2:3], -1, v[2:3]
; %bb.875:                              ;   in Loop: Header=BB6_130 Depth=2
	s_or_b32 exec_lo, exec_lo, s28
	v_add_nc_u32_e32 v1, 0xffffff81, v51
	v_lshrrev_b32_e32 v3, 23, v0
	s_mov_b32 s10, exec_lo
	s_delay_alu instid0(VALU_DEP_2) | instskip(NEXT) | instid1(VALU_DEP_1)
	v_cndmask_b32_e64 v1, v1, 0xffffff82, vcc_lo
	v_add3_u32 v3, v67, v1, v3
	v_and_b32_e32 v1, 0x1fffff, v2
                                        ; implicit-def: $vgpr2
	s_delay_alu instid0(VALU_DEP_1) | instskip(NEXT) | instid1(VALU_DEP_1)
	v_dual_add_nc_u32 v51, 14, v3 :: v_dual_add_nc_u32 v4, v1, v0
                                        ; implicit-def: $vgpr0_vgpr1
	v_cmpx_ne_u32_e32 0, v51
	s_xor_b32 s10, exec_lo, s10
; %bb.876:                              ;   in Loop: Header=BB6_130 Depth=2
	s_delay_alu instid0(VALU_DEP_2) | instskip(SKIP_1) | instid1(VALU_DEP_1)
	v_cmp_lt_u64_e32 vcc_lo, 0xffffff, v[4:5]
	v_add_nc_u32_e32 v0, 15, v3
	v_cndmask_b32_e32 v2, v51, v0, vcc_lo
	v_cndmask_b32_e64 v0, 0, 1, vcc_lo
	s_delay_alu instid0(VALU_DEP_1)
	v_lshrrev_b64 v[0:1], v0, v[4:5]
; %bb.877:                              ;   in Loop: Header=BB6_130 Depth=2
	s_and_not1_saveexec_b32 s10, s10
; %bb.878:                              ;   in Loop: Header=BB6_130 Depth=2
	v_mov_b64_e32 v[0:1], v[4:5]
	v_bfe_u32 v2, v4, 23, 1
; %bb.879:                              ;   in Loop: Header=BB6_130 Depth=2
	s_or_b32 exec_lo, exec_lo, s10
	s_delay_alu instid0(VALU_DEP_2) | instskip(NEXT) | instid1(VALU_DEP_2)
	v_lshrrev_b64 v[0:1], 21, v[0:1]
	v_cmp_gt_i32_e32 vcc_lo, 32, v2
	v_min_i32_e32 v3, 31, v2
	v_cmp_eq_u32_e64 s10, 0, v2
	s_delay_alu instid0(VALU_DEP_2) | instskip(SKIP_1) | instid1(VALU_DEP_2)
	v_dual_cndmask_b32 v1, 0, v1, vcc_lo :: v_dual_lshlrev_b32 v3, 2, v3
	v_cndmask_b32_e32 v0, 3, v0, vcc_lo
	v_and_b32_e32 v3, 0xfc, v3
	s_delay_alu instid0(VALU_DEP_2) | instskip(NEXT) | instid1(VALU_DEP_2)
	v_cmp_eq_u64_e32 vcc_lo, 0, v[0:1]
	v_and_or_b32 v0, v0, 3, v3
	s_and_b32 s10, s10, vcc_lo
	s_delay_alu instid0(VALU_DEP_1) | instid1(SALU_CYCLE_1)
	v_cndmask_b32_e64 v0, v0, 0, s10
	s_delay_alu instid0(VALU_DEP_1)
	v_or_b32_e32 v51, v0, v66
.LBB6_880:                              ;   in Loop: Header=BB6_130 Depth=2
	s_or_b32 exec_lo, exec_lo, s27
                                        ; implicit-def: $vgpr66
.LBB6_881:                              ;   in Loop: Header=BB6_130 Depth=2
	s_and_not1_saveexec_b32 s10, s26
; %bb.882:                              ;   in Loop: Header=BB6_130 Depth=2
	v_or_b32_e32 v51, 0x7b, v66
; %bb.883:                              ;   in Loop: Header=BB6_130 Depth=2
	s_or_b32 exec_lo, exec_lo, s10
                                        ; implicit-def: $vgpr0
                                        ; implicit-def: $vgpr1
.LBB6_884:                              ;   in Loop: Header=BB6_130 Depth=2
	s_and_not1_saveexec_b32 s10, s25
	s_cbranch_execz .LBB6_890
; %bb.885:                              ;   in Loop: Header=BB6_130 Depth=2
	s_mov_b32 s25, exec_lo
                                        ; implicit-def: $vgpr51
	v_cmpx_ne_u64_e32 0, v[4:5]
	s_xor_b32 s25, exec_lo, s25
; %bb.886:                              ;   in Loop: Header=BB6_130 Depth=2
	v_or_b32_e32 v51, 0x7f, v1
                                        ; implicit-def: $vgpr0
; %bb.887:                              ;   in Loop: Header=BB6_130 Depth=2
	s_and_not1_saveexec_b32 s25, s25
; %bb.888:                              ;   in Loop: Header=BB6_130 Depth=2
	v_cmp_lt_i32_e32 vcc_lo, -1, v0
	v_cndmask_b32_e32 v51, 0xfc, v108, vcc_lo
; %bb.889:                              ;   in Loop: Header=BB6_130 Depth=2
	s_or_b32 exec_lo, exec_lo, s25
.LBB6_890:                              ;   in Loop: Header=BB6_130 Depth=2
	s_delay_alu instid0(SALU_CYCLE_1)
	s_or_b32 exec_lo, exec_lo, s10
	v_dual_mov_b32 v1, 0 :: v_dual_mov_b32 v2, 0
	s_mov_b32 s10, exec_lo
	v_cmpx_lt_u32_e32 0xffffff, v32
	s_cbranch_execz .LBB6_900
; %bb.891:                              ;   in Loop: Header=BB6_130 Depth=2
	v_lshrrev_b32_e32 v0, 24, v32
	v_bfrev_b32_e32 v2, 1
	s_mov_b32 s25, exec_lo
	s_delay_alu instid0(VALU_DEP_2)
	v_cmpx_ne_u32_e32 0x80, v0
	s_cbranch_execz .LBB6_899
; %bb.892:                              ;   in Loop: Header=BB6_130 Depth=2
	v_and_b32_e32 v2, 0x7c000000, v32
	v_bfe_u32 v3, v32, 24, 2
	s_delay_alu instid0(VALU_DEP_2) | instskip(SKIP_1) | instid1(SALU_CYCLE_1)
	v_cmp_ne_u32_e32 vcc_lo, 0x7c000000, v2
                                        ; implicit-def: $vgpr2
	s_and_saveexec_b32 s26, vcc_lo
	s_xor_b32 s26, exec_lo, s26
	s_cbranch_execz .LBB6_896
; %bb.893:                              ;   in Loop: Header=BB6_130 Depth=2
	v_bfe_u32 v2, v32, 26, 5
	s_mov_b32 s27, exec_lo
	s_delay_alu instid0(VALU_DEP_1)
	v_cmpx_eq_u32_e32 0, v2
; %bb.894:                              ;   in Loop: Header=BB6_130 Depth=2
	v_clz_i32_u32_e32 v2, v3
	s_delay_alu instid0(VALU_DEP_1) | instskip(NEXT) | instid1(VALU_DEP_1)
	v_min_u32_e32 v2, 32, v2
	v_subrev_nc_u32_e32 v3, 29, v2
	v_sub_nc_u32_e32 v2, 30, v2
	s_delay_alu instid0(VALU_DEP_2) | instskip(NEXT) | instid1(VALU_DEP_1)
	v_lshlrev_b64_e32 v[66:67], v3, v[0:1]
	v_and_b32_e32 v3, 3, v66
; %bb.895:                              ;   in Loop: Header=BB6_130 Depth=2
	s_or_b32 exec_lo, exec_lo, s27
	v_and_b32_e32 v0, 0x80000000, v32
	s_delay_alu instid0(VALU_DEP_1) | instskip(NEXT) | instid1(VALU_DEP_1)
	v_lshl_add_u32 v0, v2, 23, v0
	v_lshl_or_b32 v0, v3, 21, v0
                                        ; implicit-def: $vgpr3
	s_delay_alu instid0(VALU_DEP_1)
	v_add_nc_u32_e32 v2, 0x38000000, v0
.LBB6_896:                              ;   in Loop: Header=BB6_130 Depth=2
	s_and_not1_saveexec_b32 s26, s26
; %bb.897:                              ;   in Loop: Header=BB6_130 Depth=2
	v_cmp_lt_i32_e32 vcc_lo, -1, v32
	v_cndmask_b32_e32 v0, 0xff800000, v109, vcc_lo
	v_cmp_eq_u32_e32 vcc_lo, 0, v3
	s_delay_alu instid0(VALU_DEP_2)
	v_cndmask_b32_e32 v2, 0x7f800001, v0, vcc_lo
; %bb.898:                              ;   in Loop: Header=BB6_130 Depth=2
	s_or_b32 exec_lo, exec_lo, s26
.LBB6_899:                              ;   in Loop: Header=BB6_130 Depth=2
	s_delay_alu instid0(SALU_CYCLE_1)
	s_or_b32 exec_lo, exec_lo, s25
.LBB6_900:                              ;   in Loop: Header=BB6_130 Depth=2
	s_delay_alu instid0(SALU_CYCLE_1) | instskip(NEXT) | instid1(SALU_CYCLE_1)
	s_or_b32 exec_lo, exec_lo, s10
	s_mov_b32 s10, exec_lo
	v_cmpx_lt_u32_e32 0xffffff, v26
	s_cbranch_execz .LBB6_910
; %bb.901:                              ;   in Loop: Header=BB6_130 Depth=2
	v_lshrrev_b32_e32 v0, 24, v26
	v_bfrev_b32_e32 v1, 1
	s_mov_b32 s25, exec_lo
	s_delay_alu instid0(VALU_DEP_2)
	v_cmpx_ne_u32_e32 0x80, v0
	s_cbranch_execz .LBB6_909
; %bb.902:                              ;   in Loop: Header=BB6_130 Depth=2
	v_and_b32_e32 v1, 0x7c000000, v26
	v_bfe_u32 v3, v26, 24, 2
	s_delay_alu instid0(VALU_DEP_2) | instskip(SKIP_1) | instid1(SALU_CYCLE_1)
	v_cmp_ne_u32_e32 vcc_lo, 0x7c000000, v1
                                        ; implicit-def: $vgpr1
	s_and_saveexec_b32 s26, vcc_lo
	s_xor_b32 s26, exec_lo, s26
	s_cbranch_execz .LBB6_906
; %bb.903:                              ;   in Loop: Header=BB6_130 Depth=2
	v_bfe_u32 v1, v26, 26, 5
	s_mov_b32 s27, exec_lo
	s_delay_alu instid0(VALU_DEP_1)
	v_cmpx_eq_u32_e32 0, v1
; %bb.904:                              ;   in Loop: Header=BB6_130 Depth=2
	v_clz_i32_u32_e32 v1, v3
	s_delay_alu instid0(VALU_DEP_1) | instskip(NEXT) | instid1(VALU_DEP_1)
	v_min_u32_e32 v3, 32, v1
	v_subrev_nc_u32_e32 v1, 29, v3
	s_delay_alu instid0(VALU_DEP_1) | instskip(NEXT) | instid1(VALU_DEP_1)
	v_lshlrev_b64_e32 v[0:1], v1, v[0:1]
	v_dual_sub_nc_u32 v1, 30, v3 :: v_dual_bitop2_b32 v3, 3, v0 bitop3:0x40
; %bb.905:                              ;   in Loop: Header=BB6_130 Depth=2
	s_or_b32 exec_lo, exec_lo, s27
	v_and_b32_e32 v0, 0x80000000, v26
	s_delay_alu instid0(VALU_DEP_1) | instskip(NEXT) | instid1(VALU_DEP_1)
	v_lshl_add_u32 v0, v1, 23, v0
	v_lshl_or_b32 v0, v3, 21, v0
                                        ; implicit-def: $vgpr3
	s_delay_alu instid0(VALU_DEP_1)
	v_add_nc_u32_e32 v1, 0x38000000, v0
.LBB6_906:                              ;   in Loop: Header=BB6_130 Depth=2
	s_and_not1_saveexec_b32 s26, s26
; %bb.907:                              ;   in Loop: Header=BB6_130 Depth=2
	v_cmp_lt_i32_e32 vcc_lo, -1, v26
	v_cndmask_b32_e32 v0, 0xff800000, v109, vcc_lo
	v_cmp_eq_u32_e32 vcc_lo, 0, v3
	s_delay_alu instid0(VALU_DEP_2)
	v_cndmask_b32_e32 v1, 0x7f800001, v0, vcc_lo
; %bb.908:                              ;   in Loop: Header=BB6_130 Depth=2
	s_or_b32 exec_lo, exec_lo, s26
.LBB6_909:                              ;   in Loop: Header=BB6_130 Depth=2
	s_delay_alu instid0(SALU_CYCLE_1)
	s_or_b32 exec_lo, exec_lo, s25
.LBB6_910:                              ;   in Loop: Header=BB6_130 Depth=2
	s_delay_alu instid0(SALU_CYCLE_1) | instskip(NEXT) | instid1(VALU_DEP_1)
	s_or_b32 exec_lo, exec_lo, s10
	v_dual_mul_f32 v0, v2, v1 :: v_dual_mov_b32 v3, v5
                                        ; implicit-def: $vgpr66
	s_mov_b32 s10, exec_lo
	s_delay_alu instid0(VALU_DEP_1) | instskip(SKIP_2) | instid1(VALU_DEP_3)
	v_and_b32_e32 v2, 0x7f800000, v0
	v_and_b32_e32 v4, 0x7fffff, v0
	v_lshrrev_b32_e32 v1, 24, v0
	v_cmpx_ne_u64_e32 0x7f800000, v[2:3]
	s_xor_b32 s25, exec_lo, s10
	s_cbranch_execz .LBB6_924
; %bb.911:                              ;   in Loop: Header=BB6_130 Depth=2
	v_and_b32_e32 v2, 0x7fffffff, v0
	v_mov_b32_e32 v3, v5
	v_and_b32_e32 v67, 0x80, v1
                                        ; implicit-def: $vgpr66
	s_mov_b32 s10, exec_lo
	s_delay_alu instid0(VALU_DEP_2)
	v_cmpx_gt_u64_e32 0x47600001, v[2:3]
	s_xor_b32 s26, exec_lo, s10
	s_cbranch_execz .LBB6_921
; %bb.912:                              ;   in Loop: Header=BB6_130 Depth=2
	v_mov_b32_e32 v66, 0
	s_mov_b32 s27, exec_lo
	v_cmpx_ne_u32_e32 0, v0
	s_cbranch_execz .LBB6_920
; %bb.913:                              ;   in Loop: Header=BB6_130 Depth=2
	v_bfe_u32 v66, v0, 23, 8
	v_or_b32_e32 v2, 0x800000, v4
	s_mov_b32 s28, exec_lo
	s_delay_alu instid0(VALU_DEP_2) | instskip(SKIP_1) | instid1(VALU_DEP_2)
	v_dual_mov_b32 v3, v5 :: v_dual_sub_nc_u32 v0, 0x71, v66
	v_cmp_gt_u32_e32 vcc_lo, 0x72, v66
	v_cndmask_b32_e32 v0, 0, v0, vcc_lo
	v_cmp_eq_u32_e32 vcc_lo, 0, v66
	s_delay_alu instid0(VALU_DEP_2) | instskip(SKIP_1) | instid1(VALU_DEP_2)
	v_cndmask_b32_e64 v68, v0, 0x70, vcc_lo
	v_cndmask_b32_e32 v2, v2, v4, vcc_lo
	v_dual_add_nc_u32 v0, 21, v68 :: v_dual_add_nc_u32 v69, 20, v68
	s_delay_alu instid0(VALU_DEP_1) | instskip(NEXT) | instid1(VALU_DEP_2)
	v_lshlrev_b64_e64 v[0:1], v0, -1
	v_lshlrev_b64_e64 v[70:71], v69, 1
	s_delay_alu instid0(VALU_DEP_2) | instskip(NEXT) | instid1(VALU_DEP_3)
	v_bfi_b32 v81, v1, 0, 0
	v_bfi_b32 v80, v0, 0, v2
	v_lshrrev_b64 v[0:1], v68, v[2:3]
	s_delay_alu instid0(VALU_DEP_1) | instskip(NEXT) | instid1(VALU_DEP_3)
	v_mov_b64_e32 v[2:3], v[0:1]
	v_cmpx_eq_u64_e64 v[80:81], v[70:71]
; %bb.914:                              ;   in Loop: Header=BB6_130 Depth=2
	v_bfe_u32 v2, v0, 21, 1
	v_mov_b32_e32 v3, v5
	s_delay_alu instid0(VALU_DEP_1) | instskip(NEXT) | instid1(VALU_DEP_1)
	v_add_nc_u64_e32 v[2:3], v[0:1], v[2:3]
	v_add_nc_u64_e32 v[2:3], -1, v[2:3]
; %bb.915:                              ;   in Loop: Header=BB6_130 Depth=2
	s_or_b32 exec_lo, exec_lo, s28
	v_add_nc_u32_e32 v1, 0xffffff81, v66
	v_lshrrev_b32_e32 v3, 23, v0
	s_mov_b32 s10, exec_lo
	s_delay_alu instid0(VALU_DEP_2) | instskip(NEXT) | instid1(VALU_DEP_1)
	v_cndmask_b32_e64 v1, v1, 0xffffff82, vcc_lo
	v_add3_u32 v3, v68, v1, v3
	v_and_b32_e32 v1, 0x1fffff, v2
                                        ; implicit-def: $vgpr2
	s_delay_alu instid0(VALU_DEP_1) | instskip(NEXT) | instid1(VALU_DEP_1)
	v_dual_add_nc_u32 v66, 14, v3 :: v_dual_add_nc_u32 v4, v1, v0
                                        ; implicit-def: $vgpr0_vgpr1
	v_cmpx_ne_u32_e32 0, v66
	s_xor_b32 s10, exec_lo, s10
; %bb.916:                              ;   in Loop: Header=BB6_130 Depth=2
	s_delay_alu instid0(VALU_DEP_2) | instskip(SKIP_1) | instid1(VALU_DEP_1)
	v_cmp_lt_u64_e32 vcc_lo, 0xffffff, v[4:5]
	v_add_nc_u32_e32 v0, 15, v3
	v_cndmask_b32_e32 v2, v66, v0, vcc_lo
	v_cndmask_b32_e64 v0, 0, 1, vcc_lo
	s_delay_alu instid0(VALU_DEP_1)
	v_lshrrev_b64 v[0:1], v0, v[4:5]
; %bb.917:                              ;   in Loop: Header=BB6_130 Depth=2
	s_and_not1_saveexec_b32 s10, s10
; %bb.918:                              ;   in Loop: Header=BB6_130 Depth=2
	v_mov_b64_e32 v[0:1], v[4:5]
	v_bfe_u32 v2, v4, 23, 1
; %bb.919:                              ;   in Loop: Header=BB6_130 Depth=2
	s_or_b32 exec_lo, exec_lo, s10
	s_delay_alu instid0(VALU_DEP_2) | instskip(NEXT) | instid1(VALU_DEP_2)
	v_lshrrev_b64 v[0:1], 21, v[0:1]
	v_cmp_gt_i32_e32 vcc_lo, 32, v2
	v_min_i32_e32 v3, 31, v2
	v_cmp_eq_u32_e64 s10, 0, v2
	s_delay_alu instid0(VALU_DEP_2) | instskip(SKIP_1) | instid1(VALU_DEP_2)
	v_dual_cndmask_b32 v1, 0, v1, vcc_lo :: v_dual_lshlrev_b32 v3, 2, v3
	v_cndmask_b32_e32 v0, 3, v0, vcc_lo
	v_and_b32_e32 v3, 0xfc, v3
	s_delay_alu instid0(VALU_DEP_2) | instskip(NEXT) | instid1(VALU_DEP_2)
	v_cmp_eq_u64_e32 vcc_lo, 0, v[0:1]
	v_and_or_b32 v0, v0, 3, v3
	s_and_b32 s10, s10, vcc_lo
	s_delay_alu instid0(VALU_DEP_1) | instid1(SALU_CYCLE_1)
	v_cndmask_b32_e64 v0, v0, 0, s10
	s_delay_alu instid0(VALU_DEP_1)
	v_or_b32_e32 v66, v0, v67
.LBB6_920:                              ;   in Loop: Header=BB6_130 Depth=2
	s_or_b32 exec_lo, exec_lo, s27
                                        ; implicit-def: $vgpr67
.LBB6_921:                              ;   in Loop: Header=BB6_130 Depth=2
	s_and_not1_saveexec_b32 s10, s26
; %bb.922:                              ;   in Loop: Header=BB6_130 Depth=2
	v_or_b32_e32 v66, 0x7b, v67
; %bb.923:                              ;   in Loop: Header=BB6_130 Depth=2
	s_or_b32 exec_lo, exec_lo, s10
                                        ; implicit-def: $vgpr0
                                        ; implicit-def: $vgpr1
.LBB6_924:                              ;   in Loop: Header=BB6_130 Depth=2
	s_and_not1_saveexec_b32 s10, s25
	s_cbranch_execz .LBB6_930
; %bb.925:                              ;   in Loop: Header=BB6_130 Depth=2
	s_mov_b32 s25, exec_lo
                                        ; implicit-def: $vgpr66
	v_cmpx_ne_u64_e32 0, v[4:5]
	s_xor_b32 s25, exec_lo, s25
; %bb.926:                              ;   in Loop: Header=BB6_130 Depth=2
	v_or_b32_e32 v66, 0x7f, v1
                                        ; implicit-def: $vgpr0
; %bb.927:                              ;   in Loop: Header=BB6_130 Depth=2
	s_and_not1_saveexec_b32 s25, s25
; %bb.928:                              ;   in Loop: Header=BB6_130 Depth=2
	v_cmp_lt_i32_e32 vcc_lo, -1, v0
	v_cndmask_b32_e32 v66, 0xfc, v108, vcc_lo
; %bb.929:                              ;   in Loop: Header=BB6_130 Depth=2
	s_or_b32 exec_lo, exec_lo, s25
.LBB6_930:                              ;   in Loop: Header=BB6_130 Depth=2
	s_delay_alu instid0(SALU_CYCLE_1) | instskip(SKIP_4) | instid1(VALU_DEP_3)
	s_or_b32 exec_lo, exec_lo, s10
	v_and_b32_e32 v2, 0xff, v33
	v_dual_mov_b32 v4, v33 :: v_dual_mov_b32 v1, 0
	v_mov_b32_e32 v0, 0
	s_mov_b32 s10, exec_lo
	v_cmpx_ne_u16_e32 0, v2
	s_cbranch_execz .LBB6_940
; %bb.931:                              ;   in Loop: Header=BB6_130 Depth=2
	v_bfrev_b32_e32 v0, 1
	s_mov_b32 s25, exec_lo
	v_cmpx_ne_u16_e32 0x80, v2
	s_cbranch_execz .LBB6_939
; %bb.932:                              ;   in Loop: Header=BB6_130 Depth=2
	v_and_b32_e32 v0, 0x7c, v33
	v_and_b32_e32 v2, 3, v33
	s_delay_alu instid0(VALU_DEP_2) | instskip(SKIP_1) | instid1(SALU_CYCLE_1)
	v_cmp_ne_u32_e32 vcc_lo, 0x7c, v0
                                        ; implicit-def: $vgpr0
	s_and_saveexec_b32 s26, vcc_lo
	s_xor_b32 s26, exec_lo, s26
	s_cbranch_execz .LBB6_936
; %bb.933:                              ;   in Loop: Header=BB6_130 Depth=2
	v_bfe_u32 v0, v33, 2, 5
	s_mov_b32 s27, exec_lo
	s_delay_alu instid0(VALU_DEP_1)
	v_cmpx_eq_u32_e32 0, v0
; %bb.934:                              ;   in Loop: Header=BB6_130 Depth=2
	v_clz_i32_u32_e32 v0, v2
	s_delay_alu instid0(VALU_DEP_1) | instskip(NEXT) | instid1(VALU_DEP_1)
	v_min_u32_e32 v0, 32, v0
	v_subrev_nc_u32_e32 v2, 29, v0
	s_delay_alu instid0(VALU_DEP_1) | instskip(NEXT) | instid1(VALU_DEP_1)
	v_lshlrev_b64_e32 v[2:3], v2, v[4:5]
	v_dual_sub_nc_u32 v0, 30, v0 :: v_dual_bitop2_b32 v2, 3, v2 bitop3:0x40
; %bb.935:                              ;   in Loop: Header=BB6_130 Depth=2
	s_or_b32 exec_lo, exec_lo, s27
	v_lshlrev_b32_e32 v3, 24, v33
	s_delay_alu instid0(VALU_DEP_1) | instskip(NEXT) | instid1(VALU_DEP_1)
	v_and_b32_e32 v3, 0x80000000, v3
	v_lshl_add_u32 v0, v0, 23, v3
	s_delay_alu instid0(VALU_DEP_1) | instskip(NEXT) | instid1(VALU_DEP_1)
	v_lshl_or_b32 v0, v2, 21, v0
                                        ; implicit-def: $vgpr2
	v_add_nc_u32_e32 v0, 0x38000000, v0
.LBB6_936:                              ;   in Loop: Header=BB6_130 Depth=2
	s_and_not1_saveexec_b32 s26, s26
; %bb.937:                              ;   in Loop: Header=BB6_130 Depth=2
	v_bfe_i32 v0, v33, 0, 8
	s_delay_alu instid0(VALU_DEP_1) | instskip(SKIP_2) | instid1(VALU_DEP_2)
	v_cmp_lt_i16_e32 vcc_lo, -1, v0
	v_cndmask_b32_e32 v0, 0xff800000, v109, vcc_lo
	v_cmp_eq_u32_e32 vcc_lo, 0, v2
	v_cndmask_b32_e32 v0, 0x7f800001, v0, vcc_lo
; %bb.938:                              ;   in Loop: Header=BB6_130 Depth=2
	s_or_b32 exec_lo, exec_lo, s26
.LBB6_939:                              ;   in Loop: Header=BB6_130 Depth=2
	s_delay_alu instid0(SALU_CYCLE_1)
	s_or_b32 exec_lo, exec_lo, s25
.LBB6_940:                              ;   in Loop: Header=BB6_130 Depth=2
	s_delay_alu instid0(SALU_CYCLE_1) | instskip(SKIP_2) | instid1(VALU_DEP_1)
	s_or_b32 exec_lo, exec_lo, s10
	v_and_b32_e32 v2, 0xff, v27
	s_mov_b32 s10, exec_lo
	v_cmpx_ne_u16_e32 0, v2
	s_cbranch_execz .LBB6_950
; %bb.941:                              ;   in Loop: Header=BB6_130 Depth=2
	v_bfrev_b32_e32 v1, 1
	s_mov_b32 s25, exec_lo
	v_cmpx_ne_u16_e32 0x80, v2
	s_cbranch_execz .LBB6_949
; %bb.942:                              ;   in Loop: Header=BB6_130 Depth=2
	v_and_b32_e32 v1, 0x7c, v27
	v_and_b32_e32 v2, 3, v27
	s_delay_alu instid0(VALU_DEP_2) | instskip(SKIP_1) | instid1(SALU_CYCLE_1)
	v_cmp_ne_u32_e32 vcc_lo, 0x7c, v1
                                        ; implicit-def: $vgpr1
	s_and_saveexec_b32 s26, vcc_lo
	s_xor_b32 s26, exec_lo, s26
	s_cbranch_execz .LBB6_946
; %bb.943:                              ;   in Loop: Header=BB6_130 Depth=2
	v_bfe_u32 v1, v27, 2, 5
	s_mov_b32 s27, exec_lo
	s_delay_alu instid0(VALU_DEP_1)
	v_cmpx_eq_u32_e32 0, v1
; %bb.944:                              ;   in Loop: Header=BB6_130 Depth=2
	v_clz_i32_u32_e32 v1, v2
	v_dual_mov_b32 v2, v27 :: v_dual_mov_b32 v3, v5
	s_delay_alu instid0(VALU_DEP_2) | instskip(NEXT) | instid1(VALU_DEP_1)
	v_min_u32_e32 v1, 32, v1
	v_subrev_nc_u32_e32 v67, 29, v1
	s_delay_alu instid0(VALU_DEP_1) | instskip(NEXT) | instid1(VALU_DEP_1)
	v_lshlrev_b64_e32 v[2:3], v67, v[2:3]
	v_dual_sub_nc_u32 v1, 30, v1 :: v_dual_bitop2_b32 v2, 3, v2 bitop3:0x40
; %bb.945:                              ;   in Loop: Header=BB6_130 Depth=2
	s_or_b32 exec_lo, exec_lo, s27
	v_lshlrev_b32_e32 v3, 24, v27
	s_delay_alu instid0(VALU_DEP_1) | instskip(NEXT) | instid1(VALU_DEP_1)
	v_and_b32_e32 v3, 0x80000000, v3
	v_lshl_add_u32 v1, v1, 23, v3
	s_delay_alu instid0(VALU_DEP_1) | instskip(NEXT) | instid1(VALU_DEP_1)
	v_lshl_or_b32 v1, v2, 21, v1
                                        ; implicit-def: $vgpr2
	v_add_nc_u32_e32 v1, 0x38000000, v1
.LBB6_946:                              ;   in Loop: Header=BB6_130 Depth=2
	s_and_not1_saveexec_b32 s26, s26
; %bb.947:                              ;   in Loop: Header=BB6_130 Depth=2
	v_bfe_i32 v1, v27, 0, 8
	s_delay_alu instid0(VALU_DEP_1) | instskip(SKIP_2) | instid1(VALU_DEP_2)
	v_cmp_lt_i16_e32 vcc_lo, -1, v1
	v_cndmask_b32_e32 v1, 0xff800000, v109, vcc_lo
	v_cmp_eq_u32_e32 vcc_lo, 0, v2
	v_cndmask_b32_e32 v1, 0x7f800001, v1, vcc_lo
; %bb.948:                              ;   in Loop: Header=BB6_130 Depth=2
	s_or_b32 exec_lo, exec_lo, s26
.LBB6_949:                              ;   in Loop: Header=BB6_130 Depth=2
	s_delay_alu instid0(SALU_CYCLE_1)
	s_or_b32 exec_lo, exec_lo, s25
.LBB6_950:                              ;   in Loop: Header=BB6_130 Depth=2
	s_delay_alu instid0(SALU_CYCLE_1) | instskip(NEXT) | instid1(VALU_DEP_1)
	s_or_b32 exec_lo, exec_lo, s10
	v_dual_mul_f32 v2, v0, v1 :: v_dual_mov_b32 v69, v5
	v_mov_b32_e32 v1, v5
                                        ; implicit-def: $vgpr67
	s_mov_b32 s10, exec_lo
	s_delay_alu instid0(VALU_DEP_2) | instskip(SKIP_2) | instid1(VALU_DEP_3)
	v_and_b32_e32 v68, 0x7f800000, v2
	v_and_b32_e32 v0, 0x7fffff, v2
	v_lshrrev_b32_e32 v3, 24, v2
	v_cmpx_ne_u64_e32 0x7f800000, v[68:69]
	s_xor_b32 s25, exec_lo, s10
	s_cbranch_execz .LBB6_964
; %bb.951:                              ;   in Loop: Header=BB6_130 Depth=2
	v_and_b32_e32 v68, 0x7fffffff, v2
	v_mov_b32_e32 v69, v5
                                        ; implicit-def: $vgpr67
	s_delay_alu instid0(VALU_DEP_1) | instskip(SKIP_2) | instid1(SALU_CYCLE_1)
	v_cmp_gt_u64_e32 vcc_lo, 0x47600001, v[68:69]
	v_and_b32_e32 v68, 0x80, v3
	s_and_saveexec_b32 s10, vcc_lo
	s_xor_b32 s26, exec_lo, s10
	s_cbranch_execz .LBB6_961
; %bb.952:                              ;   in Loop: Header=BB6_130 Depth=2
	v_mov_b32_e32 v67, 0
	s_mov_b32 s27, exec_lo
	v_cmpx_ne_u32_e32 0, v2
	s_cbranch_execz .LBB6_960
; %bb.953:                              ;   in Loop: Header=BB6_130 Depth=2
	v_bfe_u32 v67, v2, 23, 8
	v_or_b32_e32 v70, 0x800000, v0
	s_delay_alu instid0(VALU_DEP_2) | instskip(SKIP_1) | instid1(VALU_DEP_2)
	v_sub_nc_u32_e32 v2, 0x71, v67
	v_cmp_gt_u32_e32 vcc_lo, 0x72, v67
	v_cndmask_b32_e32 v2, 0, v2, vcc_lo
	v_cmp_eq_u32_e32 vcc_lo, 0, v67
	s_delay_alu instid0(VALU_DEP_2) | instskip(NEXT) | instid1(VALU_DEP_1)
	v_cndmask_b32_e64 v69, v2, 0x70, vcc_lo
	v_dual_cndmask_b32 v0, v70, v0, vcc_lo :: v_dual_add_nc_u32 v2, 21, v69
	v_add_nc_u32_e32 v71, 20, v69
	s_delay_alu instid0(VALU_DEP_2) | instskip(NEXT) | instid1(VALU_DEP_2)
	v_lshlrev_b64_e64 v[2:3], v2, -1
	v_lshlrev_b64_e64 v[70:71], v71, 1
	s_delay_alu instid0(VALU_DEP_2) | instskip(SKIP_1) | instid1(VALU_DEP_4)
	v_bfi_b32 v2, v2, 0, v0
	v_lshrrev_b64 v[0:1], v69, v[0:1]
	v_bfi_b32 v3, v3, 0, 0
	s_delay_alu instid0(VALU_DEP_1) | instskip(NEXT) | instid1(VALU_DEP_3)
	v_cmp_eq_u64_e64 s10, v[2:3], v[70:71]
	v_mov_b64_e32 v[2:3], v[0:1]
	s_and_saveexec_b32 s28, s10
; %bb.954:                              ;   in Loop: Header=BB6_130 Depth=2
	v_bfe_u32 v2, v0, 21, 1
	v_mov_b32_e32 v3, v5
	s_delay_alu instid0(VALU_DEP_1) | instskip(NEXT) | instid1(VALU_DEP_1)
	v_add_nc_u64_e32 v[2:3], v[0:1], v[2:3]
	v_add_nc_u64_e32 v[2:3], -1, v[2:3]
; %bb.955:                              ;   in Loop: Header=BB6_130 Depth=2
	s_or_b32 exec_lo, exec_lo, s28
	v_add_nc_u32_e32 v1, 0xffffff81, v67
	v_lshrrev_b32_e32 v3, 23, v0
	s_mov_b32 s10, exec_lo
	s_delay_alu instid0(VALU_DEP_2) | instskip(NEXT) | instid1(VALU_DEP_1)
	v_cndmask_b32_e64 v1, v1, 0xffffff82, vcc_lo
	v_add3_u32 v3, v69, v1, v3
	v_and_b32_e32 v1, 0x1fffff, v2
                                        ; implicit-def: $vgpr2
	s_delay_alu instid0(VALU_DEP_1) | instskip(SKIP_1) | instid1(VALU_DEP_2)
	v_dual_add_nc_u32 v67, 14, v3 :: v_dual_add_nc_u32 v0, v1, v0
	v_mov_b32_e32 v1, v5
	v_cmpx_ne_u32_e32 0, v67
	s_xor_b32 s10, exec_lo, s10
; %bb.956:                              ;   in Loop: Header=BB6_130 Depth=2
	s_delay_alu instid0(VALU_DEP_2) | instskip(SKIP_2) | instid1(VALU_DEP_2)
	v_cmp_lt_u64_e32 vcc_lo, 0xffffff, v[0:1]
	v_add_nc_u32_e32 v2, 15, v3
	v_cndmask_b32_e64 v3, 0, 1, vcc_lo
	v_cndmask_b32_e32 v2, v67, v2, vcc_lo
	s_delay_alu instid0(VALU_DEP_2)
	v_lshrrev_b64 v[0:1], v3, v[0:1]
; %bb.957:                              ;   in Loop: Header=BB6_130 Depth=2
	s_and_not1_saveexec_b32 s10, s10
; %bb.958:                              ;   in Loop: Header=BB6_130 Depth=2
	s_delay_alu instid0(VALU_DEP_1)
	v_bfe_u32 v2, v0, 23, 1
; %bb.959:                              ;   in Loop: Header=BB6_130 Depth=2
	s_or_b32 exec_lo, exec_lo, s10
	s_delay_alu instid0(VALU_DEP_2) | instskip(NEXT) | instid1(VALU_DEP_2)
	v_lshrrev_b64 v[0:1], 21, v[0:1]
	v_cmp_gt_i32_e32 vcc_lo, 32, v2
	v_min_i32_e32 v3, 31, v2
	v_cmp_eq_u32_e64 s10, 0, v2
	s_delay_alu instid0(VALU_DEP_2) | instskip(SKIP_1) | instid1(VALU_DEP_2)
	v_dual_cndmask_b32 v1, 0, v1, vcc_lo :: v_dual_lshlrev_b32 v3, 2, v3
	v_cndmask_b32_e32 v0, 3, v0, vcc_lo
	v_and_b32_e32 v3, 0xfc, v3
	s_delay_alu instid0(VALU_DEP_2) | instskip(NEXT) | instid1(VALU_DEP_2)
	v_cmp_eq_u64_e32 vcc_lo, 0, v[0:1]
	v_and_or_b32 v0, v0, 3, v3
	s_and_b32 s10, s10, vcc_lo
	s_delay_alu instid0(VALU_DEP_1) | instid1(SALU_CYCLE_1)
	v_cndmask_b32_e64 v0, v0, 0, s10
	s_delay_alu instid0(VALU_DEP_1)
	v_or_b32_e32 v67, v0, v68
.LBB6_960:                              ;   in Loop: Header=BB6_130 Depth=2
	s_or_b32 exec_lo, exec_lo, s27
                                        ; implicit-def: $vgpr68
.LBB6_961:                              ;   in Loop: Header=BB6_130 Depth=2
	s_and_not1_saveexec_b32 s10, s26
; %bb.962:                              ;   in Loop: Header=BB6_130 Depth=2
	v_or_b32_e32 v67, 0x7b, v68
; %bb.963:                              ;   in Loop: Header=BB6_130 Depth=2
	s_or_b32 exec_lo, exec_lo, s10
                                        ; implicit-def: $vgpr2
                                        ; implicit-def: $vgpr0_vgpr1
                                        ; implicit-def: $vgpr3
.LBB6_964:                              ;   in Loop: Header=BB6_130 Depth=2
	s_and_not1_saveexec_b32 s10, s25
	s_cbranch_execz .LBB6_970
; %bb.965:                              ;   in Loop: Header=BB6_130 Depth=2
	s_mov_b32 s25, exec_lo
                                        ; implicit-def: $vgpr67
	v_cmpx_ne_u64_e32 0, v[0:1]
	s_xor_b32 s25, exec_lo, s25
; %bb.966:                              ;   in Loop: Header=BB6_130 Depth=2
	v_or_b32_e32 v67, 0x7f, v3
                                        ; implicit-def: $vgpr2
; %bb.967:                              ;   in Loop: Header=BB6_130 Depth=2
	s_and_not1_saveexec_b32 s25, s25
; %bb.968:                              ;   in Loop: Header=BB6_130 Depth=2
	v_cmp_lt_i32_e32 vcc_lo, -1, v2
	v_cndmask_b32_e32 v67, 0xfc, v108, vcc_lo
; %bb.969:                              ;   in Loop: Header=BB6_130 Depth=2
	s_or_b32 exec_lo, exec_lo, s25
.LBB6_970:                              ;   in Loop: Header=BB6_130 Depth=2
	s_delay_alu instid0(SALU_CYCLE_1) | instskip(SKIP_3) | instid1(VALU_DEP_2)
	s_or_b32 exec_lo, exec_lo, s10
	v_lshrrev_b16 v0, 8, v4
	v_dual_mov_b32 v2, 0 :: v_dual_mov_b32 v3, 0
	s_mov_b32 s10, exec_lo
	v_cmpx_ne_u16_e32 0, v0
	s_cbranch_execz .LBB6_980
; %bb.971:                              ;   in Loop: Header=BB6_130 Depth=2
	v_bfrev_b32_e32 v3, 1
	s_mov_b32 s25, exec_lo
	v_cmpx_ne_u16_e32 0x80, v0
	s_cbranch_execz .LBB6_979
; %bb.972:                              ;   in Loop: Header=BB6_130 Depth=2
	v_and_b32_e32 v68, 0xffff, v0
	s_delay_alu instid0(VALU_DEP_1) | instskip(SKIP_1) | instid1(VALU_DEP_2)
	v_and_b32_e32 v3, 0x7c, v68
	v_and_b32_e32 v1, 3, v68
	v_cmp_ne_u32_e32 vcc_lo, 0x7c, v3
                                        ; implicit-def: $vgpr3
	s_and_saveexec_b32 s26, vcc_lo
	s_delay_alu instid0(SALU_CYCLE_1)
	s_xor_b32 s26, exec_lo, s26
	s_cbranch_execz .LBB6_976
; %bb.973:                              ;   in Loop: Header=BB6_130 Depth=2
	v_bfe_u32 v3, v68, 2, 5
	s_mov_b32 s27, exec_lo
	s_delay_alu instid0(VALU_DEP_1)
	v_cmpx_eq_u32_e32 0, v3
	s_cbranch_execz .LBB6_975
; %bb.974:                              ;   in Loop: Header=BB6_130 Depth=2
	v_clz_i32_u32_e32 v1, v1
	s_delay_alu instid0(VALU_DEP_1) | instskip(SKIP_1) | instid1(VALU_DEP_2)
	v_min_u32_e32 v3, 32, v1
	v_mov_b32_e32 v1, v5
	v_subrev_nc_u32_e32 v68, 29, v3
	v_sub_nc_u32_e32 v3, 30, v3
	s_delay_alu instid0(VALU_DEP_2) | instskip(NEXT) | instid1(VALU_DEP_1)
	v_lshlrev_b64_e32 v[0:1], v68, v[0:1]
	v_and_b32_e32 v1, 3, v0
.LBB6_975:                              ;   in Loop: Header=BB6_130 Depth=2
	s_or_b32 exec_lo, exec_lo, s27
	v_lshlrev_b32_e32 v0, 16, v4
	s_delay_alu instid0(VALU_DEP_1) | instskip(NEXT) | instid1(VALU_DEP_1)
	v_and_b32_e32 v0, 0x80000000, v0
	v_lshl_add_u32 v0, v3, 23, v0
	s_delay_alu instid0(VALU_DEP_1) | instskip(NEXT) | instid1(VALU_DEP_1)
	v_lshl_or_b32 v0, v1, 21, v0
                                        ; implicit-def: $vgpr1
	v_add_nc_u32_e32 v3, 0x38000000, v0
.LBB6_976:                              ;   in Loop: Header=BB6_130 Depth=2
	s_and_not1_saveexec_b32 s26, s26
; %bb.977:                              ;   in Loop: Header=BB6_130 Depth=2
	v_cmp_lt_i16_e32 vcc_lo, -1, v4
	v_cndmask_b32_e32 v0, 0xff800000, v109, vcc_lo
	v_cmp_eq_u32_e32 vcc_lo, 0, v1
	s_delay_alu instid0(VALU_DEP_2)
	v_cndmask_b32_e32 v3, 0x7f800001, v0, vcc_lo
; %bb.978:                              ;   in Loop: Header=BB6_130 Depth=2
	s_or_b32 exec_lo, exec_lo, s26
.LBB6_979:                              ;   in Loop: Header=BB6_130 Depth=2
	s_delay_alu instid0(SALU_CYCLE_1)
	s_or_b32 exec_lo, exec_lo, s25
.LBB6_980:                              ;   in Loop: Header=BB6_130 Depth=2
	s_delay_alu instid0(SALU_CYCLE_1) | instskip(SKIP_2) | instid1(VALU_DEP_1)
	s_or_b32 exec_lo, exec_lo, s10
	v_lshrrev_b16 v0, 8, v27
	s_mov_b32 s10, exec_lo
	v_cmpx_ne_u16_e32 0, v0
	s_cbranch_execz .LBB6_990
; %bb.981:                              ;   in Loop: Header=BB6_130 Depth=2
	v_bfrev_b32_e32 v2, 1
	s_mov_b32 s25, exec_lo
	v_cmpx_ne_u16_e32 0x80, v0
	s_cbranch_execz .LBB6_989
; %bb.982:                              ;   in Loop: Header=BB6_130 Depth=2
	v_and_b32_e32 v4, 0xffff, v0
	s_delay_alu instid0(VALU_DEP_1) | instskip(SKIP_1) | instid1(VALU_DEP_2)
	v_and_b32_e32 v2, 0x7c, v4
	v_and_b32_e32 v1, 3, v4
	v_cmp_ne_u32_e32 vcc_lo, 0x7c, v2
                                        ; implicit-def: $vgpr2
	s_and_saveexec_b32 s26, vcc_lo
	s_delay_alu instid0(SALU_CYCLE_1)
	s_xor_b32 s26, exec_lo, s26
	s_cbranch_execz .LBB6_986
; %bb.983:                              ;   in Loop: Header=BB6_130 Depth=2
	v_bfe_u32 v2, v4, 2, 5
	s_mov_b32 s27, exec_lo
	s_delay_alu instid0(VALU_DEP_1)
	v_cmpx_eq_u32_e32 0, v2
	s_cbranch_execz .LBB6_985
; %bb.984:                              ;   in Loop: Header=BB6_130 Depth=2
	v_clz_i32_u32_e32 v1, v1
	s_delay_alu instid0(VALU_DEP_1) | instskip(SKIP_1) | instid1(VALU_DEP_2)
	v_min_u32_e32 v2, 32, v1
	v_mov_b32_e32 v1, v5
	v_subrev_nc_u32_e32 v4, 29, v2
	v_sub_nc_u32_e32 v2, 30, v2
	s_delay_alu instid0(VALU_DEP_2) | instskip(NEXT) | instid1(VALU_DEP_1)
	v_lshlrev_b64_e32 v[0:1], v4, v[0:1]
	v_and_b32_e32 v1, 3, v0
.LBB6_985:                              ;   in Loop: Header=BB6_130 Depth=2
	s_or_b32 exec_lo, exec_lo, s27
	v_lshlrev_b32_e32 v0, 16, v27
	s_delay_alu instid0(VALU_DEP_1) | instskip(NEXT) | instid1(VALU_DEP_1)
	v_and_b32_e32 v0, 0x80000000, v0
	v_lshl_add_u32 v0, v2, 23, v0
	s_delay_alu instid0(VALU_DEP_1) | instskip(NEXT) | instid1(VALU_DEP_1)
	v_lshl_or_b32 v0, v1, 21, v0
                                        ; implicit-def: $vgpr1
	v_add_nc_u32_e32 v2, 0x38000000, v0
.LBB6_986:                              ;   in Loop: Header=BB6_130 Depth=2
	s_and_not1_saveexec_b32 s26, s26
; %bb.987:                              ;   in Loop: Header=BB6_130 Depth=2
	v_cmp_lt_i16_e32 vcc_lo, -1, v27
	v_cndmask_b32_e32 v0, 0xff800000, v109, vcc_lo
	v_cmp_eq_u32_e32 vcc_lo, 0, v1
	s_delay_alu instid0(VALU_DEP_2)
	v_cndmask_b32_e32 v2, 0x7f800001, v0, vcc_lo
; %bb.988:                              ;   in Loop: Header=BB6_130 Depth=2
	s_or_b32 exec_lo, exec_lo, s26
.LBB6_989:                              ;   in Loop: Header=BB6_130 Depth=2
	s_delay_alu instid0(SALU_CYCLE_1)
	s_or_b32 exec_lo, exec_lo, s25
.LBB6_990:                              ;   in Loop: Header=BB6_130 Depth=2
	s_delay_alu instid0(SALU_CYCLE_1) | instskip(NEXT) | instid1(VALU_DEP_1)
	s_or_b32 exec_lo, exec_lo, s10
	v_dual_mul_f32 v0, v3, v2 :: v_dual_mov_b32 v3, v5
                                        ; implicit-def: $vgpr68
	s_mov_b32 s10, exec_lo
	s_delay_alu instid0(VALU_DEP_1) | instskip(SKIP_2) | instid1(VALU_DEP_3)
	v_and_b32_e32 v2, 0x7f800000, v0
	v_and_b32_e32 v4, 0x7fffff, v0
	v_lshrrev_b32_e32 v1, 24, v0
	v_cmpx_ne_u64_e32 0x7f800000, v[2:3]
	s_xor_b32 s25, exec_lo, s10
	s_cbranch_execz .LBB6_1004
; %bb.991:                              ;   in Loop: Header=BB6_130 Depth=2
	v_and_b32_e32 v2, 0x7fffffff, v0
	v_mov_b32_e32 v3, v5
	v_and_b32_e32 v69, 0x80, v1
                                        ; implicit-def: $vgpr68
	s_mov_b32 s10, exec_lo
	s_delay_alu instid0(VALU_DEP_2)
	v_cmpx_gt_u64_e32 0x47600001, v[2:3]
	s_xor_b32 s26, exec_lo, s10
	s_cbranch_execz .LBB6_1001
; %bb.992:                              ;   in Loop: Header=BB6_130 Depth=2
	v_mov_b32_e32 v68, 0
	s_mov_b32 s27, exec_lo
	v_cmpx_ne_u32_e32 0, v0
	s_cbranch_execz .LBB6_1000
; %bb.993:                              ;   in Loop: Header=BB6_130 Depth=2
	v_bfe_u32 v68, v0, 23, 8
	v_or_b32_e32 v2, 0x800000, v4
	s_mov_b32 s28, exec_lo
	s_delay_alu instid0(VALU_DEP_2) | instskip(SKIP_1) | instid1(VALU_DEP_2)
	v_dual_mov_b32 v3, v5 :: v_dual_sub_nc_u32 v0, 0x71, v68
	v_cmp_gt_u32_e32 vcc_lo, 0x72, v68
	v_cndmask_b32_e32 v0, 0, v0, vcc_lo
	v_cmp_eq_u32_e32 vcc_lo, 0, v68
	s_delay_alu instid0(VALU_DEP_2) | instskip(NEXT) | instid1(VALU_DEP_1)
	v_cndmask_b32_e64 v70, v0, 0x70, vcc_lo
	v_dual_cndmask_b32 v2, v2, v4, vcc_lo :: v_dual_add_nc_u32 v0, 21, v70
	v_add_nc_u32_e32 v71, 20, v70
	s_delay_alu instid0(VALU_DEP_2) | instskip(NEXT) | instid1(VALU_DEP_2)
	v_lshlrev_b64_e64 v[0:1], v0, -1
	v_lshlrev_b64_e64 v[80:81], v71, 1
	s_delay_alu instid0(VALU_DEP_2) | instskip(NEXT) | instid1(VALU_DEP_3)
	v_bfi_b32 v83, v1, 0, 0
	v_bfi_b32 v82, v0, 0, v2
	v_lshrrev_b64 v[0:1], v70, v[2:3]
	s_delay_alu instid0(VALU_DEP_1) | instskip(NEXT) | instid1(VALU_DEP_3)
	v_mov_b64_e32 v[2:3], v[0:1]
	v_cmpx_eq_u64_e64 v[82:83], v[80:81]
; %bb.994:                              ;   in Loop: Header=BB6_130 Depth=2
	v_bfe_u32 v2, v0, 21, 1
	v_mov_b32_e32 v3, v5
	s_delay_alu instid0(VALU_DEP_1) | instskip(NEXT) | instid1(VALU_DEP_1)
	v_add_nc_u64_e32 v[2:3], v[0:1], v[2:3]
	v_add_nc_u64_e32 v[2:3], -1, v[2:3]
; %bb.995:                              ;   in Loop: Header=BB6_130 Depth=2
	s_or_b32 exec_lo, exec_lo, s28
	v_add_nc_u32_e32 v1, 0xffffff81, v68
	v_lshrrev_b32_e32 v3, 23, v0
	s_mov_b32 s10, exec_lo
	s_delay_alu instid0(VALU_DEP_2) | instskip(NEXT) | instid1(VALU_DEP_1)
	v_cndmask_b32_e64 v1, v1, 0xffffff82, vcc_lo
	v_add3_u32 v3, v70, v1, v3
	v_and_b32_e32 v1, 0x1fffff, v2
                                        ; implicit-def: $vgpr2
	s_delay_alu instid0(VALU_DEP_1) | instskip(NEXT) | instid1(VALU_DEP_1)
	v_dual_add_nc_u32 v68, 14, v3 :: v_dual_add_nc_u32 v4, v1, v0
                                        ; implicit-def: $vgpr0_vgpr1
	v_cmpx_ne_u32_e32 0, v68
	s_xor_b32 s10, exec_lo, s10
; %bb.996:                              ;   in Loop: Header=BB6_130 Depth=2
	s_delay_alu instid0(VALU_DEP_2) | instskip(SKIP_1) | instid1(VALU_DEP_1)
	v_cmp_lt_u64_e32 vcc_lo, 0xffffff, v[4:5]
	v_add_nc_u32_e32 v0, 15, v3
	v_cndmask_b32_e32 v2, v68, v0, vcc_lo
	v_cndmask_b32_e64 v0, 0, 1, vcc_lo
	s_delay_alu instid0(VALU_DEP_1)
	v_lshrrev_b64 v[0:1], v0, v[4:5]
; %bb.997:                              ;   in Loop: Header=BB6_130 Depth=2
	s_and_not1_saveexec_b32 s10, s10
; %bb.998:                              ;   in Loop: Header=BB6_130 Depth=2
	v_mov_b64_e32 v[0:1], v[4:5]
	v_bfe_u32 v2, v4, 23, 1
; %bb.999:                              ;   in Loop: Header=BB6_130 Depth=2
	s_or_b32 exec_lo, exec_lo, s10
	s_delay_alu instid0(VALU_DEP_2) | instskip(NEXT) | instid1(VALU_DEP_2)
	v_lshrrev_b64 v[0:1], 21, v[0:1]
	v_cmp_gt_i32_e32 vcc_lo, 32, v2
	v_min_i32_e32 v3, 31, v2
	v_cmp_eq_u32_e64 s10, 0, v2
	s_delay_alu instid0(VALU_DEP_2) | instskip(SKIP_1) | instid1(VALU_DEP_2)
	v_dual_cndmask_b32 v1, 0, v1, vcc_lo :: v_dual_lshlrev_b32 v3, 2, v3
	v_cndmask_b32_e32 v0, 3, v0, vcc_lo
	v_and_b32_e32 v3, 0xfc, v3
	s_delay_alu instid0(VALU_DEP_2) | instskip(NEXT) | instid1(VALU_DEP_2)
	v_cmp_eq_u64_e32 vcc_lo, 0, v[0:1]
	v_and_or_b32 v0, v0, 3, v3
	s_and_b32 s10, s10, vcc_lo
	s_delay_alu instid0(VALU_DEP_1) | instid1(SALU_CYCLE_1)
	v_cndmask_b32_e64 v0, v0, 0, s10
	s_delay_alu instid0(VALU_DEP_1)
	v_or_b32_e32 v68, v0, v69
.LBB6_1000:                             ;   in Loop: Header=BB6_130 Depth=2
	s_or_b32 exec_lo, exec_lo, s27
                                        ; implicit-def: $vgpr69
.LBB6_1001:                             ;   in Loop: Header=BB6_130 Depth=2
	s_and_not1_saveexec_b32 s10, s26
; %bb.1002:                             ;   in Loop: Header=BB6_130 Depth=2
	v_or_b32_e32 v68, 0x7b, v69
; %bb.1003:                             ;   in Loop: Header=BB6_130 Depth=2
	s_or_b32 exec_lo, exec_lo, s10
                                        ; implicit-def: $vgpr0
                                        ; implicit-def: $vgpr1
.LBB6_1004:                             ;   in Loop: Header=BB6_130 Depth=2
	s_and_not1_saveexec_b32 s10, s25
	s_cbranch_execz .LBB6_1010
; %bb.1005:                             ;   in Loop: Header=BB6_130 Depth=2
	s_mov_b32 s25, exec_lo
                                        ; implicit-def: $vgpr68
	v_cmpx_ne_u64_e32 0, v[4:5]
	s_xor_b32 s25, exec_lo, s25
; %bb.1006:                             ;   in Loop: Header=BB6_130 Depth=2
	v_or_b32_e32 v68, 0x7f, v1
                                        ; implicit-def: $vgpr0
; %bb.1007:                             ;   in Loop: Header=BB6_130 Depth=2
	s_and_not1_saveexec_b32 s25, s25
; %bb.1008:                             ;   in Loop: Header=BB6_130 Depth=2
	v_cmp_lt_i32_e32 vcc_lo, -1, v0
	v_cndmask_b32_e32 v68, 0xfc, v108, vcc_lo
; %bb.1009:                             ;   in Loop: Header=BB6_130 Depth=2
	s_or_b32 exec_lo, exec_lo, s25
.LBB6_1010:                             ;   in Loop: Header=BB6_130 Depth=2
	s_delay_alu instid0(SALU_CYCLE_1) | instskip(SKIP_3) | instid1(VALU_DEP_2)
	s_or_b32 exec_lo, exec_lo, s10
	v_dual_mov_b32 v1, 0 :: v_dual_lshrrev_b32 v0, 16, v33
	v_mov_b32_e32 v2, 0
	s_mov_b32 s10, exec_lo
	v_and_b32_e32 v3, 0xff, v0
	s_delay_alu instid0(VALU_DEP_1)
	v_cmpx_ne_u16_e32 0, v3
	s_cbranch_execz .LBB6_1020
; %bb.1011:                             ;   in Loop: Header=BB6_130 Depth=2
	v_bfrev_b32_e32 v2, 1
	s_mov_b32 s25, exec_lo
	v_cmpx_ne_u16_e32 0x80, v3
	s_cbranch_execz .LBB6_1019
; %bb.1012:                             ;   in Loop: Header=BB6_130 Depth=2
	v_and_b32_e32 v2, 0x7c0000, v33
	v_bfe_u32 v3, v33, 16, 2
	s_delay_alu instid0(VALU_DEP_2) | instskip(SKIP_1) | instid1(SALU_CYCLE_1)
	v_cmp_ne_u32_e32 vcc_lo, 0x7c0000, v2
                                        ; implicit-def: $vgpr2
	s_and_saveexec_b32 s26, vcc_lo
	s_xor_b32 s26, exec_lo, s26
	s_cbranch_execz .LBB6_1016
; %bb.1013:                             ;   in Loop: Header=BB6_130 Depth=2
	v_bfe_u32 v2, v33, 18, 5
	s_mov_b32 s27, exec_lo
	s_delay_alu instid0(VALU_DEP_1)
	v_cmpx_eq_u32_e32 0, v2
; %bb.1014:                             ;   in Loop: Header=BB6_130 Depth=2
	v_clz_i32_u32_e32 v2, v3
	s_delay_alu instid0(VALU_DEP_1) | instskip(NEXT) | instid1(VALU_DEP_1)
	v_min_u32_e32 v2, 32, v2
	v_subrev_nc_u32_e32 v3, 29, v2
	v_sub_nc_u32_e32 v2, 30, v2
	s_delay_alu instid0(VALU_DEP_2) | instskip(NEXT) | instid1(VALU_DEP_1)
	v_lshlrev_b64_e32 v[70:71], v3, v[0:1]
	v_and_b32_e32 v3, 3, v70
; %bb.1015:                             ;   in Loop: Header=BB6_130 Depth=2
	s_or_b32 exec_lo, exec_lo, s27
	v_lshlrev_b32_e32 v0, 24, v0
	s_delay_alu instid0(VALU_DEP_1) | instskip(NEXT) | instid1(VALU_DEP_1)
	v_and_b32_e32 v0, 0x80000000, v0
	v_lshl_add_u32 v0, v2, 23, v0
	s_delay_alu instid0(VALU_DEP_1) | instskip(NEXT) | instid1(VALU_DEP_1)
	v_lshl_or_b32 v0, v3, 21, v0
                                        ; implicit-def: $vgpr3
	v_add_nc_u32_e32 v2, 0x38000000, v0
                                        ; implicit-def: $vgpr0
.LBB6_1016:                             ;   in Loop: Header=BB6_130 Depth=2
	s_and_not1_saveexec_b32 s26, s26
; %bb.1017:                             ;   in Loop: Header=BB6_130 Depth=2
	v_bfe_i32 v0, v0, 0, 8
	s_delay_alu instid0(VALU_DEP_1) | instskip(SKIP_2) | instid1(VALU_DEP_2)
	v_cmp_lt_i16_e32 vcc_lo, -1, v0
	v_cndmask_b32_e32 v0, 0xff800000, v109, vcc_lo
	v_cmp_eq_u32_e32 vcc_lo, 0, v3
	v_cndmask_b32_e32 v2, 0x7f800001, v0, vcc_lo
; %bb.1018:                             ;   in Loop: Header=BB6_130 Depth=2
	s_or_b32 exec_lo, exec_lo, s26
.LBB6_1019:                             ;   in Loop: Header=BB6_130 Depth=2
	s_delay_alu instid0(SALU_CYCLE_1)
	s_or_b32 exec_lo, exec_lo, s25
.LBB6_1020:                             ;   in Loop: Header=BB6_130 Depth=2
	s_delay_alu instid0(SALU_CYCLE_1) | instskip(SKIP_2) | instid1(VALU_DEP_1)
	s_or_b32 exec_lo, exec_lo, s10
	v_lshrrev_b32_e32 v0, 16, v27
	s_mov_b32 s10, exec_lo
	v_and_b32_e32 v3, 0xff, v0
	s_delay_alu instid0(VALU_DEP_1)
	v_cmpx_ne_u16_e32 0, v3
	s_cbranch_execz .LBB6_1030
; %bb.1021:                             ;   in Loop: Header=BB6_130 Depth=2
	v_bfrev_b32_e32 v1, 1
	s_mov_b32 s25, exec_lo
	v_cmpx_ne_u16_e32 0x80, v3
	s_cbranch_execz .LBB6_1029
; %bb.1022:                             ;   in Loop: Header=BB6_130 Depth=2
	v_and_b32_e32 v1, 0x7c0000, v27
	v_bfe_u32 v3, v27, 16, 2
	s_delay_alu instid0(VALU_DEP_2) | instskip(SKIP_1) | instid1(SALU_CYCLE_1)
	v_cmp_ne_u32_e32 vcc_lo, 0x7c0000, v1
                                        ; implicit-def: $vgpr1
	s_and_saveexec_b32 s26, vcc_lo
	s_xor_b32 s26, exec_lo, s26
	s_cbranch_execz .LBB6_1026
; %bb.1023:                             ;   in Loop: Header=BB6_130 Depth=2
	v_bfe_u32 v1, v27, 18, 5
	s_mov_b32 s27, exec_lo
	s_delay_alu instid0(VALU_DEP_1)
	v_cmpx_eq_u32_e32 0, v1
; %bb.1024:                             ;   in Loop: Header=BB6_130 Depth=2
	v_clz_i32_u32_e32 v1, v3
	s_delay_alu instid0(VALU_DEP_1) | instskip(NEXT) | instid1(VALU_DEP_1)
	v_min_u32_e32 v1, 32, v1
	v_subrev_nc_u32_e32 v3, 29, v1
	s_delay_alu instid0(VALU_DEP_1) | instskip(NEXT) | instid1(VALU_DEP_1)
	v_lshlrev_b64_e32 v[70:71], v3, v[0:1]
	v_dual_sub_nc_u32 v1, 30, v1 :: v_dual_bitop2_b32 v3, 3, v70 bitop3:0x40
; %bb.1025:                             ;   in Loop: Header=BB6_130 Depth=2
	s_or_b32 exec_lo, exec_lo, s27
	v_lshlrev_b32_e32 v0, 24, v0
	s_delay_alu instid0(VALU_DEP_1) | instskip(NEXT) | instid1(VALU_DEP_1)
	v_and_b32_e32 v0, 0x80000000, v0
	v_lshl_add_u32 v0, v1, 23, v0
	s_delay_alu instid0(VALU_DEP_1) | instskip(NEXT) | instid1(VALU_DEP_1)
	v_lshl_or_b32 v0, v3, 21, v0
                                        ; implicit-def: $vgpr3
	v_add_nc_u32_e32 v1, 0x38000000, v0
                                        ; implicit-def: $vgpr0
.LBB6_1026:                             ;   in Loop: Header=BB6_130 Depth=2
	s_and_not1_saveexec_b32 s26, s26
; %bb.1027:                             ;   in Loop: Header=BB6_130 Depth=2
	v_bfe_i32 v0, v0, 0, 8
	s_delay_alu instid0(VALU_DEP_1) | instskip(SKIP_2) | instid1(VALU_DEP_2)
	v_cmp_lt_i16_e32 vcc_lo, -1, v0
	v_cndmask_b32_e32 v0, 0xff800000, v109, vcc_lo
	v_cmp_eq_u32_e32 vcc_lo, 0, v3
	v_cndmask_b32_e32 v1, 0x7f800001, v0, vcc_lo
; %bb.1028:                             ;   in Loop: Header=BB6_130 Depth=2
	s_or_b32 exec_lo, exec_lo, s26
.LBB6_1029:                             ;   in Loop: Header=BB6_130 Depth=2
	s_delay_alu instid0(SALU_CYCLE_1)
	s_or_b32 exec_lo, exec_lo, s25
.LBB6_1030:                             ;   in Loop: Header=BB6_130 Depth=2
	s_delay_alu instid0(SALU_CYCLE_1) | instskip(NEXT) | instid1(VALU_DEP_1)
	s_or_b32 exec_lo, exec_lo, s10
	v_dual_mul_f32 v0, v2, v1 :: v_dual_mov_b32 v3, v5
                                        ; implicit-def: $vgpr69
	s_mov_b32 s10, exec_lo
	s_delay_alu instid0(VALU_DEP_1) | instskip(SKIP_2) | instid1(VALU_DEP_3)
	v_and_b32_e32 v2, 0x7f800000, v0
	v_and_b32_e32 v4, 0x7fffff, v0
	v_lshrrev_b32_e32 v1, 24, v0
	v_cmpx_ne_u64_e32 0x7f800000, v[2:3]
	s_xor_b32 s25, exec_lo, s10
	s_cbranch_execz .LBB6_1044
; %bb.1031:                             ;   in Loop: Header=BB6_130 Depth=2
	v_and_b32_e32 v2, 0x7fffffff, v0
	v_mov_b32_e32 v3, v5
	v_and_b32_e32 v70, 0x80, v1
                                        ; implicit-def: $vgpr69
	s_mov_b32 s10, exec_lo
	s_delay_alu instid0(VALU_DEP_2)
	v_cmpx_gt_u64_e32 0x47600001, v[2:3]
	s_xor_b32 s26, exec_lo, s10
	s_cbranch_execz .LBB6_1041
; %bb.1032:                             ;   in Loop: Header=BB6_130 Depth=2
	v_mov_b32_e32 v69, 0
	s_mov_b32 s27, exec_lo
	v_cmpx_ne_u32_e32 0, v0
	s_cbranch_execz .LBB6_1040
; %bb.1033:                             ;   in Loop: Header=BB6_130 Depth=2
	v_bfe_u32 v69, v0, 23, 8
	v_or_b32_e32 v2, 0x800000, v4
	s_mov_b32 s28, exec_lo
	s_delay_alu instid0(VALU_DEP_2) | instskip(SKIP_1) | instid1(VALU_DEP_2)
	v_dual_mov_b32 v3, v5 :: v_dual_sub_nc_u32 v0, 0x71, v69
	v_cmp_gt_u32_e32 vcc_lo, 0x72, v69
	v_cndmask_b32_e32 v0, 0, v0, vcc_lo
	v_cmp_eq_u32_e32 vcc_lo, 0, v69
	s_delay_alu instid0(VALU_DEP_2) | instskip(NEXT) | instid1(VALU_DEP_1)
	v_cndmask_b32_e64 v71, v0, 0x70, vcc_lo
	v_dual_cndmask_b32 v2, v2, v4, vcc_lo :: v_dual_add_nc_u32 v0, 21, v71
	v_add_nc_u32_e32 v80, 20, v71
	s_delay_alu instid0(VALU_DEP_2) | instskip(NEXT) | instid1(VALU_DEP_2)
	v_lshlrev_b64_e64 v[0:1], v0, -1
	v_lshlrev_b64_e64 v[80:81], v80, 1
	s_delay_alu instid0(VALU_DEP_2) | instskip(NEXT) | instid1(VALU_DEP_3)
	v_bfi_b32 v83, v1, 0, 0
	v_bfi_b32 v82, v0, 0, v2
	v_lshrrev_b64 v[0:1], v71, v[2:3]
	s_delay_alu instid0(VALU_DEP_1) | instskip(NEXT) | instid1(VALU_DEP_3)
	v_mov_b64_e32 v[2:3], v[0:1]
	v_cmpx_eq_u64_e64 v[82:83], v[80:81]
; %bb.1034:                             ;   in Loop: Header=BB6_130 Depth=2
	v_bfe_u32 v2, v0, 21, 1
	v_mov_b32_e32 v3, v5
	s_delay_alu instid0(VALU_DEP_1) | instskip(NEXT) | instid1(VALU_DEP_1)
	v_add_nc_u64_e32 v[2:3], v[0:1], v[2:3]
	v_add_nc_u64_e32 v[2:3], -1, v[2:3]
; %bb.1035:                             ;   in Loop: Header=BB6_130 Depth=2
	s_or_b32 exec_lo, exec_lo, s28
	v_add_nc_u32_e32 v1, 0xffffff81, v69
	v_lshrrev_b32_e32 v3, 23, v0
	s_mov_b32 s10, exec_lo
	s_delay_alu instid0(VALU_DEP_2) | instskip(NEXT) | instid1(VALU_DEP_1)
	v_cndmask_b32_e64 v1, v1, 0xffffff82, vcc_lo
	v_add3_u32 v3, v71, v1, v3
	v_and_b32_e32 v1, 0x1fffff, v2
                                        ; implicit-def: $vgpr2
	s_delay_alu instid0(VALU_DEP_1) | instskip(NEXT) | instid1(VALU_DEP_1)
	v_dual_add_nc_u32 v69, 14, v3 :: v_dual_add_nc_u32 v4, v1, v0
                                        ; implicit-def: $vgpr0_vgpr1
	v_cmpx_ne_u32_e32 0, v69
	s_xor_b32 s10, exec_lo, s10
; %bb.1036:                             ;   in Loop: Header=BB6_130 Depth=2
	s_delay_alu instid0(VALU_DEP_2) | instskip(SKIP_1) | instid1(VALU_DEP_1)
	v_cmp_lt_u64_e32 vcc_lo, 0xffffff, v[4:5]
	v_add_nc_u32_e32 v0, 15, v3
	v_cndmask_b32_e32 v2, v69, v0, vcc_lo
	v_cndmask_b32_e64 v0, 0, 1, vcc_lo
	s_delay_alu instid0(VALU_DEP_1)
	v_lshrrev_b64 v[0:1], v0, v[4:5]
; %bb.1037:                             ;   in Loop: Header=BB6_130 Depth=2
	s_and_not1_saveexec_b32 s10, s10
; %bb.1038:                             ;   in Loop: Header=BB6_130 Depth=2
	v_mov_b64_e32 v[0:1], v[4:5]
	v_bfe_u32 v2, v4, 23, 1
; %bb.1039:                             ;   in Loop: Header=BB6_130 Depth=2
	s_or_b32 exec_lo, exec_lo, s10
	s_delay_alu instid0(VALU_DEP_2) | instskip(NEXT) | instid1(VALU_DEP_2)
	v_lshrrev_b64 v[0:1], 21, v[0:1]
	v_cmp_gt_i32_e32 vcc_lo, 32, v2
	v_min_i32_e32 v3, 31, v2
	v_cmp_eq_u32_e64 s10, 0, v2
	s_delay_alu instid0(VALU_DEP_2) | instskip(SKIP_1) | instid1(VALU_DEP_2)
	v_dual_cndmask_b32 v1, 0, v1, vcc_lo :: v_dual_lshlrev_b32 v3, 2, v3
	v_cndmask_b32_e32 v0, 3, v0, vcc_lo
	v_and_b32_e32 v3, 0xfc, v3
	s_delay_alu instid0(VALU_DEP_2) | instskip(NEXT) | instid1(VALU_DEP_2)
	v_cmp_eq_u64_e32 vcc_lo, 0, v[0:1]
	v_and_or_b32 v0, v0, 3, v3
	s_and_b32 s10, s10, vcc_lo
	s_delay_alu instid0(VALU_DEP_1) | instid1(SALU_CYCLE_1)
	v_cndmask_b32_e64 v0, v0, 0, s10
	s_delay_alu instid0(VALU_DEP_1)
	v_or_b32_e32 v69, v0, v70
.LBB6_1040:                             ;   in Loop: Header=BB6_130 Depth=2
	s_or_b32 exec_lo, exec_lo, s27
                                        ; implicit-def: $vgpr70
.LBB6_1041:                             ;   in Loop: Header=BB6_130 Depth=2
	s_and_not1_saveexec_b32 s10, s26
; %bb.1042:                             ;   in Loop: Header=BB6_130 Depth=2
	v_or_b32_e32 v69, 0x7b, v70
; %bb.1043:                             ;   in Loop: Header=BB6_130 Depth=2
	s_or_b32 exec_lo, exec_lo, s10
                                        ; implicit-def: $vgpr0
                                        ; implicit-def: $vgpr1
.LBB6_1044:                             ;   in Loop: Header=BB6_130 Depth=2
	s_and_not1_saveexec_b32 s10, s25
	s_cbranch_execz .LBB6_1050
; %bb.1045:                             ;   in Loop: Header=BB6_130 Depth=2
	s_mov_b32 s25, exec_lo
                                        ; implicit-def: $vgpr69
	v_cmpx_ne_u64_e32 0, v[4:5]
	s_xor_b32 s25, exec_lo, s25
; %bb.1046:                             ;   in Loop: Header=BB6_130 Depth=2
	v_or_b32_e32 v69, 0x7f, v1
                                        ; implicit-def: $vgpr0
; %bb.1047:                             ;   in Loop: Header=BB6_130 Depth=2
	s_and_not1_saveexec_b32 s25, s25
; %bb.1048:                             ;   in Loop: Header=BB6_130 Depth=2
	v_cmp_lt_i32_e32 vcc_lo, -1, v0
	v_cndmask_b32_e32 v69, 0xfc, v108, vcc_lo
; %bb.1049:                             ;   in Loop: Header=BB6_130 Depth=2
	s_or_b32 exec_lo, exec_lo, s25
.LBB6_1050:                             ;   in Loop: Header=BB6_130 Depth=2
	s_delay_alu instid0(SALU_CYCLE_1)
	s_or_b32 exec_lo, exec_lo, s10
	v_dual_mov_b32 v1, 0 :: v_dual_mov_b32 v2, 0
	s_mov_b32 s10, exec_lo
	v_cmpx_lt_u64_e64 s[12:13], v[32:33]
	s_cbranch_execz .LBB6_1060
; %bb.1051:                             ;   in Loop: Header=BB6_130 Depth=2
	v_lshrrev_b32_e32 v0, 24, v33
	v_bfrev_b32_e32 v2, 1
	s_mov_b32 s25, exec_lo
	s_delay_alu instid0(VALU_DEP_2)
	v_cmpx_ne_u32_e32 0x80, v0
	s_cbranch_execz .LBB6_1059
; %bb.1052:                             ;   in Loop: Header=BB6_130 Depth=2
	v_and_b32_e32 v2, 0x7c000000, v33
	v_bfe_u32 v3, v33, 24, 2
	s_delay_alu instid0(VALU_DEP_2) | instskip(SKIP_1) | instid1(SALU_CYCLE_1)
	v_cmp_ne_u32_e32 vcc_lo, 0x7c000000, v2
                                        ; implicit-def: $vgpr2
	s_and_saveexec_b32 s26, vcc_lo
	s_xor_b32 s26, exec_lo, s26
	s_cbranch_execz .LBB6_1056
; %bb.1053:                             ;   in Loop: Header=BB6_130 Depth=2
	v_bfe_u32 v2, v33, 26, 5
	s_mov_b32 s27, exec_lo
	s_delay_alu instid0(VALU_DEP_1)
	v_cmpx_eq_u32_e32 0, v2
; %bb.1054:                             ;   in Loop: Header=BB6_130 Depth=2
	v_clz_i32_u32_e32 v2, v3
	s_delay_alu instid0(VALU_DEP_1) | instskip(NEXT) | instid1(VALU_DEP_1)
	v_min_u32_e32 v2, 32, v2
	v_subrev_nc_u32_e32 v3, 29, v2
	v_sub_nc_u32_e32 v2, 30, v2
	s_delay_alu instid0(VALU_DEP_2) | instskip(NEXT) | instid1(VALU_DEP_1)
	v_lshlrev_b64_e32 v[70:71], v3, v[0:1]
	v_and_b32_e32 v3, 3, v70
; %bb.1055:                             ;   in Loop: Header=BB6_130 Depth=2
	s_or_b32 exec_lo, exec_lo, s27
	v_and_b32_e32 v0, 0x80000000, v33
	s_delay_alu instid0(VALU_DEP_1) | instskip(NEXT) | instid1(VALU_DEP_1)
	v_lshl_add_u32 v0, v2, 23, v0
	v_lshl_or_b32 v0, v3, 21, v0
                                        ; implicit-def: $vgpr3
	s_delay_alu instid0(VALU_DEP_1)
	v_add_nc_u32_e32 v2, 0x38000000, v0
.LBB6_1056:                             ;   in Loop: Header=BB6_130 Depth=2
	s_and_not1_saveexec_b32 s26, s26
; %bb.1057:                             ;   in Loop: Header=BB6_130 Depth=2
	v_cmp_lt_i64_e32 vcc_lo, -1, v[32:33]
	v_cndmask_b32_e32 v0, 0xff800000, v109, vcc_lo
	v_cmp_eq_u32_e32 vcc_lo, 0, v3
	s_delay_alu instid0(VALU_DEP_2)
	v_cndmask_b32_e32 v2, 0x7f800001, v0, vcc_lo
; %bb.1058:                             ;   in Loop: Header=BB6_130 Depth=2
	s_or_b32 exec_lo, exec_lo, s26
.LBB6_1059:                             ;   in Loop: Header=BB6_130 Depth=2
	s_delay_alu instid0(SALU_CYCLE_1)
	s_or_b32 exec_lo, exec_lo, s25
.LBB6_1060:                             ;   in Loop: Header=BB6_130 Depth=2
	s_delay_alu instid0(SALU_CYCLE_1) | instskip(NEXT) | instid1(SALU_CYCLE_1)
	s_or_b32 exec_lo, exec_lo, s10
	s_mov_b32 s10, exec_lo
	v_cmpx_lt_u64_e64 s[12:13], v[26:27]
	s_cbranch_execz .LBB6_1070
; %bb.1061:                             ;   in Loop: Header=BB6_130 Depth=2
	v_lshrrev_b32_e32 v0, 24, v27
	v_bfrev_b32_e32 v1, 1
	s_mov_b32 s25, exec_lo
	s_delay_alu instid0(VALU_DEP_2)
	v_cmpx_ne_u32_e32 0x80, v0
	s_cbranch_execz .LBB6_1069
; %bb.1062:                             ;   in Loop: Header=BB6_130 Depth=2
	v_and_b32_e32 v1, 0x7c000000, v27
	v_bfe_u32 v3, v27, 24, 2
	s_delay_alu instid0(VALU_DEP_2) | instskip(SKIP_1) | instid1(SALU_CYCLE_1)
	v_cmp_ne_u32_e32 vcc_lo, 0x7c000000, v1
                                        ; implicit-def: $vgpr1
	s_and_saveexec_b32 s26, vcc_lo
	s_xor_b32 s26, exec_lo, s26
	s_cbranch_execz .LBB6_1066
; %bb.1063:                             ;   in Loop: Header=BB6_130 Depth=2
	v_bfe_u32 v1, v27, 26, 5
	s_mov_b32 s27, exec_lo
	s_delay_alu instid0(VALU_DEP_1)
	v_cmpx_eq_u32_e32 0, v1
; %bb.1064:                             ;   in Loop: Header=BB6_130 Depth=2
	v_clz_i32_u32_e32 v1, v3
	s_delay_alu instid0(VALU_DEP_1) | instskip(NEXT) | instid1(VALU_DEP_1)
	v_min_u32_e32 v3, 32, v1
	v_subrev_nc_u32_e32 v1, 29, v3
	s_delay_alu instid0(VALU_DEP_1) | instskip(NEXT) | instid1(VALU_DEP_1)
	v_lshlrev_b64_e32 v[0:1], v1, v[0:1]
	v_dual_sub_nc_u32 v1, 30, v3 :: v_dual_bitop2_b32 v3, 3, v0 bitop3:0x40
; %bb.1065:                             ;   in Loop: Header=BB6_130 Depth=2
	s_or_b32 exec_lo, exec_lo, s27
	v_and_b32_e32 v0, 0x80000000, v27
	s_delay_alu instid0(VALU_DEP_1) | instskip(NEXT) | instid1(VALU_DEP_1)
	v_lshl_add_u32 v0, v1, 23, v0
	v_lshl_or_b32 v0, v3, 21, v0
                                        ; implicit-def: $vgpr3
	s_delay_alu instid0(VALU_DEP_1)
	v_add_nc_u32_e32 v1, 0x38000000, v0
.LBB6_1066:                             ;   in Loop: Header=BB6_130 Depth=2
	s_and_not1_saveexec_b32 s26, s26
; %bb.1067:                             ;   in Loop: Header=BB6_130 Depth=2
	v_cmp_lt_i64_e32 vcc_lo, -1, v[26:27]
	v_cndmask_b32_e32 v0, 0xff800000, v109, vcc_lo
	v_cmp_eq_u32_e32 vcc_lo, 0, v3
	s_delay_alu instid0(VALU_DEP_2)
	v_cndmask_b32_e32 v1, 0x7f800001, v0, vcc_lo
; %bb.1068:                             ;   in Loop: Header=BB6_130 Depth=2
	s_or_b32 exec_lo, exec_lo, s26
.LBB6_1069:                             ;   in Loop: Header=BB6_130 Depth=2
	s_delay_alu instid0(SALU_CYCLE_1)
	s_or_b32 exec_lo, exec_lo, s25
.LBB6_1070:                             ;   in Loop: Header=BB6_130 Depth=2
	s_delay_alu instid0(SALU_CYCLE_1) | instskip(NEXT) | instid1(VALU_DEP_1)
	s_or_b32 exec_lo, exec_lo, s10
	v_dual_mul_f32 v0, v2, v1 :: v_dual_mov_b32 v3, v5
                                        ; implicit-def: $vgpr26
	s_mov_b32 s10, exec_lo
	s_delay_alu instid0(VALU_DEP_1) | instskip(SKIP_2) | instid1(VALU_DEP_3)
	v_and_b32_e32 v2, 0x7f800000, v0
	v_and_b32_e32 v4, 0x7fffff, v0
	v_lshrrev_b32_e32 v1, 24, v0
	v_cmpx_ne_u64_e32 0x7f800000, v[2:3]
	s_xor_b32 s25, exec_lo, s10
	s_cbranch_execz .LBB6_1084
; %bb.1071:                             ;   in Loop: Header=BB6_130 Depth=2
	v_and_b32_e32 v2, 0x7fffffff, v0
	v_mov_b32_e32 v3, v5
	v_and_b32_e32 v27, 0x80, v1
                                        ; implicit-def: $vgpr26
	s_mov_b32 s10, exec_lo
	s_delay_alu instid0(VALU_DEP_2)
	v_cmpx_gt_u64_e32 0x47600001, v[2:3]
	s_xor_b32 s26, exec_lo, s10
	s_cbranch_execz .LBB6_1081
; %bb.1072:                             ;   in Loop: Header=BB6_130 Depth=2
	v_mov_b32_e32 v26, 0
	s_mov_b32 s27, exec_lo
	v_cmpx_ne_u32_e32 0, v0
	s_cbranch_execz .LBB6_1080
; %bb.1073:                             ;   in Loop: Header=BB6_130 Depth=2
	v_bfe_u32 v26, v0, 23, 8
	v_or_b32_e32 v2, 0x800000, v4
	s_mov_b32 s28, exec_lo
	s_delay_alu instid0(VALU_DEP_2) | instskip(SKIP_1) | instid1(VALU_DEP_2)
	v_dual_mov_b32 v3, v5 :: v_dual_sub_nc_u32 v0, 0x71, v26
	v_cmp_gt_u32_e32 vcc_lo, 0x72, v26
	v_cndmask_b32_e32 v0, 0, v0, vcc_lo
	v_cmp_eq_u32_e32 vcc_lo, 0, v26
	s_delay_alu instid0(VALU_DEP_2) | instskip(SKIP_1) | instid1(VALU_DEP_2)
	v_cndmask_b32_e64 v32, v0, 0x70, vcc_lo
	v_cndmask_b32_e32 v2, v2, v4, vcc_lo
	v_dual_add_nc_u32 v0, 21, v32 :: v_dual_add_nc_u32 v33, 20, v32
	s_delay_alu instid0(VALU_DEP_1) | instskip(NEXT) | instid1(VALU_DEP_2)
	v_lshlrev_b64_e64 v[0:1], v0, -1
	v_lshlrev_b64_e64 v[70:71], v33, 1
	s_delay_alu instid0(VALU_DEP_2) | instskip(NEXT) | instid1(VALU_DEP_3)
	v_bfi_b32 v81, v1, 0, 0
	v_bfi_b32 v80, v0, 0, v2
	v_lshrrev_b64 v[0:1], v32, v[2:3]
	s_delay_alu instid0(VALU_DEP_1) | instskip(NEXT) | instid1(VALU_DEP_3)
	v_mov_b64_e32 v[2:3], v[0:1]
	v_cmpx_eq_u64_e64 v[80:81], v[70:71]
; %bb.1074:                             ;   in Loop: Header=BB6_130 Depth=2
	v_bfe_u32 v2, v0, 21, 1
	v_mov_b32_e32 v3, v5
	s_delay_alu instid0(VALU_DEP_1) | instskip(NEXT) | instid1(VALU_DEP_1)
	v_add_nc_u64_e32 v[2:3], v[0:1], v[2:3]
	v_add_nc_u64_e32 v[2:3], -1, v[2:3]
; %bb.1075:                             ;   in Loop: Header=BB6_130 Depth=2
	s_or_b32 exec_lo, exec_lo, s28
	v_add_nc_u32_e32 v1, 0xffffff81, v26
	v_lshrrev_b32_e32 v3, 23, v0
	s_mov_b32 s10, exec_lo
	s_delay_alu instid0(VALU_DEP_2) | instskip(NEXT) | instid1(VALU_DEP_1)
	v_cndmask_b32_e64 v1, v1, 0xffffff82, vcc_lo
	v_add3_u32 v3, v32, v1, v3
	v_and_b32_e32 v1, 0x1fffff, v2
                                        ; implicit-def: $vgpr2
	s_delay_alu instid0(VALU_DEP_1) | instskip(NEXT) | instid1(VALU_DEP_1)
	v_dual_add_nc_u32 v26, 14, v3 :: v_dual_add_nc_u32 v4, v1, v0
                                        ; implicit-def: $vgpr0_vgpr1
	v_cmpx_ne_u32_e32 0, v26
	s_xor_b32 s10, exec_lo, s10
; %bb.1076:                             ;   in Loop: Header=BB6_130 Depth=2
	s_delay_alu instid0(VALU_DEP_2) | instskip(SKIP_1) | instid1(VALU_DEP_1)
	v_cmp_lt_u64_e32 vcc_lo, 0xffffff, v[4:5]
	v_add_nc_u32_e32 v0, 15, v3
	v_cndmask_b32_e32 v2, v26, v0, vcc_lo
	v_cndmask_b32_e64 v0, 0, 1, vcc_lo
	s_delay_alu instid0(VALU_DEP_1)
	v_lshrrev_b64 v[0:1], v0, v[4:5]
; %bb.1077:                             ;   in Loop: Header=BB6_130 Depth=2
	s_and_not1_saveexec_b32 s10, s10
; %bb.1078:                             ;   in Loop: Header=BB6_130 Depth=2
	v_mov_b64_e32 v[0:1], v[4:5]
	v_bfe_u32 v2, v4, 23, 1
; %bb.1079:                             ;   in Loop: Header=BB6_130 Depth=2
	s_or_b32 exec_lo, exec_lo, s10
	s_delay_alu instid0(VALU_DEP_2) | instskip(NEXT) | instid1(VALU_DEP_2)
	v_lshrrev_b64 v[0:1], 21, v[0:1]
	v_cmp_gt_i32_e32 vcc_lo, 32, v2
	v_min_i32_e32 v3, 31, v2
	v_cmp_eq_u32_e64 s10, 0, v2
	s_delay_alu instid0(VALU_DEP_2) | instskip(SKIP_1) | instid1(VALU_DEP_2)
	v_dual_cndmask_b32 v1, 0, v1, vcc_lo :: v_dual_lshlrev_b32 v3, 2, v3
	v_cndmask_b32_e32 v0, 3, v0, vcc_lo
	v_and_b32_e32 v3, 0xfc, v3
	s_delay_alu instid0(VALU_DEP_2) | instskip(NEXT) | instid1(VALU_DEP_2)
	v_cmp_eq_u64_e32 vcc_lo, 0, v[0:1]
	v_and_or_b32 v0, v0, 3, v3
	s_and_b32 s10, s10, vcc_lo
	s_delay_alu instid0(VALU_DEP_1) | instid1(SALU_CYCLE_1)
	v_cndmask_b32_e64 v0, v0, 0, s10
	s_delay_alu instid0(VALU_DEP_1)
	v_or_b32_e32 v26, v0, v27
.LBB6_1080:                             ;   in Loop: Header=BB6_130 Depth=2
	s_or_b32 exec_lo, exec_lo, s27
                                        ; implicit-def: $vgpr27
.LBB6_1081:                             ;   in Loop: Header=BB6_130 Depth=2
	s_and_not1_saveexec_b32 s10, s26
; %bb.1082:                             ;   in Loop: Header=BB6_130 Depth=2
	v_or_b32_e32 v26, 0x7b, v27
; %bb.1083:                             ;   in Loop: Header=BB6_130 Depth=2
	s_or_b32 exec_lo, exec_lo, s10
                                        ; implicit-def: $vgpr0
                                        ; implicit-def: $vgpr1
.LBB6_1084:                             ;   in Loop: Header=BB6_130 Depth=2
	s_and_not1_saveexec_b32 s10, s25
	s_cbranch_execz .LBB6_1090
; %bb.1085:                             ;   in Loop: Header=BB6_130 Depth=2
	s_mov_b32 s25, exec_lo
                                        ; implicit-def: $vgpr26
	v_cmpx_ne_u64_e32 0, v[4:5]
	s_xor_b32 s25, exec_lo, s25
; %bb.1086:                             ;   in Loop: Header=BB6_130 Depth=2
	v_or_b32_e32 v26, 0x7f, v1
                                        ; implicit-def: $vgpr0
; %bb.1087:                             ;   in Loop: Header=BB6_130 Depth=2
	s_and_not1_saveexec_b32 s25, s25
; %bb.1088:                             ;   in Loop: Header=BB6_130 Depth=2
	v_cmp_lt_i32_e32 vcc_lo, -1, v0
	v_cndmask_b32_e32 v26, 0xfc, v108, vcc_lo
; %bb.1089:                             ;   in Loop: Header=BB6_130 Depth=2
	s_or_b32 exec_lo, exec_lo, s25
.LBB6_1090:                             ;   in Loop: Header=BB6_130 Depth=2
	s_delay_alu instid0(SALU_CYCLE_1) | instskip(SKIP_2) | instid1(VALU_DEP_2)
	s_or_b32 exec_lo, exec_lo, s10
	v_and_b32_e32 v1, 0xff, v34
	v_mov_b32_e32 v0, 0
	v_cmp_ne_u16_e32 vcc_lo, 0, v1
	v_mov_b32_e32 v1, 0
	s_and_saveexec_b32 s10, vcc_lo
	s_cbranch_execz .LBB6_1100
; %bb.1091:                             ;   in Loop: Header=BB6_130 Depth=2
	v_bfe_i32 v3, v34, 0, 8
	v_bfrev_b32_e32 v1, 1
	s_mov_b32 s25, exec_lo
	s_delay_alu instid0(VALU_DEP_2)
	v_cmpx_ne_u16_e32 0xff80, v3
	s_cbranch_execz .LBB6_1099
; %bb.1092:                             ;   in Loop: Header=BB6_130 Depth=2
	v_and_b32_e32 v1, 0x7c, v34
	v_and_b32_e32 v2, 3, v34
	s_delay_alu instid0(VALU_DEP_2) | instskip(SKIP_1) | instid1(SALU_CYCLE_1)
	v_cmp_ne_u32_e32 vcc_lo, 0x7c, v1
                                        ; implicit-def: $vgpr1
	s_and_saveexec_b32 s26, vcc_lo
	s_xor_b32 s26, exec_lo, s26
	s_cbranch_execz .LBB6_1096
; %bb.1093:                             ;   in Loop: Header=BB6_130 Depth=2
	v_bfe_u32 v1, v34, 2, 5
	s_mov_b32 s27, exec_lo
	s_delay_alu instid0(VALU_DEP_1)
	v_cmpx_eq_u32_e32 0, v1
; %bb.1094:                             ;   in Loop: Header=BB6_130 Depth=2
	v_clz_i32_u32_e32 v1, v2
	s_delay_alu instid0(VALU_DEP_1) | instskip(NEXT) | instid1(VALU_DEP_1)
	v_min_u32_e32 v1, 32, v1
	v_subrev_nc_u32_e32 v2, 29, v1
	s_delay_alu instid0(VALU_DEP_1) | instskip(NEXT) | instid1(VALU_DEP_1)
	v_lshlrev_b64_e32 v[2:3], v2, v[34:35]
	v_dual_sub_nc_u32 v1, 30, v1 :: v_dual_bitop2_b32 v2, 3, v2 bitop3:0x40
; %bb.1095:                             ;   in Loop: Header=BB6_130 Depth=2
	s_or_b32 exec_lo, exec_lo, s27
	v_lshlrev_b32_e32 v3, 24, v34
	s_delay_alu instid0(VALU_DEP_1) | instskip(NEXT) | instid1(VALU_DEP_1)
	v_and_b32_e32 v3, 0x80000000, v3
	v_lshl_add_u32 v1, v1, 23, v3
                                        ; implicit-def: $vgpr3
	s_delay_alu instid0(VALU_DEP_1) | instskip(NEXT) | instid1(VALU_DEP_1)
	v_lshl_or_b32 v1, v2, 21, v1
                                        ; implicit-def: $vgpr2
	v_add_nc_u32_e32 v1, 0x38000000, v1
.LBB6_1096:                             ;   in Loop: Header=BB6_130 Depth=2
	s_and_not1_saveexec_b32 s26, s26
; %bb.1097:                             ;   in Loop: Header=BB6_130 Depth=2
	v_cmp_lt_i16_e32 vcc_lo, -1, v3
	v_cndmask_b32_e32 v1, 0xff800000, v109, vcc_lo
	v_cmp_eq_u32_e32 vcc_lo, 0, v2
	s_delay_alu instid0(VALU_DEP_2)
	v_cndmask_b32_e32 v1, 0x7f800001, v1, vcc_lo
; %bb.1098:                             ;   in Loop: Header=BB6_130 Depth=2
	s_or_b32 exec_lo, exec_lo, s26
.LBB6_1099:                             ;   in Loop: Header=BB6_130 Depth=2
	s_delay_alu instid0(SALU_CYCLE_1)
	s_or_b32 exec_lo, exec_lo, s25
.LBB6_1100:                             ;   in Loop: Header=BB6_130 Depth=2
	s_delay_alu instid0(SALU_CYCLE_1) | instskip(SKIP_2) | instid1(VALU_DEP_1)
	s_or_b32 exec_lo, exec_lo, s10
	v_and_b32_e32 v2, 0xff, v28
	s_mov_b32 s10, exec_lo
	v_cmpx_ne_u16_e32 0, v2
	s_cbranch_execz .LBB6_1110
; %bb.1101:                             ;   in Loop: Header=BB6_130 Depth=2
	v_bfe_i32 v3, v28, 0, 8
	v_bfrev_b32_e32 v0, 1
	s_mov_b32 s25, exec_lo
	s_delay_alu instid0(VALU_DEP_2)
	v_cmpx_ne_u16_e32 0xff80, v3
	s_cbranch_execz .LBB6_1109
; %bb.1102:                             ;   in Loop: Header=BB6_130 Depth=2
	v_and_b32_e32 v0, 0x7c, v28
	v_and_b32_e32 v2, 3, v28
	s_delay_alu instid0(VALU_DEP_2) | instskip(SKIP_1) | instid1(SALU_CYCLE_1)
	v_cmp_ne_u32_e32 vcc_lo, 0x7c, v0
                                        ; implicit-def: $vgpr0
	s_and_saveexec_b32 s26, vcc_lo
	s_xor_b32 s26, exec_lo, s26
	s_cbranch_execz .LBB6_1106
; %bb.1103:                             ;   in Loop: Header=BB6_130 Depth=2
	v_bfe_u32 v0, v28, 2, 5
	s_mov_b32 s27, exec_lo
	s_delay_alu instid0(VALU_DEP_1)
	v_cmpx_eq_u32_e32 0, v0
; %bb.1104:                             ;   in Loop: Header=BB6_130 Depth=2
	v_clz_i32_u32_e32 v0, v2
	s_delay_alu instid0(VALU_DEP_1) | instskip(NEXT) | instid1(VALU_DEP_1)
	v_min_u32_e32 v0, 32, v0
	v_subrev_nc_u32_e32 v2, 29, v0
	s_delay_alu instid0(VALU_DEP_1) | instskip(NEXT) | instid1(VALU_DEP_1)
	v_lshlrev_b64_e32 v[2:3], v2, v[28:29]
	v_dual_sub_nc_u32 v0, 30, v0 :: v_dual_bitop2_b32 v2, 3, v2 bitop3:0x40
; %bb.1105:                             ;   in Loop: Header=BB6_130 Depth=2
	s_or_b32 exec_lo, exec_lo, s27
	v_lshlrev_b32_e32 v3, 24, v28
	s_delay_alu instid0(VALU_DEP_1) | instskip(NEXT) | instid1(VALU_DEP_1)
	v_and_b32_e32 v3, 0x80000000, v3
	v_lshl_add_u32 v0, v0, 23, v3
                                        ; implicit-def: $vgpr3
	s_delay_alu instid0(VALU_DEP_1) | instskip(NEXT) | instid1(VALU_DEP_1)
	v_lshl_or_b32 v0, v2, 21, v0
                                        ; implicit-def: $vgpr2
	v_add_nc_u32_e32 v0, 0x38000000, v0
.LBB6_1106:                             ;   in Loop: Header=BB6_130 Depth=2
	s_and_not1_saveexec_b32 s26, s26
; %bb.1107:                             ;   in Loop: Header=BB6_130 Depth=2
	v_cmp_lt_i16_e32 vcc_lo, -1, v3
	v_cndmask_b32_e32 v0, 0xff800000, v109, vcc_lo
	v_cmp_eq_u32_e32 vcc_lo, 0, v2
	s_delay_alu instid0(VALU_DEP_2)
	v_cndmask_b32_e32 v0, 0x7f800001, v0, vcc_lo
; %bb.1108:                             ;   in Loop: Header=BB6_130 Depth=2
	s_or_b32 exec_lo, exec_lo, s26
.LBB6_1109:                             ;   in Loop: Header=BB6_130 Depth=2
	s_delay_alu instid0(SALU_CYCLE_1)
	s_or_b32 exec_lo, exec_lo, s25
.LBB6_1110:                             ;   in Loop: Header=BB6_130 Depth=2
	s_delay_alu instid0(SALU_CYCLE_1) | instskip(NEXT) | instid1(VALU_DEP_1)
	s_or_b32 exec_lo, exec_lo, s10
	v_mul_f32_e32 v0, v1, v0
	v_mov_b32_e32 v3, v5
                                        ; implicit-def: $vgpr27
	s_mov_b32 s10, exec_lo
	s_delay_alu instid0(VALU_DEP_2) | instskip(SKIP_2) | instid1(VALU_DEP_3)
	v_and_b32_e32 v2, 0x7f800000, v0
	v_and_b32_e32 v4, 0x7fffff, v0
	v_lshrrev_b32_e32 v1, 24, v0
	v_cmpx_ne_u64_e32 0x7f800000, v[2:3]
	s_xor_b32 s25, exec_lo, s10
	s_cbranch_execz .LBB6_1124
; %bb.1111:                             ;   in Loop: Header=BB6_130 Depth=2
	v_and_b32_e32 v2, 0x7fffffff, v0
	v_mov_b32_e32 v3, v5
	v_and_b32_e32 v32, 0x80, v1
                                        ; implicit-def: $vgpr27
	s_mov_b32 s10, exec_lo
	s_delay_alu instid0(VALU_DEP_2)
	v_cmpx_gt_u64_e32 0x47600001, v[2:3]
	s_xor_b32 s26, exec_lo, s10
	s_cbranch_execz .LBB6_1121
; %bb.1112:                             ;   in Loop: Header=BB6_130 Depth=2
	v_mov_b32_e32 v27, 0
	s_mov_b32 s27, exec_lo
	v_cmpx_ne_u32_e32 0, v0
	s_cbranch_execz .LBB6_1120
; %bb.1113:                             ;   in Loop: Header=BB6_130 Depth=2
	v_bfe_u32 v27, v0, 23, 8
	v_or_b32_e32 v2, 0x800000, v4
	s_mov_b32 s28, exec_lo
	s_delay_alu instid0(VALU_DEP_2) | instskip(SKIP_1) | instid1(VALU_DEP_2)
	v_dual_mov_b32 v3, v5 :: v_dual_sub_nc_u32 v0, 0x71, v27
	v_cmp_gt_u32_e32 vcc_lo, 0x72, v27
	v_cndmask_b32_e32 v0, 0, v0, vcc_lo
	v_cmp_eq_u32_e32 vcc_lo, 0, v27
	s_delay_alu instid0(VALU_DEP_2) | instskip(NEXT) | instid1(VALU_DEP_1)
	v_cndmask_b32_e64 v33, v0, 0x70, vcc_lo
	v_dual_cndmask_b32 v2, v2, v4, vcc_lo :: v_dual_add_nc_u32 v0, 21, v33
	v_add_nc_u32_e32 v70, 20, v33
	s_delay_alu instid0(VALU_DEP_2) | instskip(NEXT) | instid1(VALU_DEP_2)
	v_lshlrev_b64_e64 v[0:1], v0, -1
	v_lshlrev_b64_e64 v[70:71], v70, 1
	s_delay_alu instid0(VALU_DEP_2) | instskip(NEXT) | instid1(VALU_DEP_3)
	v_bfi_b32 v81, v1, 0, 0
	v_bfi_b32 v80, v0, 0, v2
	v_lshrrev_b64 v[0:1], v33, v[2:3]
	s_delay_alu instid0(VALU_DEP_1) | instskip(NEXT) | instid1(VALU_DEP_3)
	v_mov_b64_e32 v[2:3], v[0:1]
	v_cmpx_eq_u64_e64 v[80:81], v[70:71]
; %bb.1114:                             ;   in Loop: Header=BB6_130 Depth=2
	v_bfe_u32 v2, v0, 21, 1
	v_mov_b32_e32 v3, v5
	s_delay_alu instid0(VALU_DEP_1) | instskip(NEXT) | instid1(VALU_DEP_1)
	v_add_nc_u64_e32 v[2:3], v[0:1], v[2:3]
	v_add_nc_u64_e32 v[2:3], -1, v[2:3]
; %bb.1115:                             ;   in Loop: Header=BB6_130 Depth=2
	s_or_b32 exec_lo, exec_lo, s28
	v_add_nc_u32_e32 v1, 0xffffff81, v27
	v_lshrrev_b32_e32 v3, 23, v0
	s_mov_b32 s10, exec_lo
	s_delay_alu instid0(VALU_DEP_2) | instskip(NEXT) | instid1(VALU_DEP_1)
	v_cndmask_b32_e64 v1, v1, 0xffffff82, vcc_lo
	v_add3_u32 v3, v33, v1, v3
	v_and_b32_e32 v1, 0x1fffff, v2
                                        ; implicit-def: $vgpr2
	s_delay_alu instid0(VALU_DEP_1) | instskip(NEXT) | instid1(VALU_DEP_1)
	v_dual_add_nc_u32 v27, 14, v3 :: v_dual_add_nc_u32 v4, v1, v0
                                        ; implicit-def: $vgpr0_vgpr1
	v_cmpx_ne_u32_e32 0, v27
	s_xor_b32 s10, exec_lo, s10
; %bb.1116:                             ;   in Loop: Header=BB6_130 Depth=2
	s_delay_alu instid0(VALU_DEP_2) | instskip(SKIP_1) | instid1(VALU_DEP_1)
	v_cmp_lt_u64_e32 vcc_lo, 0xffffff, v[4:5]
	v_add_nc_u32_e32 v0, 15, v3
	v_cndmask_b32_e32 v2, v27, v0, vcc_lo
	v_cndmask_b32_e64 v0, 0, 1, vcc_lo
	s_delay_alu instid0(VALU_DEP_1)
	v_lshrrev_b64 v[0:1], v0, v[4:5]
; %bb.1117:                             ;   in Loop: Header=BB6_130 Depth=2
	s_and_not1_saveexec_b32 s10, s10
; %bb.1118:                             ;   in Loop: Header=BB6_130 Depth=2
	v_mov_b64_e32 v[0:1], v[4:5]
	v_bfe_u32 v2, v4, 23, 1
; %bb.1119:                             ;   in Loop: Header=BB6_130 Depth=2
	s_or_b32 exec_lo, exec_lo, s10
	s_delay_alu instid0(VALU_DEP_2) | instskip(NEXT) | instid1(VALU_DEP_2)
	v_lshrrev_b64 v[0:1], 21, v[0:1]
	v_cmp_gt_i32_e32 vcc_lo, 32, v2
	v_min_i32_e32 v3, 31, v2
	v_cmp_eq_u32_e64 s10, 0, v2
	s_delay_alu instid0(VALU_DEP_2) | instskip(SKIP_1) | instid1(VALU_DEP_2)
	v_dual_cndmask_b32 v1, 0, v1, vcc_lo :: v_dual_lshlrev_b32 v3, 2, v3
	v_cndmask_b32_e32 v0, 3, v0, vcc_lo
	v_and_b32_e32 v3, 0xfc, v3
	s_delay_alu instid0(VALU_DEP_2) | instskip(NEXT) | instid1(VALU_DEP_2)
	v_cmp_eq_u64_e32 vcc_lo, 0, v[0:1]
	v_and_or_b32 v0, v0, 3, v3
	s_and_b32 s10, s10, vcc_lo
	s_delay_alu instid0(VALU_DEP_1) | instid1(SALU_CYCLE_1)
	v_cndmask_b32_e64 v0, v0, 0, s10
	s_delay_alu instid0(VALU_DEP_1)
	v_or_b32_e32 v27, v0, v32
.LBB6_1120:                             ;   in Loop: Header=BB6_130 Depth=2
	s_or_b32 exec_lo, exec_lo, s27
                                        ; implicit-def: $vgpr32
.LBB6_1121:                             ;   in Loop: Header=BB6_130 Depth=2
	s_and_not1_saveexec_b32 s10, s26
; %bb.1122:                             ;   in Loop: Header=BB6_130 Depth=2
	v_or_b32_e32 v27, 0x7b, v32
; %bb.1123:                             ;   in Loop: Header=BB6_130 Depth=2
	s_or_b32 exec_lo, exec_lo, s10
                                        ; implicit-def: $vgpr0
                                        ; implicit-def: $vgpr1
.LBB6_1124:                             ;   in Loop: Header=BB6_130 Depth=2
	s_and_not1_saveexec_b32 s10, s25
	s_cbranch_execz .LBB6_1130
; %bb.1125:                             ;   in Loop: Header=BB6_130 Depth=2
	s_mov_b32 s25, exec_lo
                                        ; implicit-def: $vgpr27
	v_cmpx_ne_u64_e32 0, v[4:5]
	s_xor_b32 s25, exec_lo, s25
; %bb.1126:                             ;   in Loop: Header=BB6_130 Depth=2
	v_or_b32_e32 v27, 0x7f, v1
                                        ; implicit-def: $vgpr0
; %bb.1127:                             ;   in Loop: Header=BB6_130 Depth=2
	s_and_not1_saveexec_b32 s25, s25
; %bb.1128:                             ;   in Loop: Header=BB6_130 Depth=2
	v_cmp_lt_i32_e32 vcc_lo, -1, v0
	v_cndmask_b32_e32 v27, 0xfc, v108, vcc_lo
; %bb.1129:                             ;   in Loop: Header=BB6_130 Depth=2
	s_or_b32 exec_lo, exec_lo, s25
.LBB6_1130:                             ;   in Loop: Header=BB6_130 Depth=2
	s_delay_alu instid0(SALU_CYCLE_1) | instskip(SKIP_3) | instid1(VALU_DEP_2)
	s_or_b32 exec_lo, exec_lo, s10
	v_lshrrev_b16 v0, 8, v34
	v_dual_mov_b32 v2, 0 :: v_dual_mov_b32 v3, 0
	s_mov_b32 s10, exec_lo
	v_cmpx_ne_u16_e32 0, v0
	s_cbranch_execz .LBB6_1140
; %bb.1131:                             ;   in Loop: Header=BB6_130 Depth=2
	v_bfrev_b32_e32 v3, 1
	s_mov_b32 s25, exec_lo
	v_cmpx_ne_u16_e32 0x80, v0
	s_cbranch_execz .LBB6_1139
; %bb.1132:                             ;   in Loop: Header=BB6_130 Depth=2
	v_and_b32_e32 v4, 0xffff, v0
	s_delay_alu instid0(VALU_DEP_1) | instskip(SKIP_1) | instid1(VALU_DEP_2)
	v_and_b32_e32 v3, 0x7c, v4
	v_and_b32_e32 v1, 3, v4
	v_cmp_ne_u32_e32 vcc_lo, 0x7c, v3
                                        ; implicit-def: $vgpr3
	s_and_saveexec_b32 s26, vcc_lo
	s_delay_alu instid0(SALU_CYCLE_1)
	s_xor_b32 s26, exec_lo, s26
	s_cbranch_execz .LBB6_1136
; %bb.1133:                             ;   in Loop: Header=BB6_130 Depth=2
	v_bfe_u32 v3, v4, 2, 5
	s_mov_b32 s27, exec_lo
	s_delay_alu instid0(VALU_DEP_1)
	v_cmpx_eq_u32_e32 0, v3
	s_cbranch_execz .LBB6_1135
; %bb.1134:                             ;   in Loop: Header=BB6_130 Depth=2
	v_clz_i32_u32_e32 v1, v1
	s_delay_alu instid0(VALU_DEP_1) | instskip(SKIP_1) | instid1(VALU_DEP_2)
	v_min_u32_e32 v3, 32, v1
	v_mov_b32_e32 v1, v5
	v_subrev_nc_u32_e32 v4, 29, v3
	v_sub_nc_u32_e32 v3, 30, v3
	s_delay_alu instid0(VALU_DEP_2) | instskip(NEXT) | instid1(VALU_DEP_1)
	v_lshlrev_b64_e32 v[0:1], v4, v[0:1]
	v_and_b32_e32 v1, 3, v0
.LBB6_1135:                             ;   in Loop: Header=BB6_130 Depth=2
	s_or_b32 exec_lo, exec_lo, s27
	v_lshlrev_b32_e32 v0, 16, v34
	s_delay_alu instid0(VALU_DEP_1) | instskip(NEXT) | instid1(VALU_DEP_1)
	v_and_b32_e32 v0, 0x80000000, v0
	v_lshl_add_u32 v0, v3, 23, v0
	s_delay_alu instid0(VALU_DEP_1) | instskip(NEXT) | instid1(VALU_DEP_1)
	v_lshl_or_b32 v0, v1, 21, v0
                                        ; implicit-def: $vgpr1
	v_add_nc_u32_e32 v3, 0x38000000, v0
.LBB6_1136:                             ;   in Loop: Header=BB6_130 Depth=2
	s_and_not1_saveexec_b32 s26, s26
; %bb.1137:                             ;   in Loop: Header=BB6_130 Depth=2
	v_cmp_lt_i16_e32 vcc_lo, -1, v34
	v_cndmask_b32_e32 v0, 0xff800000, v109, vcc_lo
	v_cmp_eq_u32_e32 vcc_lo, 0, v1
	s_delay_alu instid0(VALU_DEP_2)
	v_cndmask_b32_e32 v3, 0x7f800001, v0, vcc_lo
; %bb.1138:                             ;   in Loop: Header=BB6_130 Depth=2
	s_or_b32 exec_lo, exec_lo, s26
.LBB6_1139:                             ;   in Loop: Header=BB6_130 Depth=2
	s_delay_alu instid0(SALU_CYCLE_1)
	s_or_b32 exec_lo, exec_lo, s25
.LBB6_1140:                             ;   in Loop: Header=BB6_130 Depth=2
	s_delay_alu instid0(SALU_CYCLE_1) | instskip(SKIP_2) | instid1(VALU_DEP_1)
	s_or_b32 exec_lo, exec_lo, s10
	v_lshrrev_b16 v0, 8, v28
	s_mov_b32 s10, exec_lo
	v_cmpx_ne_u16_e32 0, v0
	s_cbranch_execz .LBB6_1150
; %bb.1141:                             ;   in Loop: Header=BB6_130 Depth=2
	v_bfrev_b32_e32 v2, 1
	s_mov_b32 s25, exec_lo
	v_cmpx_ne_u16_e32 0x80, v0
	s_cbranch_execz .LBB6_1149
; %bb.1142:                             ;   in Loop: Header=BB6_130 Depth=2
	v_and_b32_e32 v4, 0xffff, v0
	s_delay_alu instid0(VALU_DEP_1) | instskip(SKIP_1) | instid1(VALU_DEP_2)
	v_and_b32_e32 v2, 0x7c, v4
	v_and_b32_e32 v1, 3, v4
	v_cmp_ne_u32_e32 vcc_lo, 0x7c, v2
                                        ; implicit-def: $vgpr2
	s_and_saveexec_b32 s26, vcc_lo
	s_delay_alu instid0(SALU_CYCLE_1)
	s_xor_b32 s26, exec_lo, s26
	s_cbranch_execz .LBB6_1146
; %bb.1143:                             ;   in Loop: Header=BB6_130 Depth=2
	v_bfe_u32 v2, v4, 2, 5
	s_mov_b32 s27, exec_lo
	s_delay_alu instid0(VALU_DEP_1)
	v_cmpx_eq_u32_e32 0, v2
	s_cbranch_execz .LBB6_1145
; %bb.1144:                             ;   in Loop: Header=BB6_130 Depth=2
	v_clz_i32_u32_e32 v1, v1
	s_delay_alu instid0(VALU_DEP_1) | instskip(SKIP_1) | instid1(VALU_DEP_2)
	v_min_u32_e32 v2, 32, v1
	v_mov_b32_e32 v1, v5
	v_subrev_nc_u32_e32 v4, 29, v2
	v_sub_nc_u32_e32 v2, 30, v2
	s_delay_alu instid0(VALU_DEP_2) | instskip(NEXT) | instid1(VALU_DEP_1)
	v_lshlrev_b64_e32 v[0:1], v4, v[0:1]
	v_and_b32_e32 v1, 3, v0
.LBB6_1145:                             ;   in Loop: Header=BB6_130 Depth=2
	s_or_b32 exec_lo, exec_lo, s27
	v_lshlrev_b32_e32 v0, 16, v28
	s_delay_alu instid0(VALU_DEP_1) | instskip(NEXT) | instid1(VALU_DEP_1)
	v_and_b32_e32 v0, 0x80000000, v0
	v_lshl_add_u32 v0, v2, 23, v0
	s_delay_alu instid0(VALU_DEP_1) | instskip(NEXT) | instid1(VALU_DEP_1)
	v_lshl_or_b32 v0, v1, 21, v0
                                        ; implicit-def: $vgpr1
	v_add_nc_u32_e32 v2, 0x38000000, v0
.LBB6_1146:                             ;   in Loop: Header=BB6_130 Depth=2
	s_and_not1_saveexec_b32 s26, s26
; %bb.1147:                             ;   in Loop: Header=BB6_130 Depth=2
	v_cmp_lt_i16_e32 vcc_lo, -1, v28
	v_cndmask_b32_e32 v0, 0xff800000, v109, vcc_lo
	v_cmp_eq_u32_e32 vcc_lo, 0, v1
	s_delay_alu instid0(VALU_DEP_2)
	v_cndmask_b32_e32 v2, 0x7f800001, v0, vcc_lo
; %bb.1148:                             ;   in Loop: Header=BB6_130 Depth=2
	s_or_b32 exec_lo, exec_lo, s26
.LBB6_1149:                             ;   in Loop: Header=BB6_130 Depth=2
	s_delay_alu instid0(SALU_CYCLE_1)
	s_or_b32 exec_lo, exec_lo, s25
.LBB6_1150:                             ;   in Loop: Header=BB6_130 Depth=2
	s_delay_alu instid0(SALU_CYCLE_1) | instskip(NEXT) | instid1(VALU_DEP_1)
	s_or_b32 exec_lo, exec_lo, s10
	v_dual_mul_f32 v0, v3, v2 :: v_dual_mov_b32 v3, v5
                                        ; implicit-def: $vgpr32
	s_mov_b32 s10, exec_lo
	s_delay_alu instid0(VALU_DEP_1) | instskip(SKIP_2) | instid1(VALU_DEP_3)
	v_and_b32_e32 v2, 0x7f800000, v0
	v_and_b32_e32 v4, 0x7fffff, v0
	v_lshrrev_b32_e32 v1, 24, v0
	v_cmpx_ne_u64_e32 0x7f800000, v[2:3]
	s_xor_b32 s25, exec_lo, s10
	s_cbranch_execz .LBB6_1164
; %bb.1151:                             ;   in Loop: Header=BB6_130 Depth=2
	v_and_b32_e32 v2, 0x7fffffff, v0
	v_mov_b32_e32 v3, v5
	v_and_b32_e32 v33, 0x80, v1
                                        ; implicit-def: $vgpr32
	s_mov_b32 s10, exec_lo
	s_delay_alu instid0(VALU_DEP_2)
	v_cmpx_gt_u64_e32 0x47600001, v[2:3]
	s_xor_b32 s26, exec_lo, s10
	s_cbranch_execz .LBB6_1161
; %bb.1152:                             ;   in Loop: Header=BB6_130 Depth=2
	v_mov_b32_e32 v32, 0
	s_mov_b32 s27, exec_lo
	v_cmpx_ne_u32_e32 0, v0
	s_cbranch_execz .LBB6_1160
; %bb.1153:                             ;   in Loop: Header=BB6_130 Depth=2
	v_bfe_u32 v32, v0, 23, 8
	v_or_b32_e32 v2, 0x800000, v4
	s_mov_b32 s28, exec_lo
	s_delay_alu instid0(VALU_DEP_2) | instskip(SKIP_1) | instid1(VALU_DEP_2)
	v_dual_mov_b32 v3, v5 :: v_dual_sub_nc_u32 v0, 0x71, v32
	v_cmp_gt_u32_e32 vcc_lo, 0x72, v32
	v_cndmask_b32_e32 v0, 0, v0, vcc_lo
	v_cmp_eq_u32_e32 vcc_lo, 0, v32
	s_delay_alu instid0(VALU_DEP_2) | instskip(NEXT) | instid1(VALU_DEP_1)
	v_cndmask_b32_e64 v70, v0, 0x70, vcc_lo
	v_dual_cndmask_b32 v2, v2, v4, vcc_lo :: v_dual_add_nc_u32 v0, 21, v70
	v_add_nc_u32_e32 v71, 20, v70
	s_delay_alu instid0(VALU_DEP_2) | instskip(NEXT) | instid1(VALU_DEP_2)
	v_lshlrev_b64_e64 v[0:1], v0, -1
	v_lshlrev_b64_e64 v[80:81], v71, 1
	s_delay_alu instid0(VALU_DEP_2) | instskip(NEXT) | instid1(VALU_DEP_3)
	v_bfi_b32 v83, v1, 0, 0
	v_bfi_b32 v82, v0, 0, v2
	v_lshrrev_b64 v[0:1], v70, v[2:3]
	s_delay_alu instid0(VALU_DEP_1) | instskip(NEXT) | instid1(VALU_DEP_3)
	v_mov_b64_e32 v[2:3], v[0:1]
	v_cmpx_eq_u64_e64 v[82:83], v[80:81]
; %bb.1154:                             ;   in Loop: Header=BB6_130 Depth=2
	v_bfe_u32 v2, v0, 21, 1
	v_mov_b32_e32 v3, v5
	s_delay_alu instid0(VALU_DEP_1) | instskip(NEXT) | instid1(VALU_DEP_1)
	v_add_nc_u64_e32 v[2:3], v[0:1], v[2:3]
	v_add_nc_u64_e32 v[2:3], -1, v[2:3]
; %bb.1155:                             ;   in Loop: Header=BB6_130 Depth=2
	s_or_b32 exec_lo, exec_lo, s28
	v_add_nc_u32_e32 v1, 0xffffff81, v32
	v_lshrrev_b32_e32 v3, 23, v0
	s_mov_b32 s10, exec_lo
	s_delay_alu instid0(VALU_DEP_2) | instskip(NEXT) | instid1(VALU_DEP_1)
	v_cndmask_b32_e64 v1, v1, 0xffffff82, vcc_lo
	v_add3_u32 v3, v70, v1, v3
	v_and_b32_e32 v1, 0x1fffff, v2
                                        ; implicit-def: $vgpr2
	s_delay_alu instid0(VALU_DEP_1) | instskip(NEXT) | instid1(VALU_DEP_1)
	v_dual_add_nc_u32 v32, 14, v3 :: v_dual_add_nc_u32 v4, v1, v0
                                        ; implicit-def: $vgpr0_vgpr1
	v_cmpx_ne_u32_e32 0, v32
	s_xor_b32 s10, exec_lo, s10
; %bb.1156:                             ;   in Loop: Header=BB6_130 Depth=2
	s_delay_alu instid0(VALU_DEP_2) | instskip(SKIP_1) | instid1(VALU_DEP_1)
	v_cmp_lt_u64_e32 vcc_lo, 0xffffff, v[4:5]
	v_add_nc_u32_e32 v0, 15, v3
	v_cndmask_b32_e32 v2, v32, v0, vcc_lo
	v_cndmask_b32_e64 v0, 0, 1, vcc_lo
	s_delay_alu instid0(VALU_DEP_1)
	v_lshrrev_b64 v[0:1], v0, v[4:5]
; %bb.1157:                             ;   in Loop: Header=BB6_130 Depth=2
	s_and_not1_saveexec_b32 s10, s10
; %bb.1158:                             ;   in Loop: Header=BB6_130 Depth=2
	v_mov_b64_e32 v[0:1], v[4:5]
	v_bfe_u32 v2, v4, 23, 1
; %bb.1159:                             ;   in Loop: Header=BB6_130 Depth=2
	s_or_b32 exec_lo, exec_lo, s10
	s_delay_alu instid0(VALU_DEP_2) | instskip(NEXT) | instid1(VALU_DEP_2)
	v_lshrrev_b64 v[0:1], 21, v[0:1]
	v_cmp_gt_i32_e32 vcc_lo, 32, v2
	v_min_i32_e32 v3, 31, v2
	v_cmp_eq_u32_e64 s10, 0, v2
	s_delay_alu instid0(VALU_DEP_2) | instskip(SKIP_1) | instid1(VALU_DEP_2)
	v_dual_cndmask_b32 v1, 0, v1, vcc_lo :: v_dual_lshlrev_b32 v3, 2, v3
	v_cndmask_b32_e32 v0, 3, v0, vcc_lo
	v_and_b32_e32 v3, 0xfc, v3
	s_delay_alu instid0(VALU_DEP_2) | instskip(NEXT) | instid1(VALU_DEP_2)
	v_cmp_eq_u64_e32 vcc_lo, 0, v[0:1]
	v_and_or_b32 v0, v0, 3, v3
	s_and_b32 s10, s10, vcc_lo
	s_delay_alu instid0(VALU_DEP_1) | instid1(SALU_CYCLE_1)
	v_cndmask_b32_e64 v0, v0, 0, s10
	s_delay_alu instid0(VALU_DEP_1)
	v_or_b32_e32 v32, v0, v33
.LBB6_1160:                             ;   in Loop: Header=BB6_130 Depth=2
	s_or_b32 exec_lo, exec_lo, s27
                                        ; implicit-def: $vgpr33
.LBB6_1161:                             ;   in Loop: Header=BB6_130 Depth=2
	s_and_not1_saveexec_b32 s10, s26
; %bb.1162:                             ;   in Loop: Header=BB6_130 Depth=2
	v_or_b32_e32 v32, 0x7b, v33
; %bb.1163:                             ;   in Loop: Header=BB6_130 Depth=2
	s_or_b32 exec_lo, exec_lo, s10
                                        ; implicit-def: $vgpr0
                                        ; implicit-def: $vgpr1
.LBB6_1164:                             ;   in Loop: Header=BB6_130 Depth=2
	s_and_not1_saveexec_b32 s10, s25
	s_cbranch_execz .LBB6_1170
; %bb.1165:                             ;   in Loop: Header=BB6_130 Depth=2
	s_mov_b32 s25, exec_lo
                                        ; implicit-def: $vgpr32
	v_cmpx_ne_u64_e32 0, v[4:5]
	s_xor_b32 s25, exec_lo, s25
; %bb.1166:                             ;   in Loop: Header=BB6_130 Depth=2
	v_or_b32_e32 v32, 0x7f, v1
                                        ; implicit-def: $vgpr0
; %bb.1167:                             ;   in Loop: Header=BB6_130 Depth=2
	s_and_not1_saveexec_b32 s25, s25
; %bb.1168:                             ;   in Loop: Header=BB6_130 Depth=2
	v_cmp_lt_i32_e32 vcc_lo, -1, v0
	v_cndmask_b32_e32 v32, 0xfc, v108, vcc_lo
; %bb.1169:                             ;   in Loop: Header=BB6_130 Depth=2
	s_or_b32 exec_lo, exec_lo, s25
.LBB6_1170:                             ;   in Loop: Header=BB6_130 Depth=2
	s_delay_alu instid0(SALU_CYCLE_1) | instskip(SKIP_3) | instid1(VALU_DEP_2)
	s_or_b32 exec_lo, exec_lo, s10
	v_dual_mov_b32 v1, 0 :: v_dual_lshrrev_b32 v0, 16, v34
	v_mov_b32_e32 v2, 0
	s_mov_b32 s10, exec_lo
	v_and_b32_e32 v3, 0xff, v0
	s_delay_alu instid0(VALU_DEP_1)
	v_cmpx_ne_u16_e32 0, v3
	s_cbranch_execz .LBB6_1180
; %bb.1171:                             ;   in Loop: Header=BB6_130 Depth=2
	v_bfrev_b32_e32 v2, 1
	s_mov_b32 s25, exec_lo
	v_cmpx_ne_u16_e32 0x80, v3
	s_cbranch_execz .LBB6_1179
; %bb.1172:                             ;   in Loop: Header=BB6_130 Depth=2
	v_and_b32_e32 v2, 0x7c0000, v34
	v_bfe_u32 v3, v34, 16, 2
	s_delay_alu instid0(VALU_DEP_2) | instskip(SKIP_1) | instid1(SALU_CYCLE_1)
	v_cmp_ne_u32_e32 vcc_lo, 0x7c0000, v2
                                        ; implicit-def: $vgpr2
	s_and_saveexec_b32 s26, vcc_lo
	s_xor_b32 s26, exec_lo, s26
	s_cbranch_execz .LBB6_1176
; %bb.1173:                             ;   in Loop: Header=BB6_130 Depth=2
	v_bfe_u32 v2, v34, 18, 5
	s_mov_b32 s27, exec_lo
	s_delay_alu instid0(VALU_DEP_1)
	v_cmpx_eq_u32_e32 0, v2
; %bb.1174:                             ;   in Loop: Header=BB6_130 Depth=2
	v_clz_i32_u32_e32 v2, v3
	s_delay_alu instid0(VALU_DEP_1) | instskip(NEXT) | instid1(VALU_DEP_1)
	v_min_u32_e32 v2, 32, v2
	v_subrev_nc_u32_e32 v3, 29, v2
	v_sub_nc_u32_e32 v2, 30, v2
	s_delay_alu instid0(VALU_DEP_2) | instskip(NEXT) | instid1(VALU_DEP_1)
	v_lshlrev_b64_e32 v[70:71], v3, v[0:1]
	v_and_b32_e32 v3, 3, v70
; %bb.1175:                             ;   in Loop: Header=BB6_130 Depth=2
	s_or_b32 exec_lo, exec_lo, s27
	v_lshlrev_b32_e32 v0, 24, v0
	s_delay_alu instid0(VALU_DEP_1) | instskip(NEXT) | instid1(VALU_DEP_1)
	v_and_b32_e32 v0, 0x80000000, v0
	v_lshl_add_u32 v0, v2, 23, v0
	s_delay_alu instid0(VALU_DEP_1) | instskip(NEXT) | instid1(VALU_DEP_1)
	v_lshl_or_b32 v0, v3, 21, v0
                                        ; implicit-def: $vgpr3
	v_add_nc_u32_e32 v2, 0x38000000, v0
                                        ; implicit-def: $vgpr0
.LBB6_1176:                             ;   in Loop: Header=BB6_130 Depth=2
	s_and_not1_saveexec_b32 s26, s26
; %bb.1177:                             ;   in Loop: Header=BB6_130 Depth=2
	v_bfe_i32 v0, v0, 0, 8
	s_delay_alu instid0(VALU_DEP_1) | instskip(SKIP_2) | instid1(VALU_DEP_2)
	v_cmp_lt_i16_e32 vcc_lo, -1, v0
	v_cndmask_b32_e32 v0, 0xff800000, v109, vcc_lo
	v_cmp_eq_u32_e32 vcc_lo, 0, v3
	v_cndmask_b32_e32 v2, 0x7f800001, v0, vcc_lo
; %bb.1178:                             ;   in Loop: Header=BB6_130 Depth=2
	s_or_b32 exec_lo, exec_lo, s26
.LBB6_1179:                             ;   in Loop: Header=BB6_130 Depth=2
	s_delay_alu instid0(SALU_CYCLE_1)
	s_or_b32 exec_lo, exec_lo, s25
.LBB6_1180:                             ;   in Loop: Header=BB6_130 Depth=2
	s_delay_alu instid0(SALU_CYCLE_1) | instskip(SKIP_2) | instid1(VALU_DEP_1)
	s_or_b32 exec_lo, exec_lo, s10
	v_lshrrev_b32_e32 v0, 16, v28
	s_mov_b32 s10, exec_lo
	v_and_b32_e32 v3, 0xff, v0
	s_delay_alu instid0(VALU_DEP_1)
	v_cmpx_ne_u16_e32 0, v3
	s_cbranch_execz .LBB6_1190
; %bb.1181:                             ;   in Loop: Header=BB6_130 Depth=2
	v_bfrev_b32_e32 v1, 1
	s_mov_b32 s25, exec_lo
	v_cmpx_ne_u16_e32 0x80, v3
	s_cbranch_execz .LBB6_1189
; %bb.1182:                             ;   in Loop: Header=BB6_130 Depth=2
	v_and_b32_e32 v1, 0x7c0000, v28
	v_bfe_u32 v3, v28, 16, 2
	s_delay_alu instid0(VALU_DEP_2) | instskip(SKIP_1) | instid1(SALU_CYCLE_1)
	v_cmp_ne_u32_e32 vcc_lo, 0x7c0000, v1
                                        ; implicit-def: $vgpr1
	s_and_saveexec_b32 s26, vcc_lo
	s_xor_b32 s26, exec_lo, s26
	s_cbranch_execz .LBB6_1186
; %bb.1183:                             ;   in Loop: Header=BB6_130 Depth=2
	v_bfe_u32 v1, v28, 18, 5
	s_mov_b32 s27, exec_lo
	s_delay_alu instid0(VALU_DEP_1)
	v_cmpx_eq_u32_e32 0, v1
; %bb.1184:                             ;   in Loop: Header=BB6_130 Depth=2
	v_clz_i32_u32_e32 v1, v3
	s_delay_alu instid0(VALU_DEP_1) | instskip(NEXT) | instid1(VALU_DEP_1)
	v_min_u32_e32 v1, 32, v1
	v_subrev_nc_u32_e32 v3, 29, v1
	s_delay_alu instid0(VALU_DEP_1) | instskip(NEXT) | instid1(VALU_DEP_1)
	v_lshlrev_b64_e32 v[70:71], v3, v[0:1]
	v_dual_sub_nc_u32 v1, 30, v1 :: v_dual_bitop2_b32 v3, 3, v70 bitop3:0x40
; %bb.1185:                             ;   in Loop: Header=BB6_130 Depth=2
	s_or_b32 exec_lo, exec_lo, s27
	v_lshlrev_b32_e32 v0, 24, v0
	s_delay_alu instid0(VALU_DEP_1) | instskip(NEXT) | instid1(VALU_DEP_1)
	v_and_b32_e32 v0, 0x80000000, v0
	v_lshl_add_u32 v0, v1, 23, v0
	s_delay_alu instid0(VALU_DEP_1) | instskip(NEXT) | instid1(VALU_DEP_1)
	v_lshl_or_b32 v0, v3, 21, v0
                                        ; implicit-def: $vgpr3
	v_add_nc_u32_e32 v1, 0x38000000, v0
                                        ; implicit-def: $vgpr0
.LBB6_1186:                             ;   in Loop: Header=BB6_130 Depth=2
	s_and_not1_saveexec_b32 s26, s26
; %bb.1187:                             ;   in Loop: Header=BB6_130 Depth=2
	v_bfe_i32 v0, v0, 0, 8
	s_delay_alu instid0(VALU_DEP_1) | instskip(SKIP_2) | instid1(VALU_DEP_2)
	v_cmp_lt_i16_e32 vcc_lo, -1, v0
	v_cndmask_b32_e32 v0, 0xff800000, v109, vcc_lo
	v_cmp_eq_u32_e32 vcc_lo, 0, v3
	v_cndmask_b32_e32 v1, 0x7f800001, v0, vcc_lo
; %bb.1188:                             ;   in Loop: Header=BB6_130 Depth=2
	s_or_b32 exec_lo, exec_lo, s26
.LBB6_1189:                             ;   in Loop: Header=BB6_130 Depth=2
	s_delay_alu instid0(SALU_CYCLE_1)
	s_or_b32 exec_lo, exec_lo, s25
.LBB6_1190:                             ;   in Loop: Header=BB6_130 Depth=2
	s_delay_alu instid0(SALU_CYCLE_1) | instskip(NEXT) | instid1(VALU_DEP_1)
	s_or_b32 exec_lo, exec_lo, s10
	v_dual_mul_f32 v0, v2, v1 :: v_dual_mov_b32 v3, v5
                                        ; implicit-def: $vgpr33
	s_mov_b32 s10, exec_lo
	s_delay_alu instid0(VALU_DEP_1) | instskip(SKIP_2) | instid1(VALU_DEP_3)
	v_and_b32_e32 v2, 0x7f800000, v0
	v_and_b32_e32 v4, 0x7fffff, v0
	v_lshrrev_b32_e32 v1, 24, v0
	v_cmpx_ne_u64_e32 0x7f800000, v[2:3]
	s_xor_b32 s25, exec_lo, s10
	s_cbranch_execz .LBB6_1204
; %bb.1191:                             ;   in Loop: Header=BB6_130 Depth=2
	v_and_b32_e32 v2, 0x7fffffff, v0
	v_mov_b32_e32 v3, v5
	v_and_b32_e32 v70, 0x80, v1
                                        ; implicit-def: $vgpr33
	s_mov_b32 s10, exec_lo
	s_delay_alu instid0(VALU_DEP_2)
	v_cmpx_gt_u64_e32 0x47600001, v[2:3]
	s_xor_b32 s26, exec_lo, s10
	s_cbranch_execz .LBB6_1201
; %bb.1192:                             ;   in Loop: Header=BB6_130 Depth=2
	v_mov_b32_e32 v33, 0
	s_mov_b32 s27, exec_lo
	v_cmpx_ne_u32_e32 0, v0
	s_cbranch_execz .LBB6_1200
; %bb.1193:                             ;   in Loop: Header=BB6_130 Depth=2
	v_bfe_u32 v33, v0, 23, 8
	v_or_b32_e32 v2, 0x800000, v4
	s_mov_b32 s28, exec_lo
	s_delay_alu instid0(VALU_DEP_2) | instskip(SKIP_1) | instid1(VALU_DEP_2)
	v_dual_mov_b32 v3, v5 :: v_dual_sub_nc_u32 v0, 0x71, v33
	v_cmp_gt_u32_e32 vcc_lo, 0x72, v33
	v_cndmask_b32_e32 v0, 0, v0, vcc_lo
	v_cmp_eq_u32_e32 vcc_lo, 0, v33
	s_delay_alu instid0(VALU_DEP_2) | instskip(NEXT) | instid1(VALU_DEP_1)
	v_cndmask_b32_e64 v71, v0, 0x70, vcc_lo
	v_dual_cndmask_b32 v2, v2, v4, vcc_lo :: v_dual_add_nc_u32 v0, 21, v71
	v_add_nc_u32_e32 v80, 20, v71
	s_delay_alu instid0(VALU_DEP_2) | instskip(NEXT) | instid1(VALU_DEP_2)
	v_lshlrev_b64_e64 v[0:1], v0, -1
	v_lshlrev_b64_e64 v[80:81], v80, 1
	s_delay_alu instid0(VALU_DEP_2) | instskip(NEXT) | instid1(VALU_DEP_3)
	v_bfi_b32 v83, v1, 0, 0
	v_bfi_b32 v82, v0, 0, v2
	v_lshrrev_b64 v[0:1], v71, v[2:3]
	s_delay_alu instid0(VALU_DEP_1) | instskip(NEXT) | instid1(VALU_DEP_3)
	v_mov_b64_e32 v[2:3], v[0:1]
	v_cmpx_eq_u64_e64 v[82:83], v[80:81]
; %bb.1194:                             ;   in Loop: Header=BB6_130 Depth=2
	v_bfe_u32 v2, v0, 21, 1
	v_mov_b32_e32 v3, v5
	s_delay_alu instid0(VALU_DEP_1) | instskip(NEXT) | instid1(VALU_DEP_1)
	v_add_nc_u64_e32 v[2:3], v[0:1], v[2:3]
	v_add_nc_u64_e32 v[2:3], -1, v[2:3]
; %bb.1195:                             ;   in Loop: Header=BB6_130 Depth=2
	s_or_b32 exec_lo, exec_lo, s28
	v_add_nc_u32_e32 v1, 0xffffff81, v33
	v_lshrrev_b32_e32 v3, 23, v0
	s_mov_b32 s10, exec_lo
	s_delay_alu instid0(VALU_DEP_2) | instskip(NEXT) | instid1(VALU_DEP_1)
	v_cndmask_b32_e64 v1, v1, 0xffffff82, vcc_lo
	v_add3_u32 v3, v71, v1, v3
	v_and_b32_e32 v1, 0x1fffff, v2
                                        ; implicit-def: $vgpr2
	s_delay_alu instid0(VALU_DEP_1) | instskip(NEXT) | instid1(VALU_DEP_1)
	v_dual_add_nc_u32 v33, 14, v3 :: v_dual_add_nc_u32 v4, v1, v0
                                        ; implicit-def: $vgpr0_vgpr1
	v_cmpx_ne_u32_e32 0, v33
	s_xor_b32 s10, exec_lo, s10
; %bb.1196:                             ;   in Loop: Header=BB6_130 Depth=2
	s_delay_alu instid0(VALU_DEP_2) | instskip(SKIP_1) | instid1(VALU_DEP_1)
	v_cmp_lt_u64_e32 vcc_lo, 0xffffff, v[4:5]
	v_add_nc_u32_e32 v0, 15, v3
	v_cndmask_b32_e32 v2, v33, v0, vcc_lo
	v_cndmask_b32_e64 v0, 0, 1, vcc_lo
	s_delay_alu instid0(VALU_DEP_1)
	v_lshrrev_b64 v[0:1], v0, v[4:5]
; %bb.1197:                             ;   in Loop: Header=BB6_130 Depth=2
	s_and_not1_saveexec_b32 s10, s10
; %bb.1198:                             ;   in Loop: Header=BB6_130 Depth=2
	v_mov_b64_e32 v[0:1], v[4:5]
	v_bfe_u32 v2, v4, 23, 1
; %bb.1199:                             ;   in Loop: Header=BB6_130 Depth=2
	s_or_b32 exec_lo, exec_lo, s10
	s_delay_alu instid0(VALU_DEP_2) | instskip(NEXT) | instid1(VALU_DEP_2)
	v_lshrrev_b64 v[0:1], 21, v[0:1]
	v_cmp_gt_i32_e32 vcc_lo, 32, v2
	v_min_i32_e32 v3, 31, v2
	v_cmp_eq_u32_e64 s10, 0, v2
	s_delay_alu instid0(VALU_DEP_2) | instskip(SKIP_1) | instid1(VALU_DEP_2)
	v_dual_cndmask_b32 v1, 0, v1, vcc_lo :: v_dual_lshlrev_b32 v3, 2, v3
	v_cndmask_b32_e32 v0, 3, v0, vcc_lo
	v_and_b32_e32 v3, 0xfc, v3
	s_delay_alu instid0(VALU_DEP_2) | instskip(NEXT) | instid1(VALU_DEP_2)
	v_cmp_eq_u64_e32 vcc_lo, 0, v[0:1]
	v_and_or_b32 v0, v0, 3, v3
	s_and_b32 s10, s10, vcc_lo
	s_delay_alu instid0(VALU_DEP_1) | instid1(SALU_CYCLE_1)
	v_cndmask_b32_e64 v0, v0, 0, s10
	s_delay_alu instid0(VALU_DEP_1)
	v_or_b32_e32 v33, v0, v70
.LBB6_1200:                             ;   in Loop: Header=BB6_130 Depth=2
	s_or_b32 exec_lo, exec_lo, s27
                                        ; implicit-def: $vgpr70
.LBB6_1201:                             ;   in Loop: Header=BB6_130 Depth=2
	s_and_not1_saveexec_b32 s10, s26
; %bb.1202:                             ;   in Loop: Header=BB6_130 Depth=2
	v_or_b32_e32 v33, 0x7b, v70
; %bb.1203:                             ;   in Loop: Header=BB6_130 Depth=2
	s_or_b32 exec_lo, exec_lo, s10
                                        ; implicit-def: $vgpr0
                                        ; implicit-def: $vgpr1
.LBB6_1204:                             ;   in Loop: Header=BB6_130 Depth=2
	s_and_not1_saveexec_b32 s10, s25
	s_cbranch_execz .LBB6_1210
; %bb.1205:                             ;   in Loop: Header=BB6_130 Depth=2
	s_mov_b32 s25, exec_lo
                                        ; implicit-def: $vgpr33
	v_cmpx_ne_u64_e32 0, v[4:5]
	s_xor_b32 s25, exec_lo, s25
; %bb.1206:                             ;   in Loop: Header=BB6_130 Depth=2
	v_or_b32_e32 v33, 0x7f, v1
                                        ; implicit-def: $vgpr0
; %bb.1207:                             ;   in Loop: Header=BB6_130 Depth=2
	s_and_not1_saveexec_b32 s25, s25
; %bb.1208:                             ;   in Loop: Header=BB6_130 Depth=2
	v_cmp_lt_i32_e32 vcc_lo, -1, v0
	v_cndmask_b32_e32 v33, 0xfc, v108, vcc_lo
; %bb.1209:                             ;   in Loop: Header=BB6_130 Depth=2
	s_or_b32 exec_lo, exec_lo, s25
.LBB6_1210:                             ;   in Loop: Header=BB6_130 Depth=2
	s_delay_alu instid0(SALU_CYCLE_1)
	s_or_b32 exec_lo, exec_lo, s10
	v_dual_mov_b32 v1, 0 :: v_dual_mov_b32 v2, 0
	s_mov_b32 s10, exec_lo
	v_cmpx_lt_u32_e32 0xffffff, v34
	s_cbranch_execz .LBB6_1220
; %bb.1211:                             ;   in Loop: Header=BB6_130 Depth=2
	v_lshrrev_b32_e32 v0, 24, v34
	v_bfrev_b32_e32 v2, 1
	s_mov_b32 s25, exec_lo
	s_delay_alu instid0(VALU_DEP_2)
	v_cmpx_ne_u32_e32 0x80, v0
	s_cbranch_execz .LBB6_1219
; %bb.1212:                             ;   in Loop: Header=BB6_130 Depth=2
	v_and_b32_e32 v2, 0x7c000000, v34
	v_bfe_u32 v3, v34, 24, 2
	s_delay_alu instid0(VALU_DEP_2) | instskip(SKIP_1) | instid1(SALU_CYCLE_1)
	v_cmp_ne_u32_e32 vcc_lo, 0x7c000000, v2
                                        ; implicit-def: $vgpr2
	s_and_saveexec_b32 s26, vcc_lo
	s_xor_b32 s26, exec_lo, s26
	s_cbranch_execz .LBB6_1216
; %bb.1213:                             ;   in Loop: Header=BB6_130 Depth=2
	v_bfe_u32 v2, v34, 26, 5
	s_mov_b32 s27, exec_lo
	s_delay_alu instid0(VALU_DEP_1)
	v_cmpx_eq_u32_e32 0, v2
; %bb.1214:                             ;   in Loop: Header=BB6_130 Depth=2
	v_clz_i32_u32_e32 v2, v3
	s_delay_alu instid0(VALU_DEP_1) | instskip(NEXT) | instid1(VALU_DEP_1)
	v_min_u32_e32 v2, 32, v2
	v_subrev_nc_u32_e32 v3, 29, v2
	v_sub_nc_u32_e32 v2, 30, v2
	s_delay_alu instid0(VALU_DEP_2) | instskip(NEXT) | instid1(VALU_DEP_1)
	v_lshlrev_b64_e32 v[70:71], v3, v[0:1]
	v_and_b32_e32 v3, 3, v70
; %bb.1215:                             ;   in Loop: Header=BB6_130 Depth=2
	s_or_b32 exec_lo, exec_lo, s27
	v_and_b32_e32 v0, 0x80000000, v34
	s_delay_alu instid0(VALU_DEP_1) | instskip(NEXT) | instid1(VALU_DEP_1)
	v_lshl_add_u32 v0, v2, 23, v0
	v_lshl_or_b32 v0, v3, 21, v0
                                        ; implicit-def: $vgpr3
	s_delay_alu instid0(VALU_DEP_1)
	v_add_nc_u32_e32 v2, 0x38000000, v0
.LBB6_1216:                             ;   in Loop: Header=BB6_130 Depth=2
	s_and_not1_saveexec_b32 s26, s26
; %bb.1217:                             ;   in Loop: Header=BB6_130 Depth=2
	v_cmp_lt_i32_e32 vcc_lo, -1, v34
	v_cndmask_b32_e32 v0, 0xff800000, v109, vcc_lo
	v_cmp_eq_u32_e32 vcc_lo, 0, v3
	s_delay_alu instid0(VALU_DEP_2)
	v_cndmask_b32_e32 v2, 0x7f800001, v0, vcc_lo
; %bb.1218:                             ;   in Loop: Header=BB6_130 Depth=2
	s_or_b32 exec_lo, exec_lo, s26
.LBB6_1219:                             ;   in Loop: Header=BB6_130 Depth=2
	s_delay_alu instid0(SALU_CYCLE_1)
	s_or_b32 exec_lo, exec_lo, s25
.LBB6_1220:                             ;   in Loop: Header=BB6_130 Depth=2
	s_delay_alu instid0(SALU_CYCLE_1) | instskip(NEXT) | instid1(SALU_CYCLE_1)
	s_or_b32 exec_lo, exec_lo, s10
	s_mov_b32 s10, exec_lo
	v_cmpx_lt_u32_e32 0xffffff, v28
	s_cbranch_execz .LBB6_1230
; %bb.1221:                             ;   in Loop: Header=BB6_130 Depth=2
	v_lshrrev_b32_e32 v0, 24, v28
	v_bfrev_b32_e32 v1, 1
	s_mov_b32 s25, exec_lo
	s_delay_alu instid0(VALU_DEP_2)
	v_cmpx_ne_u32_e32 0x80, v0
	s_cbranch_execz .LBB6_1229
; %bb.1222:                             ;   in Loop: Header=BB6_130 Depth=2
	v_and_b32_e32 v1, 0x7c000000, v28
	v_bfe_u32 v3, v28, 24, 2
	s_delay_alu instid0(VALU_DEP_2) | instskip(SKIP_1) | instid1(SALU_CYCLE_1)
	v_cmp_ne_u32_e32 vcc_lo, 0x7c000000, v1
                                        ; implicit-def: $vgpr1
	s_and_saveexec_b32 s26, vcc_lo
	s_xor_b32 s26, exec_lo, s26
	s_cbranch_execz .LBB6_1226
; %bb.1223:                             ;   in Loop: Header=BB6_130 Depth=2
	v_bfe_u32 v1, v28, 26, 5
	s_mov_b32 s27, exec_lo
	s_delay_alu instid0(VALU_DEP_1)
	v_cmpx_eq_u32_e32 0, v1
; %bb.1224:                             ;   in Loop: Header=BB6_130 Depth=2
	v_clz_i32_u32_e32 v1, v3
	s_delay_alu instid0(VALU_DEP_1) | instskip(NEXT) | instid1(VALU_DEP_1)
	v_min_u32_e32 v3, 32, v1
	v_subrev_nc_u32_e32 v1, 29, v3
	s_delay_alu instid0(VALU_DEP_1) | instskip(NEXT) | instid1(VALU_DEP_1)
	v_lshlrev_b64_e32 v[0:1], v1, v[0:1]
	v_dual_sub_nc_u32 v1, 30, v3 :: v_dual_bitop2_b32 v3, 3, v0 bitop3:0x40
; %bb.1225:                             ;   in Loop: Header=BB6_130 Depth=2
	s_or_b32 exec_lo, exec_lo, s27
	v_and_b32_e32 v0, 0x80000000, v28
	s_delay_alu instid0(VALU_DEP_1) | instskip(NEXT) | instid1(VALU_DEP_1)
	v_lshl_add_u32 v0, v1, 23, v0
	v_lshl_or_b32 v0, v3, 21, v0
                                        ; implicit-def: $vgpr3
	s_delay_alu instid0(VALU_DEP_1)
	v_add_nc_u32_e32 v1, 0x38000000, v0
.LBB6_1226:                             ;   in Loop: Header=BB6_130 Depth=2
	s_and_not1_saveexec_b32 s26, s26
; %bb.1227:                             ;   in Loop: Header=BB6_130 Depth=2
	v_cmp_lt_i32_e32 vcc_lo, -1, v28
	v_cndmask_b32_e32 v0, 0xff800000, v109, vcc_lo
	v_cmp_eq_u32_e32 vcc_lo, 0, v3
	s_delay_alu instid0(VALU_DEP_2)
	v_cndmask_b32_e32 v1, 0x7f800001, v0, vcc_lo
; %bb.1228:                             ;   in Loop: Header=BB6_130 Depth=2
	s_or_b32 exec_lo, exec_lo, s26
.LBB6_1229:                             ;   in Loop: Header=BB6_130 Depth=2
	s_delay_alu instid0(SALU_CYCLE_1)
	s_or_b32 exec_lo, exec_lo, s25
.LBB6_1230:                             ;   in Loop: Header=BB6_130 Depth=2
	s_delay_alu instid0(SALU_CYCLE_1) | instskip(NEXT) | instid1(VALU_DEP_1)
	s_or_b32 exec_lo, exec_lo, s10
	v_dual_mul_f32 v0, v2, v1 :: v_dual_mov_b32 v3, v5
                                        ; implicit-def: $vgpr70
	s_mov_b32 s10, exec_lo
	s_delay_alu instid0(VALU_DEP_1) | instskip(SKIP_2) | instid1(VALU_DEP_3)
	v_and_b32_e32 v2, 0x7f800000, v0
	v_and_b32_e32 v4, 0x7fffff, v0
	v_lshrrev_b32_e32 v1, 24, v0
	v_cmpx_ne_u64_e32 0x7f800000, v[2:3]
	s_xor_b32 s25, exec_lo, s10
	s_cbranch_execz .LBB6_1244
; %bb.1231:                             ;   in Loop: Header=BB6_130 Depth=2
	v_and_b32_e32 v2, 0x7fffffff, v0
	v_mov_b32_e32 v3, v5
	v_and_b32_e32 v71, 0x80, v1
                                        ; implicit-def: $vgpr70
	s_mov_b32 s10, exec_lo
	s_delay_alu instid0(VALU_DEP_2)
	v_cmpx_gt_u64_e32 0x47600001, v[2:3]
	s_xor_b32 s26, exec_lo, s10
	s_cbranch_execz .LBB6_1241
; %bb.1232:                             ;   in Loop: Header=BB6_130 Depth=2
	v_mov_b32_e32 v70, 0
	s_mov_b32 s27, exec_lo
	v_cmpx_ne_u32_e32 0, v0
	s_cbranch_execz .LBB6_1240
; %bb.1233:                             ;   in Loop: Header=BB6_130 Depth=2
	v_bfe_u32 v70, v0, 23, 8
	v_or_b32_e32 v2, 0x800000, v4
	s_mov_b32 s28, exec_lo
	s_delay_alu instid0(VALU_DEP_2) | instskip(SKIP_1) | instid1(VALU_DEP_2)
	v_dual_mov_b32 v3, v5 :: v_dual_sub_nc_u32 v0, 0x71, v70
	v_cmp_gt_u32_e32 vcc_lo, 0x72, v70
	v_cndmask_b32_e32 v0, 0, v0, vcc_lo
	v_cmp_eq_u32_e32 vcc_lo, 0, v70
	s_delay_alu instid0(VALU_DEP_2) | instskip(SKIP_1) | instid1(VALU_DEP_2)
	v_cndmask_b32_e64 v80, v0, 0x70, vcc_lo
	v_cndmask_b32_e32 v2, v2, v4, vcc_lo
	v_dual_add_nc_u32 v0, 21, v80 :: v_dual_add_nc_u32 v81, 20, v80
	s_delay_alu instid0(VALU_DEP_1) | instskip(NEXT) | instid1(VALU_DEP_2)
	v_lshlrev_b64_e64 v[0:1], v0, -1
	v_lshlrev_b64_e64 v[82:83], v81, 1
	s_delay_alu instid0(VALU_DEP_2) | instskip(NEXT) | instid1(VALU_DEP_3)
	v_bfi_b32 v85, v1, 0, 0
	v_bfi_b32 v84, v0, 0, v2
	v_lshrrev_b64 v[0:1], v80, v[2:3]
	s_delay_alu instid0(VALU_DEP_1) | instskip(NEXT) | instid1(VALU_DEP_3)
	v_mov_b64_e32 v[2:3], v[0:1]
	v_cmpx_eq_u64_e64 v[84:85], v[82:83]
; %bb.1234:                             ;   in Loop: Header=BB6_130 Depth=2
	v_bfe_u32 v2, v0, 21, 1
	v_mov_b32_e32 v3, v5
	s_delay_alu instid0(VALU_DEP_1) | instskip(NEXT) | instid1(VALU_DEP_1)
	v_add_nc_u64_e32 v[2:3], v[0:1], v[2:3]
	v_add_nc_u64_e32 v[2:3], -1, v[2:3]
; %bb.1235:                             ;   in Loop: Header=BB6_130 Depth=2
	s_or_b32 exec_lo, exec_lo, s28
	v_add_nc_u32_e32 v1, 0xffffff81, v70
	v_lshrrev_b32_e32 v3, 23, v0
	s_mov_b32 s10, exec_lo
	s_delay_alu instid0(VALU_DEP_2) | instskip(NEXT) | instid1(VALU_DEP_1)
	v_cndmask_b32_e64 v1, v1, 0xffffff82, vcc_lo
	v_add3_u32 v3, v80, v1, v3
	v_and_b32_e32 v1, 0x1fffff, v2
                                        ; implicit-def: $vgpr2
	s_delay_alu instid0(VALU_DEP_1) | instskip(NEXT) | instid1(VALU_DEP_1)
	v_dual_add_nc_u32 v70, 14, v3 :: v_dual_add_nc_u32 v4, v1, v0
                                        ; implicit-def: $vgpr0_vgpr1
	v_cmpx_ne_u32_e32 0, v70
	s_xor_b32 s10, exec_lo, s10
; %bb.1236:                             ;   in Loop: Header=BB6_130 Depth=2
	s_delay_alu instid0(VALU_DEP_2) | instskip(SKIP_1) | instid1(VALU_DEP_1)
	v_cmp_lt_u64_e32 vcc_lo, 0xffffff, v[4:5]
	v_add_nc_u32_e32 v0, 15, v3
	v_cndmask_b32_e32 v2, v70, v0, vcc_lo
	v_cndmask_b32_e64 v0, 0, 1, vcc_lo
	s_delay_alu instid0(VALU_DEP_1)
	v_lshrrev_b64 v[0:1], v0, v[4:5]
; %bb.1237:                             ;   in Loop: Header=BB6_130 Depth=2
	s_and_not1_saveexec_b32 s10, s10
; %bb.1238:                             ;   in Loop: Header=BB6_130 Depth=2
	v_mov_b64_e32 v[0:1], v[4:5]
	v_bfe_u32 v2, v4, 23, 1
; %bb.1239:                             ;   in Loop: Header=BB6_130 Depth=2
	s_or_b32 exec_lo, exec_lo, s10
	s_delay_alu instid0(VALU_DEP_2) | instskip(NEXT) | instid1(VALU_DEP_2)
	v_lshrrev_b64 v[0:1], 21, v[0:1]
	v_cmp_gt_i32_e32 vcc_lo, 32, v2
	v_min_i32_e32 v3, 31, v2
	v_cmp_eq_u32_e64 s10, 0, v2
	s_delay_alu instid0(VALU_DEP_2) | instskip(SKIP_1) | instid1(VALU_DEP_2)
	v_dual_cndmask_b32 v1, 0, v1, vcc_lo :: v_dual_lshlrev_b32 v3, 2, v3
	v_cndmask_b32_e32 v0, 3, v0, vcc_lo
	v_and_b32_e32 v3, 0xfc, v3
	s_delay_alu instid0(VALU_DEP_2) | instskip(NEXT) | instid1(VALU_DEP_2)
	v_cmp_eq_u64_e32 vcc_lo, 0, v[0:1]
	v_and_or_b32 v0, v0, 3, v3
	s_and_b32 s10, s10, vcc_lo
	s_delay_alu instid0(VALU_DEP_1) | instid1(SALU_CYCLE_1)
	v_cndmask_b32_e64 v0, v0, 0, s10
	s_delay_alu instid0(VALU_DEP_1)
	v_or_b32_e32 v70, v0, v71
.LBB6_1240:                             ;   in Loop: Header=BB6_130 Depth=2
	s_or_b32 exec_lo, exec_lo, s27
                                        ; implicit-def: $vgpr71
.LBB6_1241:                             ;   in Loop: Header=BB6_130 Depth=2
	s_and_not1_saveexec_b32 s10, s26
; %bb.1242:                             ;   in Loop: Header=BB6_130 Depth=2
	v_or_b32_e32 v70, 0x7b, v71
; %bb.1243:                             ;   in Loop: Header=BB6_130 Depth=2
	s_or_b32 exec_lo, exec_lo, s10
                                        ; implicit-def: $vgpr0
                                        ; implicit-def: $vgpr1
.LBB6_1244:                             ;   in Loop: Header=BB6_130 Depth=2
	s_and_not1_saveexec_b32 s10, s25
	s_cbranch_execz .LBB6_1250
; %bb.1245:                             ;   in Loop: Header=BB6_130 Depth=2
	s_mov_b32 s25, exec_lo
                                        ; implicit-def: $vgpr70
	v_cmpx_ne_u64_e32 0, v[4:5]
	s_xor_b32 s25, exec_lo, s25
; %bb.1246:                             ;   in Loop: Header=BB6_130 Depth=2
	v_or_b32_e32 v70, 0x7f, v1
                                        ; implicit-def: $vgpr0
; %bb.1247:                             ;   in Loop: Header=BB6_130 Depth=2
	s_and_not1_saveexec_b32 s25, s25
; %bb.1248:                             ;   in Loop: Header=BB6_130 Depth=2
	v_cmp_lt_i32_e32 vcc_lo, -1, v0
	v_cndmask_b32_e32 v70, 0xfc, v108, vcc_lo
; %bb.1249:                             ;   in Loop: Header=BB6_130 Depth=2
	s_or_b32 exec_lo, exec_lo, s25
.LBB6_1250:                             ;   in Loop: Header=BB6_130 Depth=2
	s_delay_alu instid0(SALU_CYCLE_1) | instskip(SKIP_4) | instid1(VALU_DEP_3)
	s_or_b32 exec_lo, exec_lo, s10
	v_and_b32_e32 v2, 0xff, v35
	v_dual_mov_b32 v4, v35 :: v_dual_mov_b32 v1, 0
	v_mov_b32_e32 v0, 0
	s_mov_b32 s10, exec_lo
	v_cmpx_ne_u16_e32 0, v2
	s_cbranch_execz .LBB6_1260
; %bb.1251:                             ;   in Loop: Header=BB6_130 Depth=2
	v_bfrev_b32_e32 v0, 1
	s_mov_b32 s25, exec_lo
	v_cmpx_ne_u16_e32 0x80, v2
	s_cbranch_execz .LBB6_1259
; %bb.1252:                             ;   in Loop: Header=BB6_130 Depth=2
	v_and_b32_e32 v0, 0x7c, v35
	v_and_b32_e32 v2, 3, v35
	s_delay_alu instid0(VALU_DEP_2) | instskip(SKIP_1) | instid1(SALU_CYCLE_1)
	v_cmp_ne_u32_e32 vcc_lo, 0x7c, v0
                                        ; implicit-def: $vgpr0
	s_and_saveexec_b32 s26, vcc_lo
	s_xor_b32 s26, exec_lo, s26
	s_cbranch_execz .LBB6_1256
; %bb.1253:                             ;   in Loop: Header=BB6_130 Depth=2
	v_bfe_u32 v0, v35, 2, 5
	s_mov_b32 s27, exec_lo
	s_delay_alu instid0(VALU_DEP_1)
	v_cmpx_eq_u32_e32 0, v0
; %bb.1254:                             ;   in Loop: Header=BB6_130 Depth=2
	v_clz_i32_u32_e32 v0, v2
	s_delay_alu instid0(VALU_DEP_1) | instskip(NEXT) | instid1(VALU_DEP_1)
	v_min_u32_e32 v0, 32, v0
	v_subrev_nc_u32_e32 v2, 29, v0
	s_delay_alu instid0(VALU_DEP_1) | instskip(NEXT) | instid1(VALU_DEP_1)
	v_lshlrev_b64_e32 v[2:3], v2, v[4:5]
	v_dual_sub_nc_u32 v0, 30, v0 :: v_dual_bitop2_b32 v2, 3, v2 bitop3:0x40
; %bb.1255:                             ;   in Loop: Header=BB6_130 Depth=2
	s_or_b32 exec_lo, exec_lo, s27
	v_lshlrev_b32_e32 v3, 24, v35
	s_delay_alu instid0(VALU_DEP_1) | instskip(NEXT) | instid1(VALU_DEP_1)
	v_and_b32_e32 v3, 0x80000000, v3
	v_lshl_add_u32 v0, v0, 23, v3
	s_delay_alu instid0(VALU_DEP_1) | instskip(NEXT) | instid1(VALU_DEP_1)
	v_lshl_or_b32 v0, v2, 21, v0
                                        ; implicit-def: $vgpr2
	v_add_nc_u32_e32 v0, 0x38000000, v0
.LBB6_1256:                             ;   in Loop: Header=BB6_130 Depth=2
	s_and_not1_saveexec_b32 s26, s26
; %bb.1257:                             ;   in Loop: Header=BB6_130 Depth=2
	v_bfe_i32 v0, v35, 0, 8
	s_delay_alu instid0(VALU_DEP_1) | instskip(SKIP_2) | instid1(VALU_DEP_2)
	v_cmp_lt_i16_e32 vcc_lo, -1, v0
	v_cndmask_b32_e32 v0, 0xff800000, v109, vcc_lo
	v_cmp_eq_u32_e32 vcc_lo, 0, v2
	v_cndmask_b32_e32 v0, 0x7f800001, v0, vcc_lo
; %bb.1258:                             ;   in Loop: Header=BB6_130 Depth=2
	s_or_b32 exec_lo, exec_lo, s26
.LBB6_1259:                             ;   in Loop: Header=BB6_130 Depth=2
	s_delay_alu instid0(SALU_CYCLE_1)
	s_or_b32 exec_lo, exec_lo, s25
.LBB6_1260:                             ;   in Loop: Header=BB6_130 Depth=2
	s_delay_alu instid0(SALU_CYCLE_1) | instskip(SKIP_2) | instid1(VALU_DEP_1)
	s_or_b32 exec_lo, exec_lo, s10
	v_and_b32_e32 v2, 0xff, v29
	s_mov_b32 s10, exec_lo
	v_cmpx_ne_u16_e32 0, v2
	s_cbranch_execz .LBB6_1270
; %bb.1261:                             ;   in Loop: Header=BB6_130 Depth=2
	v_bfrev_b32_e32 v1, 1
	s_mov_b32 s25, exec_lo
	v_cmpx_ne_u16_e32 0x80, v2
	s_cbranch_execz .LBB6_1269
; %bb.1262:                             ;   in Loop: Header=BB6_130 Depth=2
	v_and_b32_e32 v1, 0x7c, v29
	v_and_b32_e32 v2, 3, v29
	s_delay_alu instid0(VALU_DEP_2) | instskip(SKIP_1) | instid1(SALU_CYCLE_1)
	v_cmp_ne_u32_e32 vcc_lo, 0x7c, v1
                                        ; implicit-def: $vgpr1
	s_and_saveexec_b32 s26, vcc_lo
	s_xor_b32 s26, exec_lo, s26
	s_cbranch_execz .LBB6_1266
; %bb.1263:                             ;   in Loop: Header=BB6_130 Depth=2
	v_bfe_u32 v1, v29, 2, 5
	s_mov_b32 s27, exec_lo
	s_delay_alu instid0(VALU_DEP_1)
	v_cmpx_eq_u32_e32 0, v1
; %bb.1264:                             ;   in Loop: Header=BB6_130 Depth=2
	v_clz_i32_u32_e32 v1, v2
	v_dual_mov_b32 v2, v29 :: v_dual_mov_b32 v3, v5
	s_delay_alu instid0(VALU_DEP_2) | instskip(NEXT) | instid1(VALU_DEP_1)
	v_min_u32_e32 v1, 32, v1
	v_subrev_nc_u32_e32 v71, 29, v1
	s_delay_alu instid0(VALU_DEP_1) | instskip(NEXT) | instid1(VALU_DEP_1)
	v_lshlrev_b64_e32 v[2:3], v71, v[2:3]
	v_dual_sub_nc_u32 v1, 30, v1 :: v_dual_bitop2_b32 v2, 3, v2 bitop3:0x40
; %bb.1265:                             ;   in Loop: Header=BB6_130 Depth=2
	s_or_b32 exec_lo, exec_lo, s27
	v_lshlrev_b32_e32 v3, 24, v29
	s_delay_alu instid0(VALU_DEP_1) | instskip(NEXT) | instid1(VALU_DEP_1)
	v_and_b32_e32 v3, 0x80000000, v3
	v_lshl_add_u32 v1, v1, 23, v3
	s_delay_alu instid0(VALU_DEP_1) | instskip(NEXT) | instid1(VALU_DEP_1)
	v_lshl_or_b32 v1, v2, 21, v1
                                        ; implicit-def: $vgpr2
	v_add_nc_u32_e32 v1, 0x38000000, v1
.LBB6_1266:                             ;   in Loop: Header=BB6_130 Depth=2
	s_and_not1_saveexec_b32 s26, s26
; %bb.1267:                             ;   in Loop: Header=BB6_130 Depth=2
	v_bfe_i32 v1, v29, 0, 8
	s_delay_alu instid0(VALU_DEP_1) | instskip(SKIP_2) | instid1(VALU_DEP_2)
	v_cmp_lt_i16_e32 vcc_lo, -1, v1
	v_cndmask_b32_e32 v1, 0xff800000, v109, vcc_lo
	v_cmp_eq_u32_e32 vcc_lo, 0, v2
	v_cndmask_b32_e32 v1, 0x7f800001, v1, vcc_lo
; %bb.1268:                             ;   in Loop: Header=BB6_130 Depth=2
	s_or_b32 exec_lo, exec_lo, s26
.LBB6_1269:                             ;   in Loop: Header=BB6_130 Depth=2
	s_delay_alu instid0(SALU_CYCLE_1)
	s_or_b32 exec_lo, exec_lo, s25
.LBB6_1270:                             ;   in Loop: Header=BB6_130 Depth=2
	s_delay_alu instid0(SALU_CYCLE_1) | instskip(NEXT) | instid1(VALU_DEP_1)
	s_or_b32 exec_lo, exec_lo, s10
	v_dual_mul_f32 v2, v0, v1 :: v_dual_mov_b32 v81, v5
	v_mov_b32_e32 v1, v5
                                        ; implicit-def: $vgpr71
	s_mov_b32 s10, exec_lo
	s_delay_alu instid0(VALU_DEP_2) | instskip(SKIP_2) | instid1(VALU_DEP_3)
	v_and_b32_e32 v80, 0x7f800000, v2
	v_and_b32_e32 v0, 0x7fffff, v2
	v_lshrrev_b32_e32 v3, 24, v2
	v_cmpx_ne_u64_e32 0x7f800000, v[80:81]
	s_xor_b32 s25, exec_lo, s10
	s_cbranch_execz .LBB6_1284
; %bb.1271:                             ;   in Loop: Header=BB6_130 Depth=2
	v_and_b32_e32 v80, 0x7fffffff, v2
	v_mov_b32_e32 v81, v5
                                        ; implicit-def: $vgpr71
	s_delay_alu instid0(VALU_DEP_1) | instskip(SKIP_2) | instid1(SALU_CYCLE_1)
	v_cmp_gt_u64_e32 vcc_lo, 0x47600001, v[80:81]
	v_and_b32_e32 v80, 0x80, v3
	s_and_saveexec_b32 s10, vcc_lo
	s_xor_b32 s26, exec_lo, s10
	s_cbranch_execz .LBB6_1281
; %bb.1272:                             ;   in Loop: Header=BB6_130 Depth=2
	v_mov_b32_e32 v71, 0
	s_mov_b32 s27, exec_lo
	v_cmpx_ne_u32_e32 0, v2
	s_cbranch_execz .LBB6_1280
; %bb.1273:                             ;   in Loop: Header=BB6_130 Depth=2
	v_bfe_u32 v71, v2, 23, 8
	v_or_b32_e32 v82, 0x800000, v0
	s_delay_alu instid0(VALU_DEP_2) | instskip(SKIP_1) | instid1(VALU_DEP_2)
	v_sub_nc_u32_e32 v2, 0x71, v71
	v_cmp_gt_u32_e32 vcc_lo, 0x72, v71
	v_cndmask_b32_e32 v2, 0, v2, vcc_lo
	v_cmp_eq_u32_e32 vcc_lo, 0, v71
	s_delay_alu instid0(VALU_DEP_2) | instskip(NEXT) | instid1(VALU_DEP_1)
	v_cndmask_b32_e64 v81, v2, 0x70, vcc_lo
	v_dual_cndmask_b32 v0, v82, v0, vcc_lo :: v_dual_add_nc_u32 v2, 21, v81
	v_add_nc_u32_e32 v83, 20, v81
	s_delay_alu instid0(VALU_DEP_2) | instskip(NEXT) | instid1(VALU_DEP_2)
	v_lshlrev_b64_e64 v[2:3], v2, -1
	v_lshlrev_b64_e64 v[82:83], v83, 1
	s_delay_alu instid0(VALU_DEP_2) | instskip(SKIP_1) | instid1(VALU_DEP_4)
	v_bfi_b32 v2, v2, 0, v0
	v_lshrrev_b64 v[0:1], v81, v[0:1]
	v_bfi_b32 v3, v3, 0, 0
	s_delay_alu instid0(VALU_DEP_1) | instskip(NEXT) | instid1(VALU_DEP_3)
	v_cmp_eq_u64_e64 s10, v[2:3], v[82:83]
	v_mov_b64_e32 v[2:3], v[0:1]
	s_and_saveexec_b32 s28, s10
; %bb.1274:                             ;   in Loop: Header=BB6_130 Depth=2
	v_bfe_u32 v2, v0, 21, 1
	v_mov_b32_e32 v3, v5
	s_delay_alu instid0(VALU_DEP_1) | instskip(NEXT) | instid1(VALU_DEP_1)
	v_add_nc_u64_e32 v[2:3], v[0:1], v[2:3]
	v_add_nc_u64_e32 v[2:3], -1, v[2:3]
; %bb.1275:                             ;   in Loop: Header=BB6_130 Depth=2
	s_or_b32 exec_lo, exec_lo, s28
	v_add_nc_u32_e32 v1, 0xffffff81, v71
	v_lshrrev_b32_e32 v3, 23, v0
	s_mov_b32 s10, exec_lo
	s_delay_alu instid0(VALU_DEP_2) | instskip(NEXT) | instid1(VALU_DEP_1)
	v_cndmask_b32_e64 v1, v1, 0xffffff82, vcc_lo
	v_add3_u32 v3, v81, v1, v3
	v_and_b32_e32 v1, 0x1fffff, v2
                                        ; implicit-def: $vgpr2
	s_delay_alu instid0(VALU_DEP_1) | instskip(SKIP_1) | instid1(VALU_DEP_2)
	v_dual_add_nc_u32 v71, 14, v3 :: v_dual_add_nc_u32 v0, v1, v0
	v_mov_b32_e32 v1, v5
	v_cmpx_ne_u32_e32 0, v71
	s_xor_b32 s10, exec_lo, s10
; %bb.1276:                             ;   in Loop: Header=BB6_130 Depth=2
	s_delay_alu instid0(VALU_DEP_2) | instskip(SKIP_2) | instid1(VALU_DEP_2)
	v_cmp_lt_u64_e32 vcc_lo, 0xffffff, v[0:1]
	v_add_nc_u32_e32 v2, 15, v3
	v_cndmask_b32_e64 v3, 0, 1, vcc_lo
	v_cndmask_b32_e32 v2, v71, v2, vcc_lo
	s_delay_alu instid0(VALU_DEP_2)
	v_lshrrev_b64 v[0:1], v3, v[0:1]
; %bb.1277:                             ;   in Loop: Header=BB6_130 Depth=2
	s_and_not1_saveexec_b32 s10, s10
; %bb.1278:                             ;   in Loop: Header=BB6_130 Depth=2
	s_delay_alu instid0(VALU_DEP_1)
	v_bfe_u32 v2, v0, 23, 1
; %bb.1279:                             ;   in Loop: Header=BB6_130 Depth=2
	s_or_b32 exec_lo, exec_lo, s10
	s_delay_alu instid0(VALU_DEP_2) | instskip(NEXT) | instid1(VALU_DEP_2)
	v_lshrrev_b64 v[0:1], 21, v[0:1]
	v_cmp_gt_i32_e32 vcc_lo, 32, v2
	v_min_i32_e32 v3, 31, v2
	v_cmp_eq_u32_e64 s10, 0, v2
	s_delay_alu instid0(VALU_DEP_2) | instskip(SKIP_1) | instid1(VALU_DEP_2)
	v_dual_cndmask_b32 v1, 0, v1, vcc_lo :: v_dual_lshlrev_b32 v3, 2, v3
	v_cndmask_b32_e32 v0, 3, v0, vcc_lo
	v_and_b32_e32 v3, 0xfc, v3
	s_delay_alu instid0(VALU_DEP_2) | instskip(NEXT) | instid1(VALU_DEP_2)
	v_cmp_eq_u64_e32 vcc_lo, 0, v[0:1]
	v_and_or_b32 v0, v0, 3, v3
	s_and_b32 s10, s10, vcc_lo
	s_delay_alu instid0(VALU_DEP_1) | instid1(SALU_CYCLE_1)
	v_cndmask_b32_e64 v0, v0, 0, s10
	s_delay_alu instid0(VALU_DEP_1)
	v_or_b32_e32 v71, v0, v80
.LBB6_1280:                             ;   in Loop: Header=BB6_130 Depth=2
	s_or_b32 exec_lo, exec_lo, s27
                                        ; implicit-def: $vgpr80
.LBB6_1281:                             ;   in Loop: Header=BB6_130 Depth=2
	s_and_not1_saveexec_b32 s10, s26
; %bb.1282:                             ;   in Loop: Header=BB6_130 Depth=2
	v_or_b32_e32 v71, 0x7b, v80
; %bb.1283:                             ;   in Loop: Header=BB6_130 Depth=2
	s_or_b32 exec_lo, exec_lo, s10
                                        ; implicit-def: $vgpr2
                                        ; implicit-def: $vgpr0_vgpr1
                                        ; implicit-def: $vgpr3
.LBB6_1284:                             ;   in Loop: Header=BB6_130 Depth=2
	s_and_not1_saveexec_b32 s10, s25
	s_cbranch_execz .LBB6_1290
; %bb.1285:                             ;   in Loop: Header=BB6_130 Depth=2
	s_mov_b32 s25, exec_lo
                                        ; implicit-def: $vgpr71
	v_cmpx_ne_u64_e32 0, v[0:1]
	s_xor_b32 s25, exec_lo, s25
; %bb.1286:                             ;   in Loop: Header=BB6_130 Depth=2
	v_or_b32_e32 v71, 0x7f, v3
                                        ; implicit-def: $vgpr2
; %bb.1287:                             ;   in Loop: Header=BB6_130 Depth=2
	s_and_not1_saveexec_b32 s25, s25
; %bb.1288:                             ;   in Loop: Header=BB6_130 Depth=2
	v_cmp_lt_i32_e32 vcc_lo, -1, v2
	v_cndmask_b32_e32 v71, 0xfc, v108, vcc_lo
; %bb.1289:                             ;   in Loop: Header=BB6_130 Depth=2
	s_or_b32 exec_lo, exec_lo, s25
.LBB6_1290:                             ;   in Loop: Header=BB6_130 Depth=2
	s_delay_alu instid0(SALU_CYCLE_1) | instskip(SKIP_3) | instid1(VALU_DEP_2)
	s_or_b32 exec_lo, exec_lo, s10
	v_lshrrev_b16 v0, 8, v4
	v_dual_mov_b32 v2, 0 :: v_dual_mov_b32 v3, 0
	s_mov_b32 s10, exec_lo
	v_cmpx_ne_u16_e32 0, v0
	s_cbranch_execz .LBB6_1300
; %bb.1291:                             ;   in Loop: Header=BB6_130 Depth=2
	v_bfrev_b32_e32 v3, 1
	s_mov_b32 s25, exec_lo
	v_cmpx_ne_u16_e32 0x80, v0
	s_cbranch_execz .LBB6_1299
; %bb.1292:                             ;   in Loop: Header=BB6_130 Depth=2
	v_and_b32_e32 v80, 0xffff, v0
	s_delay_alu instid0(VALU_DEP_1) | instskip(SKIP_1) | instid1(VALU_DEP_2)
	v_and_b32_e32 v3, 0x7c, v80
	v_and_b32_e32 v1, 3, v80
	v_cmp_ne_u32_e32 vcc_lo, 0x7c, v3
                                        ; implicit-def: $vgpr3
	s_and_saveexec_b32 s26, vcc_lo
	s_delay_alu instid0(SALU_CYCLE_1)
	s_xor_b32 s26, exec_lo, s26
	s_cbranch_execz .LBB6_1296
; %bb.1293:                             ;   in Loop: Header=BB6_130 Depth=2
	v_bfe_u32 v3, v80, 2, 5
	s_mov_b32 s27, exec_lo
	s_delay_alu instid0(VALU_DEP_1)
	v_cmpx_eq_u32_e32 0, v3
	s_cbranch_execz .LBB6_1295
; %bb.1294:                             ;   in Loop: Header=BB6_130 Depth=2
	v_clz_i32_u32_e32 v1, v1
	s_delay_alu instid0(VALU_DEP_1) | instskip(SKIP_1) | instid1(VALU_DEP_2)
	v_min_u32_e32 v3, 32, v1
	v_mov_b32_e32 v1, v5
	v_subrev_nc_u32_e32 v80, 29, v3
	v_sub_nc_u32_e32 v3, 30, v3
	s_delay_alu instid0(VALU_DEP_2) | instskip(NEXT) | instid1(VALU_DEP_1)
	v_lshlrev_b64_e32 v[0:1], v80, v[0:1]
	v_and_b32_e32 v1, 3, v0
.LBB6_1295:                             ;   in Loop: Header=BB6_130 Depth=2
	s_or_b32 exec_lo, exec_lo, s27
	v_lshlrev_b32_e32 v0, 16, v4
	s_delay_alu instid0(VALU_DEP_1) | instskip(NEXT) | instid1(VALU_DEP_1)
	v_and_b32_e32 v0, 0x80000000, v0
	v_lshl_add_u32 v0, v3, 23, v0
	s_delay_alu instid0(VALU_DEP_1) | instskip(NEXT) | instid1(VALU_DEP_1)
	v_lshl_or_b32 v0, v1, 21, v0
                                        ; implicit-def: $vgpr1
	v_add_nc_u32_e32 v3, 0x38000000, v0
.LBB6_1296:                             ;   in Loop: Header=BB6_130 Depth=2
	s_and_not1_saveexec_b32 s26, s26
; %bb.1297:                             ;   in Loop: Header=BB6_130 Depth=2
	v_cmp_lt_i16_e32 vcc_lo, -1, v4
	v_cndmask_b32_e32 v0, 0xff800000, v109, vcc_lo
	v_cmp_eq_u32_e32 vcc_lo, 0, v1
	s_delay_alu instid0(VALU_DEP_2)
	v_cndmask_b32_e32 v3, 0x7f800001, v0, vcc_lo
; %bb.1298:                             ;   in Loop: Header=BB6_130 Depth=2
	s_or_b32 exec_lo, exec_lo, s26
.LBB6_1299:                             ;   in Loop: Header=BB6_130 Depth=2
	s_delay_alu instid0(SALU_CYCLE_1)
	s_or_b32 exec_lo, exec_lo, s25
.LBB6_1300:                             ;   in Loop: Header=BB6_130 Depth=2
	s_delay_alu instid0(SALU_CYCLE_1) | instskip(SKIP_2) | instid1(VALU_DEP_1)
	s_or_b32 exec_lo, exec_lo, s10
	v_lshrrev_b16 v0, 8, v29
	s_mov_b32 s10, exec_lo
	v_cmpx_ne_u16_e32 0, v0
	s_cbranch_execz .LBB6_1310
; %bb.1301:                             ;   in Loop: Header=BB6_130 Depth=2
	v_bfrev_b32_e32 v2, 1
	s_mov_b32 s25, exec_lo
	v_cmpx_ne_u16_e32 0x80, v0
	s_cbranch_execz .LBB6_1309
; %bb.1302:                             ;   in Loop: Header=BB6_130 Depth=2
	v_and_b32_e32 v4, 0xffff, v0
	s_delay_alu instid0(VALU_DEP_1) | instskip(SKIP_1) | instid1(VALU_DEP_2)
	v_and_b32_e32 v2, 0x7c, v4
	v_and_b32_e32 v1, 3, v4
	v_cmp_ne_u32_e32 vcc_lo, 0x7c, v2
                                        ; implicit-def: $vgpr2
	s_and_saveexec_b32 s26, vcc_lo
	s_delay_alu instid0(SALU_CYCLE_1)
	s_xor_b32 s26, exec_lo, s26
	s_cbranch_execz .LBB6_1306
; %bb.1303:                             ;   in Loop: Header=BB6_130 Depth=2
	v_bfe_u32 v2, v4, 2, 5
	s_mov_b32 s27, exec_lo
	s_delay_alu instid0(VALU_DEP_1)
	v_cmpx_eq_u32_e32 0, v2
	s_cbranch_execz .LBB6_1305
; %bb.1304:                             ;   in Loop: Header=BB6_130 Depth=2
	v_clz_i32_u32_e32 v1, v1
	s_delay_alu instid0(VALU_DEP_1) | instskip(SKIP_1) | instid1(VALU_DEP_2)
	v_min_u32_e32 v2, 32, v1
	v_mov_b32_e32 v1, v5
	v_subrev_nc_u32_e32 v4, 29, v2
	v_sub_nc_u32_e32 v2, 30, v2
	s_delay_alu instid0(VALU_DEP_2) | instskip(NEXT) | instid1(VALU_DEP_1)
	v_lshlrev_b64_e32 v[0:1], v4, v[0:1]
	v_and_b32_e32 v1, 3, v0
.LBB6_1305:                             ;   in Loop: Header=BB6_130 Depth=2
	s_or_b32 exec_lo, exec_lo, s27
	v_lshlrev_b32_e32 v0, 16, v29
	s_delay_alu instid0(VALU_DEP_1) | instskip(NEXT) | instid1(VALU_DEP_1)
	v_and_b32_e32 v0, 0x80000000, v0
	v_lshl_add_u32 v0, v2, 23, v0
	s_delay_alu instid0(VALU_DEP_1) | instskip(NEXT) | instid1(VALU_DEP_1)
	v_lshl_or_b32 v0, v1, 21, v0
                                        ; implicit-def: $vgpr1
	v_add_nc_u32_e32 v2, 0x38000000, v0
.LBB6_1306:                             ;   in Loop: Header=BB6_130 Depth=2
	s_and_not1_saveexec_b32 s26, s26
; %bb.1307:                             ;   in Loop: Header=BB6_130 Depth=2
	v_cmp_lt_i16_e32 vcc_lo, -1, v29
	v_cndmask_b32_e32 v0, 0xff800000, v109, vcc_lo
	v_cmp_eq_u32_e32 vcc_lo, 0, v1
	s_delay_alu instid0(VALU_DEP_2)
	v_cndmask_b32_e32 v2, 0x7f800001, v0, vcc_lo
; %bb.1308:                             ;   in Loop: Header=BB6_130 Depth=2
	s_or_b32 exec_lo, exec_lo, s26
.LBB6_1309:                             ;   in Loop: Header=BB6_130 Depth=2
	s_delay_alu instid0(SALU_CYCLE_1)
	s_or_b32 exec_lo, exec_lo, s25
.LBB6_1310:                             ;   in Loop: Header=BB6_130 Depth=2
	s_delay_alu instid0(SALU_CYCLE_1) | instskip(NEXT) | instid1(VALU_DEP_1)
	s_or_b32 exec_lo, exec_lo, s10
	v_dual_mul_f32 v0, v3, v2 :: v_dual_mov_b32 v3, v5
                                        ; implicit-def: $vgpr80
	s_mov_b32 s10, exec_lo
	s_delay_alu instid0(VALU_DEP_1) | instskip(SKIP_2) | instid1(VALU_DEP_3)
	v_and_b32_e32 v2, 0x7f800000, v0
	v_and_b32_e32 v4, 0x7fffff, v0
	v_lshrrev_b32_e32 v1, 24, v0
	v_cmpx_ne_u64_e32 0x7f800000, v[2:3]
	s_xor_b32 s25, exec_lo, s10
	s_cbranch_execz .LBB6_1324
; %bb.1311:                             ;   in Loop: Header=BB6_130 Depth=2
	v_and_b32_e32 v2, 0x7fffffff, v0
	v_mov_b32_e32 v3, v5
	v_and_b32_e32 v81, 0x80, v1
                                        ; implicit-def: $vgpr80
	s_mov_b32 s10, exec_lo
	s_delay_alu instid0(VALU_DEP_2)
	v_cmpx_gt_u64_e32 0x47600001, v[2:3]
	s_xor_b32 s26, exec_lo, s10
	s_cbranch_execz .LBB6_1321
; %bb.1312:                             ;   in Loop: Header=BB6_130 Depth=2
	v_mov_b32_e32 v80, 0
	s_mov_b32 s27, exec_lo
	v_cmpx_ne_u32_e32 0, v0
	s_cbranch_execz .LBB6_1320
; %bb.1313:                             ;   in Loop: Header=BB6_130 Depth=2
	v_bfe_u32 v80, v0, 23, 8
	v_or_b32_e32 v2, 0x800000, v4
	s_mov_b32 s28, exec_lo
	s_delay_alu instid0(VALU_DEP_2) | instskip(SKIP_1) | instid1(VALU_DEP_2)
	v_dual_mov_b32 v3, v5 :: v_dual_sub_nc_u32 v0, 0x71, v80
	v_cmp_gt_u32_e32 vcc_lo, 0x72, v80
	v_cndmask_b32_e32 v0, 0, v0, vcc_lo
	v_cmp_eq_u32_e32 vcc_lo, 0, v80
	s_delay_alu instid0(VALU_DEP_2) | instskip(NEXT) | instid1(VALU_DEP_1)
	v_cndmask_b32_e64 v82, v0, 0x70, vcc_lo
	v_dual_cndmask_b32 v2, v2, v4, vcc_lo :: v_dual_add_nc_u32 v0, 21, v82
	v_add_nc_u32_e32 v83, 20, v82
	s_delay_alu instid0(VALU_DEP_2) | instskip(NEXT) | instid1(VALU_DEP_2)
	v_lshlrev_b64_e64 v[0:1], v0, -1
	v_lshlrev_b64_e64 v[84:85], v83, 1
	s_delay_alu instid0(VALU_DEP_2) | instskip(NEXT) | instid1(VALU_DEP_3)
	v_bfi_b32 v87, v1, 0, 0
	v_bfi_b32 v86, v0, 0, v2
	v_lshrrev_b64 v[0:1], v82, v[2:3]
	s_delay_alu instid0(VALU_DEP_1) | instskip(NEXT) | instid1(VALU_DEP_3)
	v_mov_b64_e32 v[2:3], v[0:1]
	v_cmpx_eq_u64_e64 v[86:87], v[84:85]
; %bb.1314:                             ;   in Loop: Header=BB6_130 Depth=2
	v_bfe_u32 v2, v0, 21, 1
	v_mov_b32_e32 v3, v5
	s_delay_alu instid0(VALU_DEP_1) | instskip(NEXT) | instid1(VALU_DEP_1)
	v_add_nc_u64_e32 v[2:3], v[0:1], v[2:3]
	v_add_nc_u64_e32 v[2:3], -1, v[2:3]
; %bb.1315:                             ;   in Loop: Header=BB6_130 Depth=2
	s_or_b32 exec_lo, exec_lo, s28
	v_add_nc_u32_e32 v1, 0xffffff81, v80
	v_lshrrev_b32_e32 v3, 23, v0
	s_mov_b32 s10, exec_lo
	s_delay_alu instid0(VALU_DEP_2) | instskip(NEXT) | instid1(VALU_DEP_1)
	v_cndmask_b32_e64 v1, v1, 0xffffff82, vcc_lo
	v_add3_u32 v3, v82, v1, v3
	v_and_b32_e32 v1, 0x1fffff, v2
                                        ; implicit-def: $vgpr2
	s_delay_alu instid0(VALU_DEP_1) | instskip(NEXT) | instid1(VALU_DEP_1)
	v_dual_add_nc_u32 v80, 14, v3 :: v_dual_add_nc_u32 v4, v1, v0
                                        ; implicit-def: $vgpr0_vgpr1
	v_cmpx_ne_u32_e32 0, v80
	s_xor_b32 s10, exec_lo, s10
; %bb.1316:                             ;   in Loop: Header=BB6_130 Depth=2
	s_delay_alu instid0(VALU_DEP_2) | instskip(SKIP_1) | instid1(VALU_DEP_1)
	v_cmp_lt_u64_e32 vcc_lo, 0xffffff, v[4:5]
	v_add_nc_u32_e32 v0, 15, v3
	v_cndmask_b32_e32 v2, v80, v0, vcc_lo
	v_cndmask_b32_e64 v0, 0, 1, vcc_lo
	s_delay_alu instid0(VALU_DEP_1)
	v_lshrrev_b64 v[0:1], v0, v[4:5]
; %bb.1317:                             ;   in Loop: Header=BB6_130 Depth=2
	s_and_not1_saveexec_b32 s10, s10
; %bb.1318:                             ;   in Loop: Header=BB6_130 Depth=2
	v_mov_b64_e32 v[0:1], v[4:5]
	v_bfe_u32 v2, v4, 23, 1
; %bb.1319:                             ;   in Loop: Header=BB6_130 Depth=2
	s_or_b32 exec_lo, exec_lo, s10
	s_delay_alu instid0(VALU_DEP_2) | instskip(NEXT) | instid1(VALU_DEP_2)
	v_lshrrev_b64 v[0:1], 21, v[0:1]
	v_cmp_gt_i32_e32 vcc_lo, 32, v2
	v_min_i32_e32 v3, 31, v2
	v_cmp_eq_u32_e64 s10, 0, v2
	s_delay_alu instid0(VALU_DEP_2) | instskip(SKIP_1) | instid1(VALU_DEP_2)
	v_dual_cndmask_b32 v1, 0, v1, vcc_lo :: v_dual_lshlrev_b32 v3, 2, v3
	v_cndmask_b32_e32 v0, 3, v0, vcc_lo
	v_and_b32_e32 v3, 0xfc, v3
	s_delay_alu instid0(VALU_DEP_2) | instskip(NEXT) | instid1(VALU_DEP_2)
	v_cmp_eq_u64_e32 vcc_lo, 0, v[0:1]
	v_and_or_b32 v0, v0, 3, v3
	s_and_b32 s10, s10, vcc_lo
	s_delay_alu instid0(VALU_DEP_1) | instid1(SALU_CYCLE_1)
	v_cndmask_b32_e64 v0, v0, 0, s10
	s_delay_alu instid0(VALU_DEP_1)
	v_or_b32_e32 v80, v0, v81
.LBB6_1320:                             ;   in Loop: Header=BB6_130 Depth=2
	s_or_b32 exec_lo, exec_lo, s27
                                        ; implicit-def: $vgpr81
.LBB6_1321:                             ;   in Loop: Header=BB6_130 Depth=2
	s_and_not1_saveexec_b32 s10, s26
; %bb.1322:                             ;   in Loop: Header=BB6_130 Depth=2
	v_or_b32_e32 v80, 0x7b, v81
; %bb.1323:                             ;   in Loop: Header=BB6_130 Depth=2
	s_or_b32 exec_lo, exec_lo, s10
                                        ; implicit-def: $vgpr0
                                        ; implicit-def: $vgpr1
.LBB6_1324:                             ;   in Loop: Header=BB6_130 Depth=2
	s_and_not1_saveexec_b32 s10, s25
	s_cbranch_execz .LBB6_1330
; %bb.1325:                             ;   in Loop: Header=BB6_130 Depth=2
	s_mov_b32 s25, exec_lo
                                        ; implicit-def: $vgpr80
	v_cmpx_ne_u64_e32 0, v[4:5]
	s_xor_b32 s25, exec_lo, s25
; %bb.1326:                             ;   in Loop: Header=BB6_130 Depth=2
	v_or_b32_e32 v80, 0x7f, v1
                                        ; implicit-def: $vgpr0
; %bb.1327:                             ;   in Loop: Header=BB6_130 Depth=2
	s_and_not1_saveexec_b32 s25, s25
; %bb.1328:                             ;   in Loop: Header=BB6_130 Depth=2
	v_cmp_lt_i32_e32 vcc_lo, -1, v0
	v_cndmask_b32_e32 v80, 0xfc, v108, vcc_lo
; %bb.1329:                             ;   in Loop: Header=BB6_130 Depth=2
	s_or_b32 exec_lo, exec_lo, s25
.LBB6_1330:                             ;   in Loop: Header=BB6_130 Depth=2
	s_delay_alu instid0(SALU_CYCLE_1) | instskip(SKIP_3) | instid1(VALU_DEP_2)
	s_or_b32 exec_lo, exec_lo, s10
	v_dual_mov_b32 v1, 0 :: v_dual_lshrrev_b32 v0, 16, v35
	v_mov_b32_e32 v2, 0
	s_mov_b32 s10, exec_lo
	v_and_b32_e32 v3, 0xff, v0
	s_delay_alu instid0(VALU_DEP_1)
	v_cmpx_ne_u16_e32 0, v3
	s_cbranch_execz .LBB6_1340
; %bb.1331:                             ;   in Loop: Header=BB6_130 Depth=2
	v_bfrev_b32_e32 v2, 1
	s_mov_b32 s25, exec_lo
	v_cmpx_ne_u16_e32 0x80, v3
	s_cbranch_execz .LBB6_1339
; %bb.1332:                             ;   in Loop: Header=BB6_130 Depth=2
	v_and_b32_e32 v2, 0x7c0000, v35
	v_bfe_u32 v3, v35, 16, 2
	s_delay_alu instid0(VALU_DEP_2) | instskip(SKIP_1) | instid1(SALU_CYCLE_1)
	v_cmp_ne_u32_e32 vcc_lo, 0x7c0000, v2
                                        ; implicit-def: $vgpr2
	s_and_saveexec_b32 s26, vcc_lo
	s_xor_b32 s26, exec_lo, s26
	s_cbranch_execz .LBB6_1336
; %bb.1333:                             ;   in Loop: Header=BB6_130 Depth=2
	v_bfe_u32 v2, v35, 18, 5
	s_mov_b32 s27, exec_lo
	s_delay_alu instid0(VALU_DEP_1)
	v_cmpx_eq_u32_e32 0, v2
; %bb.1334:                             ;   in Loop: Header=BB6_130 Depth=2
	v_clz_i32_u32_e32 v2, v3
	s_delay_alu instid0(VALU_DEP_1) | instskip(NEXT) | instid1(VALU_DEP_1)
	v_min_u32_e32 v2, 32, v2
	v_subrev_nc_u32_e32 v3, 29, v2
	v_sub_nc_u32_e32 v2, 30, v2
	s_delay_alu instid0(VALU_DEP_2) | instskip(NEXT) | instid1(VALU_DEP_1)
	v_lshlrev_b64_e32 v[82:83], v3, v[0:1]
	v_and_b32_e32 v3, 3, v82
; %bb.1335:                             ;   in Loop: Header=BB6_130 Depth=2
	s_or_b32 exec_lo, exec_lo, s27
	v_lshlrev_b32_e32 v0, 24, v0
	s_delay_alu instid0(VALU_DEP_1) | instskip(NEXT) | instid1(VALU_DEP_1)
	v_and_b32_e32 v0, 0x80000000, v0
	v_lshl_add_u32 v0, v2, 23, v0
	s_delay_alu instid0(VALU_DEP_1) | instskip(NEXT) | instid1(VALU_DEP_1)
	v_lshl_or_b32 v0, v3, 21, v0
                                        ; implicit-def: $vgpr3
	v_add_nc_u32_e32 v2, 0x38000000, v0
                                        ; implicit-def: $vgpr0
.LBB6_1336:                             ;   in Loop: Header=BB6_130 Depth=2
	s_and_not1_saveexec_b32 s26, s26
; %bb.1337:                             ;   in Loop: Header=BB6_130 Depth=2
	v_bfe_i32 v0, v0, 0, 8
	s_delay_alu instid0(VALU_DEP_1) | instskip(SKIP_2) | instid1(VALU_DEP_2)
	v_cmp_lt_i16_e32 vcc_lo, -1, v0
	v_cndmask_b32_e32 v0, 0xff800000, v109, vcc_lo
	v_cmp_eq_u32_e32 vcc_lo, 0, v3
	v_cndmask_b32_e32 v2, 0x7f800001, v0, vcc_lo
; %bb.1338:                             ;   in Loop: Header=BB6_130 Depth=2
	s_or_b32 exec_lo, exec_lo, s26
.LBB6_1339:                             ;   in Loop: Header=BB6_130 Depth=2
	s_delay_alu instid0(SALU_CYCLE_1)
	s_or_b32 exec_lo, exec_lo, s25
.LBB6_1340:                             ;   in Loop: Header=BB6_130 Depth=2
	s_delay_alu instid0(SALU_CYCLE_1) | instskip(SKIP_2) | instid1(VALU_DEP_1)
	s_or_b32 exec_lo, exec_lo, s10
	v_lshrrev_b32_e32 v0, 16, v29
	s_mov_b32 s10, exec_lo
	v_and_b32_e32 v3, 0xff, v0
	s_delay_alu instid0(VALU_DEP_1)
	v_cmpx_ne_u16_e32 0, v3
	s_cbranch_execz .LBB6_1350
; %bb.1341:                             ;   in Loop: Header=BB6_130 Depth=2
	v_bfrev_b32_e32 v1, 1
	s_mov_b32 s25, exec_lo
	v_cmpx_ne_u16_e32 0x80, v3
	s_cbranch_execz .LBB6_1349
; %bb.1342:                             ;   in Loop: Header=BB6_130 Depth=2
	v_and_b32_e32 v1, 0x7c0000, v29
	v_bfe_u32 v3, v29, 16, 2
	s_delay_alu instid0(VALU_DEP_2) | instskip(SKIP_1) | instid1(SALU_CYCLE_1)
	v_cmp_ne_u32_e32 vcc_lo, 0x7c0000, v1
                                        ; implicit-def: $vgpr1
	s_and_saveexec_b32 s26, vcc_lo
	s_xor_b32 s26, exec_lo, s26
	s_cbranch_execz .LBB6_1346
; %bb.1343:                             ;   in Loop: Header=BB6_130 Depth=2
	v_bfe_u32 v1, v29, 18, 5
	s_mov_b32 s27, exec_lo
	s_delay_alu instid0(VALU_DEP_1)
	v_cmpx_eq_u32_e32 0, v1
; %bb.1344:                             ;   in Loop: Header=BB6_130 Depth=2
	v_clz_i32_u32_e32 v1, v3
	s_delay_alu instid0(VALU_DEP_1) | instskip(NEXT) | instid1(VALU_DEP_1)
	v_min_u32_e32 v1, 32, v1
	v_subrev_nc_u32_e32 v3, 29, v1
	s_delay_alu instid0(VALU_DEP_1) | instskip(NEXT) | instid1(VALU_DEP_1)
	v_lshlrev_b64_e32 v[82:83], v3, v[0:1]
	v_dual_sub_nc_u32 v1, 30, v1 :: v_dual_bitop2_b32 v3, 3, v82 bitop3:0x40
; %bb.1345:                             ;   in Loop: Header=BB6_130 Depth=2
	s_or_b32 exec_lo, exec_lo, s27
	v_lshlrev_b32_e32 v0, 24, v0
	s_delay_alu instid0(VALU_DEP_1) | instskip(NEXT) | instid1(VALU_DEP_1)
	v_and_b32_e32 v0, 0x80000000, v0
	v_lshl_add_u32 v0, v1, 23, v0
	s_delay_alu instid0(VALU_DEP_1) | instskip(NEXT) | instid1(VALU_DEP_1)
	v_lshl_or_b32 v0, v3, 21, v0
                                        ; implicit-def: $vgpr3
	v_add_nc_u32_e32 v1, 0x38000000, v0
                                        ; implicit-def: $vgpr0
.LBB6_1346:                             ;   in Loop: Header=BB6_130 Depth=2
	s_and_not1_saveexec_b32 s26, s26
; %bb.1347:                             ;   in Loop: Header=BB6_130 Depth=2
	v_bfe_i32 v0, v0, 0, 8
	s_delay_alu instid0(VALU_DEP_1) | instskip(SKIP_2) | instid1(VALU_DEP_2)
	v_cmp_lt_i16_e32 vcc_lo, -1, v0
	v_cndmask_b32_e32 v0, 0xff800000, v109, vcc_lo
	v_cmp_eq_u32_e32 vcc_lo, 0, v3
	v_cndmask_b32_e32 v1, 0x7f800001, v0, vcc_lo
; %bb.1348:                             ;   in Loop: Header=BB6_130 Depth=2
	s_or_b32 exec_lo, exec_lo, s26
.LBB6_1349:                             ;   in Loop: Header=BB6_130 Depth=2
	s_delay_alu instid0(SALU_CYCLE_1)
	s_or_b32 exec_lo, exec_lo, s25
.LBB6_1350:                             ;   in Loop: Header=BB6_130 Depth=2
	s_delay_alu instid0(SALU_CYCLE_1) | instskip(NEXT) | instid1(VALU_DEP_1)
	s_or_b32 exec_lo, exec_lo, s10
	v_dual_mul_f32 v0, v2, v1 :: v_dual_mov_b32 v3, v5
                                        ; implicit-def: $vgpr81
	s_mov_b32 s10, exec_lo
	s_delay_alu instid0(VALU_DEP_1) | instskip(SKIP_2) | instid1(VALU_DEP_3)
	v_and_b32_e32 v2, 0x7f800000, v0
	v_and_b32_e32 v4, 0x7fffff, v0
	v_lshrrev_b32_e32 v1, 24, v0
	v_cmpx_ne_u64_e32 0x7f800000, v[2:3]
	s_xor_b32 s25, exec_lo, s10
	s_cbranch_execz .LBB6_1364
; %bb.1351:                             ;   in Loop: Header=BB6_130 Depth=2
	v_and_b32_e32 v2, 0x7fffffff, v0
	v_mov_b32_e32 v3, v5
	v_and_b32_e32 v82, 0x80, v1
                                        ; implicit-def: $vgpr81
	s_mov_b32 s10, exec_lo
	s_delay_alu instid0(VALU_DEP_2)
	v_cmpx_gt_u64_e32 0x47600001, v[2:3]
	s_xor_b32 s26, exec_lo, s10
	s_cbranch_execz .LBB6_1361
; %bb.1352:                             ;   in Loop: Header=BB6_130 Depth=2
	v_mov_b32_e32 v81, 0
	s_mov_b32 s27, exec_lo
	v_cmpx_ne_u32_e32 0, v0
	s_cbranch_execz .LBB6_1360
; %bb.1353:                             ;   in Loop: Header=BB6_130 Depth=2
	v_bfe_u32 v81, v0, 23, 8
	v_or_b32_e32 v1, 0x800000, v4
	s_delay_alu instid0(VALU_DEP_2) | instskip(SKIP_2) | instid1(VALU_DEP_2)
	v_cmp_gt_u32_e64 s10, 0x72, v81
	v_sub_nc_u32_e32 v0, 0x71, v81
	v_cmp_eq_u32_e32 vcc_lo, 0, v81
	v_cndmask_b32_e64 v0, 0, v0, s10
	s_delay_alu instid0(VALU_DEP_1) | instskip(SKIP_1) | instid1(VALU_DEP_2)
	v_cndmask_b32_e64 v83, v0, 0x70, vcc_lo
	v_cndmask_b32_e32 v0, v1, v4, vcc_lo
	v_dual_mov_b32 v1, v5 :: v_dual_add_nc_u32 v2, 21, v83
	v_add_nc_u32_e32 v4, 20, v83
	s_delay_alu instid0(VALU_DEP_2) | instskip(NEXT) | instid1(VALU_DEP_2)
	v_lshlrev_b64_e64 v[2:3], v2, -1
	v_lshlrev_b64_e64 v[84:85], v4, 1
	s_delay_alu instid0(VALU_DEP_2) | instskip(SKIP_1) | instid1(VALU_DEP_4)
	v_bfi_b32 v2, v2, 0, v0
	v_lshrrev_b64 v[0:1], v83, v[0:1]
	v_bfi_b32 v3, v3, 0, 0
	s_delay_alu instid0(VALU_DEP_1) | instskip(NEXT) | instid1(VALU_DEP_3)
	v_cmp_eq_u64_e64 s10, v[2:3], v[84:85]
	v_mov_b64_e32 v[2:3], v[0:1]
	s_and_saveexec_b32 s28, s10
; %bb.1354:                             ;   in Loop: Header=BB6_130 Depth=2
	v_bfe_u32 v2, v0, 21, 1
	v_mov_b32_e32 v3, v5
	s_delay_alu instid0(VALU_DEP_1) | instskip(NEXT) | instid1(VALU_DEP_1)
	v_add_nc_u64_e32 v[2:3], v[0:1], v[2:3]
	v_add_nc_u64_e32 v[2:3], -1, v[2:3]
; %bb.1355:                             ;   in Loop: Header=BB6_130 Depth=2
	s_or_b32 exec_lo, exec_lo, s28
	v_add_nc_u32_e32 v1, 0xffffff81, v81
	v_lshrrev_b32_e32 v3, 23, v0
	s_mov_b32 s10, exec_lo
	s_delay_alu instid0(VALU_DEP_2) | instskip(NEXT) | instid1(VALU_DEP_1)
	v_cndmask_b32_e64 v1, v1, 0xffffff82, vcc_lo
	v_add3_u32 v3, v83, v1, v3
	v_and_b32_e32 v1, 0x1fffff, v2
                                        ; implicit-def: $vgpr2
	s_delay_alu instid0(VALU_DEP_1) | instskip(NEXT) | instid1(VALU_DEP_1)
	v_dual_add_nc_u32 v81, 14, v3 :: v_dual_add_nc_u32 v4, v1, v0
                                        ; implicit-def: $vgpr0_vgpr1
	v_cmpx_ne_u32_e32 0, v81
	s_xor_b32 s10, exec_lo, s10
; %bb.1356:                             ;   in Loop: Header=BB6_130 Depth=2
	s_delay_alu instid0(VALU_DEP_2) | instskip(SKIP_1) | instid1(VALU_DEP_1)
	v_cmp_lt_u64_e32 vcc_lo, 0xffffff, v[4:5]
	v_add_nc_u32_e32 v0, 15, v3
	v_cndmask_b32_e32 v2, v81, v0, vcc_lo
	v_cndmask_b32_e64 v0, 0, 1, vcc_lo
	s_delay_alu instid0(VALU_DEP_1)
	v_lshrrev_b64 v[0:1], v0, v[4:5]
; %bb.1357:                             ;   in Loop: Header=BB6_130 Depth=2
	s_and_not1_saveexec_b32 s10, s10
; %bb.1358:                             ;   in Loop: Header=BB6_130 Depth=2
	v_mov_b64_e32 v[0:1], v[4:5]
	v_bfe_u32 v2, v4, 23, 1
; %bb.1359:                             ;   in Loop: Header=BB6_130 Depth=2
	s_or_b32 exec_lo, exec_lo, s10
	s_delay_alu instid0(VALU_DEP_2) | instskip(NEXT) | instid1(VALU_DEP_2)
	v_lshrrev_b64 v[0:1], 21, v[0:1]
	v_cmp_gt_i32_e32 vcc_lo, 32, v2
	v_min_i32_e32 v3, 31, v2
	v_cmp_eq_u32_e64 s10, 0, v2
	s_delay_alu instid0(VALU_DEP_2) | instskip(SKIP_1) | instid1(VALU_DEP_2)
	v_dual_cndmask_b32 v1, 0, v1, vcc_lo :: v_dual_lshlrev_b32 v3, 2, v3
	v_cndmask_b32_e32 v0, 3, v0, vcc_lo
	v_and_b32_e32 v3, 0xfc, v3
	s_delay_alu instid0(VALU_DEP_2) | instskip(NEXT) | instid1(VALU_DEP_2)
	v_cmp_eq_u64_e32 vcc_lo, 0, v[0:1]
	v_and_or_b32 v0, v0, 3, v3
	s_and_b32 s10, s10, vcc_lo
	s_delay_alu instid0(VALU_DEP_1) | instid1(SALU_CYCLE_1)
	v_cndmask_b32_e64 v0, v0, 0, s10
	s_delay_alu instid0(VALU_DEP_1)
	v_or_b32_e32 v81, v0, v82
.LBB6_1360:                             ;   in Loop: Header=BB6_130 Depth=2
	s_or_b32 exec_lo, exec_lo, s27
                                        ; implicit-def: $vgpr82
.LBB6_1361:                             ;   in Loop: Header=BB6_130 Depth=2
	s_and_not1_saveexec_b32 s10, s26
; %bb.1362:                             ;   in Loop: Header=BB6_130 Depth=2
	v_or_b32_e32 v81, 0x7b, v82
; %bb.1363:                             ;   in Loop: Header=BB6_130 Depth=2
	s_or_b32 exec_lo, exec_lo, s10
                                        ; implicit-def: $vgpr0
                                        ; implicit-def: $vgpr1
.LBB6_1364:                             ;   in Loop: Header=BB6_130 Depth=2
	s_and_not1_saveexec_b32 s10, s25
	s_cbranch_execz .LBB6_1370
; %bb.1365:                             ;   in Loop: Header=BB6_130 Depth=2
	s_mov_b32 s25, exec_lo
                                        ; implicit-def: $vgpr81
	v_cmpx_ne_u64_e32 0, v[4:5]
	s_xor_b32 s25, exec_lo, s25
; %bb.1366:                             ;   in Loop: Header=BB6_130 Depth=2
	v_or_b32_e32 v81, 0x7f, v1
                                        ; implicit-def: $vgpr0
; %bb.1367:                             ;   in Loop: Header=BB6_130 Depth=2
	s_and_not1_saveexec_b32 s25, s25
; %bb.1368:                             ;   in Loop: Header=BB6_130 Depth=2
	v_cmp_lt_i32_e32 vcc_lo, -1, v0
	v_cndmask_b32_e32 v81, 0xfc, v108, vcc_lo
; %bb.1369:                             ;   in Loop: Header=BB6_130 Depth=2
	s_or_b32 exec_lo, exec_lo, s25
.LBB6_1370:                             ;   in Loop: Header=BB6_130 Depth=2
	s_delay_alu instid0(SALU_CYCLE_1)
	s_or_b32 exec_lo, exec_lo, s10
	v_dual_mov_b32 v1, 0 :: v_dual_mov_b32 v2, 0
	s_mov_b32 s10, exec_lo
	v_cmpx_lt_u64_e64 s[12:13], v[34:35]
	s_cbranch_execz .LBB6_1380
; %bb.1371:                             ;   in Loop: Header=BB6_130 Depth=2
	v_lshrrev_b32_e32 v0, 24, v35
	v_bfrev_b32_e32 v2, 1
	s_mov_b32 s25, exec_lo
	s_delay_alu instid0(VALU_DEP_2)
	v_cmpx_ne_u32_e32 0x80, v0
	s_cbranch_execz .LBB6_1379
; %bb.1372:                             ;   in Loop: Header=BB6_130 Depth=2
	v_and_b32_e32 v2, 0x7c000000, v35
	v_bfe_u32 v3, v35, 24, 2
	s_delay_alu instid0(VALU_DEP_2) | instskip(SKIP_1) | instid1(SALU_CYCLE_1)
	v_cmp_ne_u32_e32 vcc_lo, 0x7c000000, v2
                                        ; implicit-def: $vgpr2
	s_and_saveexec_b32 s26, vcc_lo
	s_xor_b32 s26, exec_lo, s26
	s_cbranch_execz .LBB6_1376
; %bb.1373:                             ;   in Loop: Header=BB6_130 Depth=2
	v_bfe_u32 v2, v35, 26, 5
	s_mov_b32 s27, exec_lo
	s_delay_alu instid0(VALU_DEP_1)
	v_cmpx_eq_u32_e32 0, v2
; %bb.1374:                             ;   in Loop: Header=BB6_130 Depth=2
	v_clz_i32_u32_e32 v2, v3
	s_delay_alu instid0(VALU_DEP_1) | instskip(NEXT) | instid1(VALU_DEP_1)
	v_min_u32_e32 v2, 32, v2
	v_subrev_nc_u32_e32 v3, 29, v2
	v_sub_nc_u32_e32 v2, 30, v2
	s_delay_alu instid0(VALU_DEP_2) | instskip(NEXT) | instid1(VALU_DEP_1)
	v_lshlrev_b64_e32 v[82:83], v3, v[0:1]
	v_and_b32_e32 v3, 3, v82
; %bb.1375:                             ;   in Loop: Header=BB6_130 Depth=2
	s_or_b32 exec_lo, exec_lo, s27
	v_and_b32_e32 v0, 0x80000000, v35
                                        ; implicit-def: $vgpr34_vgpr35
	s_delay_alu instid0(VALU_DEP_1) | instskip(NEXT) | instid1(VALU_DEP_1)
	v_lshl_add_u32 v0, v2, 23, v0
	v_lshl_or_b32 v0, v3, 21, v0
                                        ; implicit-def: $vgpr3
	s_delay_alu instid0(VALU_DEP_1)
	v_add_nc_u32_e32 v2, 0x38000000, v0
.LBB6_1376:                             ;   in Loop: Header=BB6_130 Depth=2
	s_and_not1_saveexec_b32 s26, s26
; %bb.1377:                             ;   in Loop: Header=BB6_130 Depth=2
	v_cmp_lt_i64_e32 vcc_lo, -1, v[34:35]
	v_cndmask_b32_e32 v0, 0xff800000, v109, vcc_lo
	v_cmp_eq_u32_e32 vcc_lo, 0, v3
	s_delay_alu instid0(VALU_DEP_2)
	v_cndmask_b32_e32 v2, 0x7f800001, v0, vcc_lo
; %bb.1378:                             ;   in Loop: Header=BB6_130 Depth=2
	s_or_b32 exec_lo, exec_lo, s26
.LBB6_1379:                             ;   in Loop: Header=BB6_130 Depth=2
	s_delay_alu instid0(SALU_CYCLE_1)
	s_or_b32 exec_lo, exec_lo, s25
.LBB6_1380:                             ;   in Loop: Header=BB6_130 Depth=2
	s_delay_alu instid0(SALU_CYCLE_1) | instskip(NEXT) | instid1(SALU_CYCLE_1)
	s_or_b32 exec_lo, exec_lo, s10
	s_mov_b32 s10, exec_lo
	v_cmpx_lt_u64_e64 s[12:13], v[28:29]
	s_cbranch_execz .LBB6_1390
; %bb.1381:                             ;   in Loop: Header=BB6_130 Depth=2
	v_lshrrev_b32_e32 v0, 24, v29
	v_bfrev_b32_e32 v1, 1
	s_mov_b32 s25, exec_lo
	s_delay_alu instid0(VALU_DEP_2)
	v_cmpx_ne_u32_e32 0x80, v0
	s_cbranch_execz .LBB6_1389
; %bb.1382:                             ;   in Loop: Header=BB6_130 Depth=2
	v_and_b32_e32 v1, 0x7c000000, v29
	v_bfe_u32 v3, v29, 24, 2
	s_delay_alu instid0(VALU_DEP_2) | instskip(SKIP_1) | instid1(SALU_CYCLE_1)
	v_cmp_ne_u32_e32 vcc_lo, 0x7c000000, v1
                                        ; implicit-def: $vgpr1
	s_and_saveexec_b32 s26, vcc_lo
	s_xor_b32 s26, exec_lo, s26
	s_cbranch_execz .LBB6_1386
; %bb.1383:                             ;   in Loop: Header=BB6_130 Depth=2
	v_bfe_u32 v1, v29, 26, 5
	s_mov_b32 s27, exec_lo
	s_delay_alu instid0(VALU_DEP_1)
	v_cmpx_eq_u32_e32 0, v1
; %bb.1384:                             ;   in Loop: Header=BB6_130 Depth=2
	v_clz_i32_u32_e32 v1, v3
	s_delay_alu instid0(VALU_DEP_1) | instskip(NEXT) | instid1(VALU_DEP_1)
	v_min_u32_e32 v3, 32, v1
	v_subrev_nc_u32_e32 v1, 29, v3
	s_delay_alu instid0(VALU_DEP_1) | instskip(NEXT) | instid1(VALU_DEP_1)
	v_lshlrev_b64_e32 v[0:1], v1, v[0:1]
	v_dual_sub_nc_u32 v1, 30, v3 :: v_dual_bitop2_b32 v3, 3, v0 bitop3:0x40
; %bb.1385:                             ;   in Loop: Header=BB6_130 Depth=2
	s_or_b32 exec_lo, exec_lo, s27
	v_and_b32_e32 v0, 0x80000000, v29
                                        ; implicit-def: $vgpr28_vgpr29
	s_delay_alu instid0(VALU_DEP_1) | instskip(NEXT) | instid1(VALU_DEP_1)
	v_lshl_add_u32 v0, v1, 23, v0
	v_lshl_or_b32 v0, v3, 21, v0
                                        ; implicit-def: $vgpr3
	s_delay_alu instid0(VALU_DEP_1)
	v_add_nc_u32_e32 v1, 0x38000000, v0
.LBB6_1386:                             ;   in Loop: Header=BB6_130 Depth=2
	s_and_not1_saveexec_b32 s26, s26
; %bb.1387:                             ;   in Loop: Header=BB6_130 Depth=2
	v_cmp_lt_i64_e32 vcc_lo, -1, v[28:29]
	v_cndmask_b32_e32 v0, 0xff800000, v109, vcc_lo
	v_cmp_eq_u32_e32 vcc_lo, 0, v3
	s_delay_alu instid0(VALU_DEP_2)
	v_cndmask_b32_e32 v1, 0x7f800001, v0, vcc_lo
; %bb.1388:                             ;   in Loop: Header=BB6_130 Depth=2
	s_or_b32 exec_lo, exec_lo, s26
.LBB6_1389:                             ;   in Loop: Header=BB6_130 Depth=2
	s_delay_alu instid0(SALU_CYCLE_1)
	s_or_b32 exec_lo, exec_lo, s25
.LBB6_1390:                             ;   in Loop: Header=BB6_130 Depth=2
	s_delay_alu instid0(SALU_CYCLE_1) | instskip(NEXT) | instid1(VALU_DEP_1)
	s_or_b32 exec_lo, exec_lo, s10
	v_dual_mul_f32 v0, v2, v1 :: v_dual_mov_b32 v3, v5
                                        ; implicit-def: $vgpr28
	s_mov_b32 s10, exec_lo
	s_delay_alu instid0(VALU_DEP_1) | instskip(SKIP_2) | instid1(VALU_DEP_3)
	v_and_b32_e32 v2, 0x7f800000, v0
	v_and_b32_e32 v4, 0x7fffff, v0
	v_lshrrev_b32_e32 v1, 24, v0
	v_cmpx_ne_u64_e32 0x7f800000, v[2:3]
	s_xor_b32 s25, exec_lo, s10
	s_cbranch_execz .LBB6_1404
; %bb.1391:                             ;   in Loop: Header=BB6_130 Depth=2
	v_and_b32_e32 v2, 0x7fffffff, v0
	v_mov_b32_e32 v3, v5
	v_and_b32_e32 v29, 0x80, v1
                                        ; implicit-def: $vgpr28
	s_mov_b32 s10, exec_lo
	s_delay_alu instid0(VALU_DEP_2)
	v_cmpx_gt_u64_e32 0x47600001, v[2:3]
	s_xor_b32 s26, exec_lo, s10
	s_cbranch_execz .LBB6_1401
; %bb.1392:                             ;   in Loop: Header=BB6_130 Depth=2
	v_mov_b32_e32 v28, 0
	s_mov_b32 s27, exec_lo
	v_cmpx_ne_u32_e32 0, v0
	s_cbranch_execz .LBB6_1400
; %bb.1393:                             ;   in Loop: Header=BB6_130 Depth=2
	v_bfe_u32 v28, v0, 23, 8
	v_or_b32_e32 v2, 0x800000, v4
	s_mov_b32 s28, exec_lo
	s_delay_alu instid0(VALU_DEP_2) | instskip(SKIP_1) | instid1(VALU_DEP_2)
	v_dual_mov_b32 v3, v5 :: v_dual_sub_nc_u32 v0, 0x71, v28
	v_cmp_gt_u32_e32 vcc_lo, 0x72, v28
	v_cndmask_b32_e32 v0, 0, v0, vcc_lo
	v_cmp_eq_u32_e32 vcc_lo, 0, v28
	s_delay_alu instid0(VALU_DEP_2) | instskip(NEXT) | instid1(VALU_DEP_1)
	v_cndmask_b32_e64 v34, v0, 0x70, vcc_lo
	v_dual_cndmask_b32 v2, v2, v4, vcc_lo :: v_dual_add_nc_u32 v0, 21, v34
	v_add_nc_u32_e32 v35, 20, v34
	s_delay_alu instid0(VALU_DEP_2) | instskip(NEXT) | instid1(VALU_DEP_2)
	v_lshlrev_b64_e64 v[0:1], v0, -1
	v_lshlrev_b64_e64 v[82:83], v35, 1
	s_delay_alu instid0(VALU_DEP_2) | instskip(NEXT) | instid1(VALU_DEP_3)
	v_bfi_b32 v85, v1, 0, 0
	v_bfi_b32 v84, v0, 0, v2
	v_lshrrev_b64 v[0:1], v34, v[2:3]
	s_delay_alu instid0(VALU_DEP_1) | instskip(NEXT) | instid1(VALU_DEP_3)
	v_mov_b64_e32 v[2:3], v[0:1]
	v_cmpx_eq_u64_e64 v[84:85], v[82:83]
; %bb.1394:                             ;   in Loop: Header=BB6_130 Depth=2
	v_bfe_u32 v2, v0, 21, 1
	v_mov_b32_e32 v3, v5
	s_delay_alu instid0(VALU_DEP_1) | instskip(NEXT) | instid1(VALU_DEP_1)
	v_add_nc_u64_e32 v[2:3], v[0:1], v[2:3]
	v_add_nc_u64_e32 v[2:3], -1, v[2:3]
; %bb.1395:                             ;   in Loop: Header=BB6_130 Depth=2
	s_or_b32 exec_lo, exec_lo, s28
	v_add_nc_u32_e32 v1, 0xffffff81, v28
	v_lshrrev_b32_e32 v3, 23, v0
	s_mov_b32 s10, exec_lo
	s_delay_alu instid0(VALU_DEP_2) | instskip(NEXT) | instid1(VALU_DEP_1)
	v_cndmask_b32_e64 v1, v1, 0xffffff82, vcc_lo
	v_add3_u32 v3, v34, v1, v3
	v_and_b32_e32 v1, 0x1fffff, v2
                                        ; implicit-def: $vgpr2
	s_delay_alu instid0(VALU_DEP_1) | instskip(NEXT) | instid1(VALU_DEP_1)
	v_dual_add_nc_u32 v28, 14, v3 :: v_dual_add_nc_u32 v4, v1, v0
                                        ; implicit-def: $vgpr0_vgpr1
	v_cmpx_ne_u32_e32 0, v28
	s_xor_b32 s10, exec_lo, s10
; %bb.1396:                             ;   in Loop: Header=BB6_130 Depth=2
	s_delay_alu instid0(VALU_DEP_2) | instskip(SKIP_1) | instid1(VALU_DEP_1)
	v_cmp_lt_u64_e32 vcc_lo, 0xffffff, v[4:5]
	v_add_nc_u32_e32 v0, 15, v3
	v_cndmask_b32_e32 v2, v28, v0, vcc_lo
	v_cndmask_b32_e64 v0, 0, 1, vcc_lo
	s_delay_alu instid0(VALU_DEP_1)
	v_lshrrev_b64 v[0:1], v0, v[4:5]
; %bb.1397:                             ;   in Loop: Header=BB6_130 Depth=2
	s_and_not1_saveexec_b32 s10, s10
; %bb.1398:                             ;   in Loop: Header=BB6_130 Depth=2
	v_mov_b64_e32 v[0:1], v[4:5]
	v_bfe_u32 v2, v4, 23, 1
; %bb.1399:                             ;   in Loop: Header=BB6_130 Depth=2
	s_or_b32 exec_lo, exec_lo, s10
	s_delay_alu instid0(VALU_DEP_2) | instskip(NEXT) | instid1(VALU_DEP_2)
	v_lshrrev_b64 v[0:1], 21, v[0:1]
	v_cmp_gt_i32_e32 vcc_lo, 32, v2
	v_min_i32_e32 v3, 31, v2
	v_cmp_eq_u32_e64 s10, 0, v2
	s_delay_alu instid0(VALU_DEP_2) | instskip(SKIP_1) | instid1(VALU_DEP_2)
	v_dual_cndmask_b32 v1, 0, v1, vcc_lo :: v_dual_lshlrev_b32 v3, 2, v3
	v_cndmask_b32_e32 v0, 3, v0, vcc_lo
	v_and_b32_e32 v3, 0xfc, v3
	s_delay_alu instid0(VALU_DEP_2) | instskip(NEXT) | instid1(VALU_DEP_2)
	v_cmp_eq_u64_e32 vcc_lo, 0, v[0:1]
	v_and_or_b32 v0, v0, 3, v3
	s_and_b32 s10, s10, vcc_lo
	s_delay_alu instid0(VALU_DEP_1) | instid1(SALU_CYCLE_1)
	v_cndmask_b32_e64 v0, v0, 0, s10
	s_delay_alu instid0(VALU_DEP_1)
	v_or_b32_e32 v28, v0, v29
.LBB6_1400:                             ;   in Loop: Header=BB6_130 Depth=2
	s_or_b32 exec_lo, exec_lo, s27
                                        ; implicit-def: $vgpr29
.LBB6_1401:                             ;   in Loop: Header=BB6_130 Depth=2
	s_and_not1_saveexec_b32 s10, s26
; %bb.1402:                             ;   in Loop: Header=BB6_130 Depth=2
	v_or_b32_e32 v28, 0x7b, v29
; %bb.1403:                             ;   in Loop: Header=BB6_130 Depth=2
	s_or_b32 exec_lo, exec_lo, s10
                                        ; implicit-def: $vgpr0
                                        ; implicit-def: $vgpr1
.LBB6_1404:                             ;   in Loop: Header=BB6_130 Depth=2
	s_and_not1_saveexec_b32 s10, s25
	s_cbranch_execz .LBB6_1410
; %bb.1405:                             ;   in Loop: Header=BB6_130 Depth=2
	s_mov_b32 s25, exec_lo
                                        ; implicit-def: $vgpr28
	v_cmpx_ne_u64_e32 0, v[4:5]
	s_xor_b32 s25, exec_lo, s25
; %bb.1406:                             ;   in Loop: Header=BB6_130 Depth=2
	v_or_b32_e32 v28, 0x7f, v1
                                        ; implicit-def: $vgpr0
; %bb.1407:                             ;   in Loop: Header=BB6_130 Depth=2
	s_and_not1_saveexec_b32 s25, s25
; %bb.1408:                             ;   in Loop: Header=BB6_130 Depth=2
	v_cmp_lt_i32_e32 vcc_lo, -1, v0
	v_cndmask_b32_e32 v28, 0xfc, v108, vcc_lo
; %bb.1409:                             ;   in Loop: Header=BB6_130 Depth=2
	s_or_b32 exec_lo, exec_lo, s25
.LBB6_1410:                             ;   in Loop: Header=BB6_130 Depth=2
	s_delay_alu instid0(SALU_CYCLE_1) | instskip(SKIP_2) | instid1(VALU_DEP_2)
	s_or_b32 exec_lo, exec_lo, s10
	v_and_b32_e32 v1, 0xff, v22
	v_mov_b32_e32 v0, 0
	v_cmp_ne_u16_e32 vcc_lo, 0, v1
	v_mov_b32_e32 v1, 0
	s_and_saveexec_b32 s10, vcc_lo
	s_cbranch_execz .LBB6_1420
; %bb.1411:                             ;   in Loop: Header=BB6_130 Depth=2
	v_bfe_i32 v3, v22, 0, 8
	v_bfrev_b32_e32 v1, 1
	s_mov_b32 s25, exec_lo
	s_delay_alu instid0(VALU_DEP_2)
	v_cmpx_ne_u16_e32 0xff80, v3
	s_cbranch_execz .LBB6_1419
; %bb.1412:                             ;   in Loop: Header=BB6_130 Depth=2
	v_and_b32_e32 v1, 0x7c, v22
	v_and_b32_e32 v2, 3, v22
	s_delay_alu instid0(VALU_DEP_2) | instskip(SKIP_1) | instid1(SALU_CYCLE_1)
	v_cmp_ne_u32_e32 vcc_lo, 0x7c, v1
                                        ; implicit-def: $vgpr1
	s_and_saveexec_b32 s26, vcc_lo
	s_xor_b32 s26, exec_lo, s26
	s_cbranch_execz .LBB6_1416
; %bb.1413:                             ;   in Loop: Header=BB6_130 Depth=2
	v_bfe_u32 v1, v22, 2, 5
	s_mov_b32 s27, exec_lo
	s_delay_alu instid0(VALU_DEP_1)
	v_cmpx_eq_u32_e32 0, v1
; %bb.1414:                             ;   in Loop: Header=BB6_130 Depth=2
	v_clz_i32_u32_e32 v1, v2
	s_delay_alu instid0(VALU_DEP_1) | instskip(NEXT) | instid1(VALU_DEP_1)
	v_min_u32_e32 v1, 32, v1
	v_subrev_nc_u32_e32 v2, 29, v1
	s_delay_alu instid0(VALU_DEP_1) | instskip(NEXT) | instid1(VALU_DEP_1)
	v_lshlrev_b64_e32 v[2:3], v2, v[22:23]
	v_dual_sub_nc_u32 v1, 30, v1 :: v_dual_bitop2_b32 v2, 3, v2 bitop3:0x40
; %bb.1415:                             ;   in Loop: Header=BB6_130 Depth=2
	s_or_b32 exec_lo, exec_lo, s27
	v_lshlrev_b32_e32 v3, 24, v22
	s_delay_alu instid0(VALU_DEP_1) | instskip(NEXT) | instid1(VALU_DEP_1)
	v_and_b32_e32 v3, 0x80000000, v3
	v_lshl_add_u32 v1, v1, 23, v3
                                        ; implicit-def: $vgpr3
	s_delay_alu instid0(VALU_DEP_1) | instskip(NEXT) | instid1(VALU_DEP_1)
	v_lshl_or_b32 v1, v2, 21, v1
                                        ; implicit-def: $vgpr2
	v_add_nc_u32_e32 v1, 0x38000000, v1
.LBB6_1416:                             ;   in Loop: Header=BB6_130 Depth=2
	s_and_not1_saveexec_b32 s26, s26
; %bb.1417:                             ;   in Loop: Header=BB6_130 Depth=2
	v_cmp_lt_i16_e32 vcc_lo, -1, v3
	v_cndmask_b32_e32 v1, 0xff800000, v109, vcc_lo
	v_cmp_eq_u32_e32 vcc_lo, 0, v2
	s_delay_alu instid0(VALU_DEP_2)
	v_cndmask_b32_e32 v1, 0x7f800001, v1, vcc_lo
; %bb.1418:                             ;   in Loop: Header=BB6_130 Depth=2
	s_or_b32 exec_lo, exec_lo, s26
.LBB6_1419:                             ;   in Loop: Header=BB6_130 Depth=2
	s_delay_alu instid0(SALU_CYCLE_1)
	s_or_b32 exec_lo, exec_lo, s25
.LBB6_1420:                             ;   in Loop: Header=BB6_130 Depth=2
	s_delay_alu instid0(SALU_CYCLE_1) | instskip(SKIP_3) | instid1(VALU_DEP_1)
	s_or_b32 exec_lo, exec_lo, s10
	s_wait_loadcnt 0x1
	v_and_b32_e32 v2, 0xff, v18
	s_mov_b32 s10, exec_lo
	v_cmpx_ne_u16_e32 0, v2
	s_cbranch_execz .LBB6_1430
; %bb.1421:                             ;   in Loop: Header=BB6_130 Depth=2
	v_bfe_i32 v3, v18, 0, 8
	v_bfrev_b32_e32 v0, 1
	s_mov_b32 s25, exec_lo
	s_delay_alu instid0(VALU_DEP_2)
	v_cmpx_ne_u16_e32 0xff80, v3
	s_cbranch_execz .LBB6_1429
; %bb.1422:                             ;   in Loop: Header=BB6_130 Depth=2
	v_and_b32_e32 v0, 0x7c, v18
	v_and_b32_e32 v2, 3, v18
	s_delay_alu instid0(VALU_DEP_2) | instskip(SKIP_1) | instid1(SALU_CYCLE_1)
	v_cmp_ne_u32_e32 vcc_lo, 0x7c, v0
                                        ; implicit-def: $vgpr0
	s_and_saveexec_b32 s26, vcc_lo
	s_xor_b32 s26, exec_lo, s26
	s_cbranch_execz .LBB6_1426
; %bb.1423:                             ;   in Loop: Header=BB6_130 Depth=2
	v_bfe_u32 v0, v18, 2, 5
	s_mov_b32 s27, exec_lo
	s_delay_alu instid0(VALU_DEP_1)
	v_cmpx_eq_u32_e32 0, v0
; %bb.1424:                             ;   in Loop: Header=BB6_130 Depth=2
	v_clz_i32_u32_e32 v0, v2
	s_delay_alu instid0(VALU_DEP_1) | instskip(NEXT) | instid1(VALU_DEP_1)
	v_min_u32_e32 v0, 32, v0
	v_subrev_nc_u32_e32 v2, 29, v0
	s_delay_alu instid0(VALU_DEP_1) | instskip(NEXT) | instid1(VALU_DEP_1)
	v_lshlrev_b64_e32 v[2:3], v2, v[18:19]
	v_dual_sub_nc_u32 v0, 30, v0 :: v_dual_bitop2_b32 v2, 3, v2 bitop3:0x40
; %bb.1425:                             ;   in Loop: Header=BB6_130 Depth=2
	s_or_b32 exec_lo, exec_lo, s27
	v_lshlrev_b32_e32 v3, 24, v18
	s_delay_alu instid0(VALU_DEP_1) | instskip(NEXT) | instid1(VALU_DEP_1)
	v_and_b32_e32 v3, 0x80000000, v3
	v_lshl_add_u32 v0, v0, 23, v3
                                        ; implicit-def: $vgpr3
	s_delay_alu instid0(VALU_DEP_1) | instskip(NEXT) | instid1(VALU_DEP_1)
	v_lshl_or_b32 v0, v2, 21, v0
                                        ; implicit-def: $vgpr2
	v_add_nc_u32_e32 v0, 0x38000000, v0
.LBB6_1426:                             ;   in Loop: Header=BB6_130 Depth=2
	s_and_not1_saveexec_b32 s26, s26
; %bb.1427:                             ;   in Loop: Header=BB6_130 Depth=2
	v_cmp_lt_i16_e32 vcc_lo, -1, v3
	v_cndmask_b32_e32 v0, 0xff800000, v109, vcc_lo
	v_cmp_eq_u32_e32 vcc_lo, 0, v2
	s_delay_alu instid0(VALU_DEP_2)
	v_cndmask_b32_e32 v0, 0x7f800001, v0, vcc_lo
; %bb.1428:                             ;   in Loop: Header=BB6_130 Depth=2
	s_or_b32 exec_lo, exec_lo, s26
.LBB6_1429:                             ;   in Loop: Header=BB6_130 Depth=2
	s_delay_alu instid0(SALU_CYCLE_1)
	s_or_b32 exec_lo, exec_lo, s25
.LBB6_1430:                             ;   in Loop: Header=BB6_130 Depth=2
	s_delay_alu instid0(SALU_CYCLE_1) | instskip(NEXT) | instid1(VALU_DEP_1)
	s_or_b32 exec_lo, exec_lo, s10
	v_mul_f32_e32 v0, v1, v0
	v_mov_b32_e32 v3, v5
                                        ; implicit-def: $vgpr29
	s_mov_b32 s10, exec_lo
	s_delay_alu instid0(VALU_DEP_2) | instskip(SKIP_2) | instid1(VALU_DEP_3)
	v_and_b32_e32 v2, 0x7f800000, v0
	v_and_b32_e32 v4, 0x7fffff, v0
	v_lshrrev_b32_e32 v1, 24, v0
	v_cmpx_ne_u64_e32 0x7f800000, v[2:3]
	s_xor_b32 s25, exec_lo, s10
	s_cbranch_execz .LBB6_1444
; %bb.1431:                             ;   in Loop: Header=BB6_130 Depth=2
	v_and_b32_e32 v2, 0x7fffffff, v0
	v_mov_b32_e32 v3, v5
	v_and_b32_e32 v34, 0x80, v1
                                        ; implicit-def: $vgpr29
	s_mov_b32 s10, exec_lo
	s_delay_alu instid0(VALU_DEP_2)
	v_cmpx_gt_u64_e32 0x47600001, v[2:3]
	s_xor_b32 s26, exec_lo, s10
	s_cbranch_execz .LBB6_1441
; %bb.1432:                             ;   in Loop: Header=BB6_130 Depth=2
	v_mov_b32_e32 v29, 0
	s_mov_b32 s27, exec_lo
	v_cmpx_ne_u32_e32 0, v0
	s_cbranch_execz .LBB6_1440
; %bb.1433:                             ;   in Loop: Header=BB6_130 Depth=2
	v_bfe_u32 v29, v0, 23, 8
	v_or_b32_e32 v2, 0x800000, v4
	s_mov_b32 s28, exec_lo
	s_delay_alu instid0(VALU_DEP_2) | instskip(SKIP_1) | instid1(VALU_DEP_2)
	v_dual_mov_b32 v3, v5 :: v_dual_sub_nc_u32 v0, 0x71, v29
	v_cmp_gt_u32_e32 vcc_lo, 0x72, v29
	v_cndmask_b32_e32 v0, 0, v0, vcc_lo
	v_cmp_eq_u32_e32 vcc_lo, 0, v29
	s_delay_alu instid0(VALU_DEP_2) | instskip(NEXT) | instid1(VALU_DEP_1)
	v_cndmask_b32_e64 v35, v0, 0x70, vcc_lo
	v_dual_cndmask_b32 v2, v2, v4, vcc_lo :: v_dual_add_nc_u32 v0, 21, v35
	v_add_nc_u32_e32 v82, 20, v35
	s_delay_alu instid0(VALU_DEP_2) | instskip(NEXT) | instid1(VALU_DEP_2)
	v_lshlrev_b64_e64 v[0:1], v0, -1
	v_lshlrev_b64_e64 v[82:83], v82, 1
	s_delay_alu instid0(VALU_DEP_2) | instskip(NEXT) | instid1(VALU_DEP_3)
	v_bfi_b32 v85, v1, 0, 0
	v_bfi_b32 v84, v0, 0, v2
	v_lshrrev_b64 v[0:1], v35, v[2:3]
	s_delay_alu instid0(VALU_DEP_1) | instskip(NEXT) | instid1(VALU_DEP_3)
	v_mov_b64_e32 v[2:3], v[0:1]
	v_cmpx_eq_u64_e64 v[84:85], v[82:83]
; %bb.1434:                             ;   in Loop: Header=BB6_130 Depth=2
	v_bfe_u32 v2, v0, 21, 1
	v_mov_b32_e32 v3, v5
	s_delay_alu instid0(VALU_DEP_1) | instskip(NEXT) | instid1(VALU_DEP_1)
	v_add_nc_u64_e32 v[2:3], v[0:1], v[2:3]
	v_add_nc_u64_e32 v[2:3], -1, v[2:3]
; %bb.1435:                             ;   in Loop: Header=BB6_130 Depth=2
	s_or_b32 exec_lo, exec_lo, s28
	v_add_nc_u32_e32 v1, 0xffffff81, v29
	v_lshrrev_b32_e32 v3, 23, v0
	s_mov_b32 s10, exec_lo
	s_delay_alu instid0(VALU_DEP_2) | instskip(NEXT) | instid1(VALU_DEP_1)
	v_cndmask_b32_e64 v1, v1, 0xffffff82, vcc_lo
	v_add3_u32 v3, v35, v1, v3
	v_and_b32_e32 v1, 0x1fffff, v2
                                        ; implicit-def: $vgpr2
	s_delay_alu instid0(VALU_DEP_1) | instskip(NEXT) | instid1(VALU_DEP_1)
	v_dual_add_nc_u32 v29, 14, v3 :: v_dual_add_nc_u32 v4, v1, v0
                                        ; implicit-def: $vgpr0_vgpr1
	v_cmpx_ne_u32_e32 0, v29
	s_xor_b32 s10, exec_lo, s10
; %bb.1436:                             ;   in Loop: Header=BB6_130 Depth=2
	s_delay_alu instid0(VALU_DEP_2) | instskip(SKIP_1) | instid1(VALU_DEP_1)
	v_cmp_lt_u64_e32 vcc_lo, 0xffffff, v[4:5]
	v_add_nc_u32_e32 v0, 15, v3
	v_cndmask_b32_e32 v2, v29, v0, vcc_lo
	v_cndmask_b32_e64 v0, 0, 1, vcc_lo
	s_delay_alu instid0(VALU_DEP_1)
	v_lshrrev_b64 v[0:1], v0, v[4:5]
; %bb.1437:                             ;   in Loop: Header=BB6_130 Depth=2
	s_and_not1_saveexec_b32 s10, s10
; %bb.1438:                             ;   in Loop: Header=BB6_130 Depth=2
	v_mov_b64_e32 v[0:1], v[4:5]
	v_bfe_u32 v2, v4, 23, 1
; %bb.1439:                             ;   in Loop: Header=BB6_130 Depth=2
	s_or_b32 exec_lo, exec_lo, s10
	s_delay_alu instid0(VALU_DEP_2) | instskip(NEXT) | instid1(VALU_DEP_2)
	v_lshrrev_b64 v[0:1], 21, v[0:1]
	v_cmp_gt_i32_e32 vcc_lo, 32, v2
	v_min_i32_e32 v3, 31, v2
	v_cmp_eq_u32_e64 s10, 0, v2
	s_delay_alu instid0(VALU_DEP_2) | instskip(SKIP_1) | instid1(VALU_DEP_2)
	v_dual_cndmask_b32 v1, 0, v1, vcc_lo :: v_dual_lshlrev_b32 v3, 2, v3
	v_cndmask_b32_e32 v0, 3, v0, vcc_lo
	v_and_b32_e32 v3, 0xfc, v3
	s_delay_alu instid0(VALU_DEP_2) | instskip(NEXT) | instid1(VALU_DEP_2)
	v_cmp_eq_u64_e32 vcc_lo, 0, v[0:1]
	v_and_or_b32 v0, v0, 3, v3
	s_and_b32 s10, s10, vcc_lo
	s_delay_alu instid0(VALU_DEP_1) | instid1(SALU_CYCLE_1)
	v_cndmask_b32_e64 v0, v0, 0, s10
	s_delay_alu instid0(VALU_DEP_1)
	v_or_b32_e32 v29, v0, v34
.LBB6_1440:                             ;   in Loop: Header=BB6_130 Depth=2
	s_or_b32 exec_lo, exec_lo, s27
                                        ; implicit-def: $vgpr34
.LBB6_1441:                             ;   in Loop: Header=BB6_130 Depth=2
	s_and_not1_saveexec_b32 s10, s26
; %bb.1442:                             ;   in Loop: Header=BB6_130 Depth=2
	v_or_b32_e32 v29, 0x7b, v34
; %bb.1443:                             ;   in Loop: Header=BB6_130 Depth=2
	s_or_b32 exec_lo, exec_lo, s10
                                        ; implicit-def: $vgpr0
                                        ; implicit-def: $vgpr1
.LBB6_1444:                             ;   in Loop: Header=BB6_130 Depth=2
	s_and_not1_saveexec_b32 s10, s25
	s_cbranch_execz .LBB6_1450
; %bb.1445:                             ;   in Loop: Header=BB6_130 Depth=2
	s_mov_b32 s25, exec_lo
                                        ; implicit-def: $vgpr29
	v_cmpx_ne_u64_e32 0, v[4:5]
	s_xor_b32 s25, exec_lo, s25
; %bb.1446:                             ;   in Loop: Header=BB6_130 Depth=2
	v_or_b32_e32 v29, 0x7f, v1
                                        ; implicit-def: $vgpr0
; %bb.1447:                             ;   in Loop: Header=BB6_130 Depth=2
	s_and_not1_saveexec_b32 s25, s25
; %bb.1448:                             ;   in Loop: Header=BB6_130 Depth=2
	v_cmp_lt_i32_e32 vcc_lo, -1, v0
	v_cndmask_b32_e32 v29, 0xfc, v108, vcc_lo
; %bb.1449:                             ;   in Loop: Header=BB6_130 Depth=2
	s_or_b32 exec_lo, exec_lo, s25
.LBB6_1450:                             ;   in Loop: Header=BB6_130 Depth=2
	s_delay_alu instid0(SALU_CYCLE_1) | instskip(SKIP_3) | instid1(VALU_DEP_2)
	s_or_b32 exec_lo, exec_lo, s10
	v_lshrrev_b16 v0, 8, v22
	v_dual_mov_b32 v2, 0 :: v_dual_mov_b32 v3, 0
	s_mov_b32 s10, exec_lo
	v_cmpx_ne_u16_e32 0, v0
	s_cbranch_execz .LBB6_1460
; %bb.1451:                             ;   in Loop: Header=BB6_130 Depth=2
	v_bfrev_b32_e32 v3, 1
	s_mov_b32 s25, exec_lo
	v_cmpx_ne_u16_e32 0x80, v0
	s_cbranch_execz .LBB6_1459
; %bb.1452:                             ;   in Loop: Header=BB6_130 Depth=2
	v_and_b32_e32 v4, 0xffff, v0
	s_delay_alu instid0(VALU_DEP_1) | instskip(SKIP_1) | instid1(VALU_DEP_2)
	v_and_b32_e32 v3, 0x7c, v4
	v_and_b32_e32 v1, 3, v4
	v_cmp_ne_u32_e32 vcc_lo, 0x7c, v3
                                        ; implicit-def: $vgpr3
	s_and_saveexec_b32 s26, vcc_lo
	s_delay_alu instid0(SALU_CYCLE_1)
	s_xor_b32 s26, exec_lo, s26
	s_cbranch_execz .LBB6_1456
; %bb.1453:                             ;   in Loop: Header=BB6_130 Depth=2
	v_bfe_u32 v3, v4, 2, 5
	s_mov_b32 s27, exec_lo
	s_delay_alu instid0(VALU_DEP_1)
	v_cmpx_eq_u32_e32 0, v3
	s_cbranch_execz .LBB6_1455
; %bb.1454:                             ;   in Loop: Header=BB6_130 Depth=2
	v_clz_i32_u32_e32 v1, v1
	s_delay_alu instid0(VALU_DEP_1) | instskip(SKIP_1) | instid1(VALU_DEP_2)
	v_min_u32_e32 v3, 32, v1
	v_mov_b32_e32 v1, v5
	v_subrev_nc_u32_e32 v4, 29, v3
	v_sub_nc_u32_e32 v3, 30, v3
	s_delay_alu instid0(VALU_DEP_2) | instskip(NEXT) | instid1(VALU_DEP_1)
	v_lshlrev_b64_e32 v[0:1], v4, v[0:1]
	v_and_b32_e32 v1, 3, v0
.LBB6_1455:                             ;   in Loop: Header=BB6_130 Depth=2
	s_or_b32 exec_lo, exec_lo, s27
	v_lshlrev_b32_e32 v0, 16, v22
	s_delay_alu instid0(VALU_DEP_1) | instskip(NEXT) | instid1(VALU_DEP_1)
	v_and_b32_e32 v0, 0x80000000, v0
	v_lshl_add_u32 v0, v3, 23, v0
	s_delay_alu instid0(VALU_DEP_1) | instskip(NEXT) | instid1(VALU_DEP_1)
	v_lshl_or_b32 v0, v1, 21, v0
                                        ; implicit-def: $vgpr1
	v_add_nc_u32_e32 v3, 0x38000000, v0
.LBB6_1456:                             ;   in Loop: Header=BB6_130 Depth=2
	s_and_not1_saveexec_b32 s26, s26
; %bb.1457:                             ;   in Loop: Header=BB6_130 Depth=2
	v_cmp_lt_i16_e32 vcc_lo, -1, v22
	v_cndmask_b32_e32 v0, 0xff800000, v109, vcc_lo
	v_cmp_eq_u32_e32 vcc_lo, 0, v1
	s_delay_alu instid0(VALU_DEP_2)
	v_cndmask_b32_e32 v3, 0x7f800001, v0, vcc_lo
; %bb.1458:                             ;   in Loop: Header=BB6_130 Depth=2
	s_or_b32 exec_lo, exec_lo, s26
.LBB6_1459:                             ;   in Loop: Header=BB6_130 Depth=2
	s_delay_alu instid0(SALU_CYCLE_1)
	s_or_b32 exec_lo, exec_lo, s25
.LBB6_1460:                             ;   in Loop: Header=BB6_130 Depth=2
	s_delay_alu instid0(SALU_CYCLE_1) | instskip(SKIP_2) | instid1(VALU_DEP_1)
	s_or_b32 exec_lo, exec_lo, s10
	v_lshrrev_b16 v0, 8, v18
	s_mov_b32 s10, exec_lo
	v_cmpx_ne_u16_e32 0, v0
	s_cbranch_execz .LBB6_1470
; %bb.1461:                             ;   in Loop: Header=BB6_130 Depth=2
	v_bfrev_b32_e32 v2, 1
	s_mov_b32 s25, exec_lo
	v_cmpx_ne_u16_e32 0x80, v0
	s_cbranch_execz .LBB6_1469
; %bb.1462:                             ;   in Loop: Header=BB6_130 Depth=2
	v_and_b32_e32 v4, 0xffff, v0
	s_delay_alu instid0(VALU_DEP_1) | instskip(SKIP_1) | instid1(VALU_DEP_2)
	v_and_b32_e32 v2, 0x7c, v4
	v_and_b32_e32 v1, 3, v4
	v_cmp_ne_u32_e32 vcc_lo, 0x7c, v2
                                        ; implicit-def: $vgpr2
	s_and_saveexec_b32 s26, vcc_lo
	s_delay_alu instid0(SALU_CYCLE_1)
	s_xor_b32 s26, exec_lo, s26
	s_cbranch_execz .LBB6_1466
; %bb.1463:                             ;   in Loop: Header=BB6_130 Depth=2
	v_bfe_u32 v2, v4, 2, 5
	s_mov_b32 s27, exec_lo
	s_delay_alu instid0(VALU_DEP_1)
	v_cmpx_eq_u32_e32 0, v2
	s_cbranch_execz .LBB6_1465
; %bb.1464:                             ;   in Loop: Header=BB6_130 Depth=2
	v_clz_i32_u32_e32 v1, v1
	s_delay_alu instid0(VALU_DEP_1) | instskip(SKIP_1) | instid1(VALU_DEP_2)
	v_min_u32_e32 v2, 32, v1
	v_mov_b32_e32 v1, v5
	v_subrev_nc_u32_e32 v4, 29, v2
	v_sub_nc_u32_e32 v2, 30, v2
	s_delay_alu instid0(VALU_DEP_2) | instskip(NEXT) | instid1(VALU_DEP_1)
	v_lshlrev_b64_e32 v[0:1], v4, v[0:1]
	v_and_b32_e32 v1, 3, v0
.LBB6_1465:                             ;   in Loop: Header=BB6_130 Depth=2
	s_or_b32 exec_lo, exec_lo, s27
	v_lshlrev_b32_e32 v0, 16, v18
	s_delay_alu instid0(VALU_DEP_1) | instskip(NEXT) | instid1(VALU_DEP_1)
	v_and_b32_e32 v0, 0x80000000, v0
	v_lshl_add_u32 v0, v2, 23, v0
	s_delay_alu instid0(VALU_DEP_1) | instskip(NEXT) | instid1(VALU_DEP_1)
	v_lshl_or_b32 v0, v1, 21, v0
                                        ; implicit-def: $vgpr1
	v_add_nc_u32_e32 v2, 0x38000000, v0
.LBB6_1466:                             ;   in Loop: Header=BB6_130 Depth=2
	s_and_not1_saveexec_b32 s26, s26
; %bb.1467:                             ;   in Loop: Header=BB6_130 Depth=2
	v_cmp_lt_i16_e32 vcc_lo, -1, v18
	v_cndmask_b32_e32 v0, 0xff800000, v109, vcc_lo
	v_cmp_eq_u32_e32 vcc_lo, 0, v1
	s_delay_alu instid0(VALU_DEP_2)
	v_cndmask_b32_e32 v2, 0x7f800001, v0, vcc_lo
; %bb.1468:                             ;   in Loop: Header=BB6_130 Depth=2
	s_or_b32 exec_lo, exec_lo, s26
.LBB6_1469:                             ;   in Loop: Header=BB6_130 Depth=2
	s_delay_alu instid0(SALU_CYCLE_1)
	s_or_b32 exec_lo, exec_lo, s25
.LBB6_1470:                             ;   in Loop: Header=BB6_130 Depth=2
	s_delay_alu instid0(SALU_CYCLE_1) | instskip(NEXT) | instid1(VALU_DEP_1)
	s_or_b32 exec_lo, exec_lo, s10
	v_dual_mul_f32 v0, v3, v2 :: v_dual_mov_b32 v3, v5
                                        ; implicit-def: $vgpr34
	s_mov_b32 s10, exec_lo
	s_delay_alu instid0(VALU_DEP_1) | instskip(SKIP_2) | instid1(VALU_DEP_3)
	v_and_b32_e32 v2, 0x7f800000, v0
	v_and_b32_e32 v4, 0x7fffff, v0
	v_lshrrev_b32_e32 v1, 24, v0
	v_cmpx_ne_u64_e32 0x7f800000, v[2:3]
	s_xor_b32 s25, exec_lo, s10
	s_cbranch_execz .LBB6_1484
; %bb.1471:                             ;   in Loop: Header=BB6_130 Depth=2
	v_and_b32_e32 v2, 0x7fffffff, v0
	v_mov_b32_e32 v3, v5
	v_and_b32_e32 v35, 0x80, v1
                                        ; implicit-def: $vgpr34
	s_mov_b32 s10, exec_lo
	s_delay_alu instid0(VALU_DEP_2)
	v_cmpx_gt_u64_e32 0x47600001, v[2:3]
	s_xor_b32 s26, exec_lo, s10
	s_cbranch_execz .LBB6_1481
; %bb.1472:                             ;   in Loop: Header=BB6_130 Depth=2
	v_mov_b32_e32 v34, 0
	s_mov_b32 s27, exec_lo
	v_cmpx_ne_u32_e32 0, v0
	s_cbranch_execz .LBB6_1480
; %bb.1473:                             ;   in Loop: Header=BB6_130 Depth=2
	v_bfe_u32 v34, v0, 23, 8
	v_or_b32_e32 v2, 0x800000, v4
	s_mov_b32 s28, exec_lo
	s_delay_alu instid0(VALU_DEP_2) | instskip(SKIP_1) | instid1(VALU_DEP_2)
	v_dual_mov_b32 v3, v5 :: v_dual_sub_nc_u32 v0, 0x71, v34
	v_cmp_gt_u32_e32 vcc_lo, 0x72, v34
	v_cndmask_b32_e32 v0, 0, v0, vcc_lo
	v_cmp_eq_u32_e32 vcc_lo, 0, v34
	s_delay_alu instid0(VALU_DEP_2) | instskip(NEXT) | instid1(VALU_DEP_1)
	v_cndmask_b32_e64 v82, v0, 0x70, vcc_lo
	v_dual_cndmask_b32 v2, v2, v4, vcc_lo :: v_dual_add_nc_u32 v0, 21, v82
	v_add_nc_u32_e32 v83, 20, v82
	s_delay_alu instid0(VALU_DEP_2) | instskip(NEXT) | instid1(VALU_DEP_2)
	v_lshlrev_b64_e64 v[0:1], v0, -1
	v_lshlrev_b64_e64 v[84:85], v83, 1
	s_delay_alu instid0(VALU_DEP_2) | instskip(NEXT) | instid1(VALU_DEP_3)
	v_bfi_b32 v87, v1, 0, 0
	v_bfi_b32 v86, v0, 0, v2
	v_lshrrev_b64 v[0:1], v82, v[2:3]
	s_delay_alu instid0(VALU_DEP_1) | instskip(NEXT) | instid1(VALU_DEP_3)
	v_mov_b64_e32 v[2:3], v[0:1]
	v_cmpx_eq_u64_e64 v[86:87], v[84:85]
; %bb.1474:                             ;   in Loop: Header=BB6_130 Depth=2
	v_bfe_u32 v2, v0, 21, 1
	v_mov_b32_e32 v3, v5
	s_delay_alu instid0(VALU_DEP_1) | instskip(NEXT) | instid1(VALU_DEP_1)
	v_add_nc_u64_e32 v[2:3], v[0:1], v[2:3]
	v_add_nc_u64_e32 v[2:3], -1, v[2:3]
; %bb.1475:                             ;   in Loop: Header=BB6_130 Depth=2
	s_or_b32 exec_lo, exec_lo, s28
	v_add_nc_u32_e32 v1, 0xffffff81, v34
	v_lshrrev_b32_e32 v3, 23, v0
	s_mov_b32 s10, exec_lo
	s_delay_alu instid0(VALU_DEP_2) | instskip(NEXT) | instid1(VALU_DEP_1)
	v_cndmask_b32_e64 v1, v1, 0xffffff82, vcc_lo
	v_add3_u32 v3, v82, v1, v3
	v_and_b32_e32 v1, 0x1fffff, v2
                                        ; implicit-def: $vgpr2
	s_delay_alu instid0(VALU_DEP_1) | instskip(NEXT) | instid1(VALU_DEP_1)
	v_dual_add_nc_u32 v34, 14, v3 :: v_dual_add_nc_u32 v4, v1, v0
                                        ; implicit-def: $vgpr0_vgpr1
	v_cmpx_ne_u32_e32 0, v34
	s_xor_b32 s10, exec_lo, s10
; %bb.1476:                             ;   in Loop: Header=BB6_130 Depth=2
	s_delay_alu instid0(VALU_DEP_2) | instskip(SKIP_1) | instid1(VALU_DEP_1)
	v_cmp_lt_u64_e32 vcc_lo, 0xffffff, v[4:5]
	v_add_nc_u32_e32 v0, 15, v3
	v_cndmask_b32_e32 v2, v34, v0, vcc_lo
	v_cndmask_b32_e64 v0, 0, 1, vcc_lo
	s_delay_alu instid0(VALU_DEP_1)
	v_lshrrev_b64 v[0:1], v0, v[4:5]
; %bb.1477:                             ;   in Loop: Header=BB6_130 Depth=2
	s_and_not1_saveexec_b32 s10, s10
; %bb.1478:                             ;   in Loop: Header=BB6_130 Depth=2
	v_mov_b64_e32 v[0:1], v[4:5]
	v_bfe_u32 v2, v4, 23, 1
; %bb.1479:                             ;   in Loop: Header=BB6_130 Depth=2
	s_or_b32 exec_lo, exec_lo, s10
	s_delay_alu instid0(VALU_DEP_2) | instskip(NEXT) | instid1(VALU_DEP_2)
	v_lshrrev_b64 v[0:1], 21, v[0:1]
	v_cmp_gt_i32_e32 vcc_lo, 32, v2
	v_min_i32_e32 v3, 31, v2
	v_cmp_eq_u32_e64 s10, 0, v2
	s_delay_alu instid0(VALU_DEP_2) | instskip(SKIP_1) | instid1(VALU_DEP_2)
	v_dual_cndmask_b32 v1, 0, v1, vcc_lo :: v_dual_lshlrev_b32 v3, 2, v3
	v_cndmask_b32_e32 v0, 3, v0, vcc_lo
	v_and_b32_e32 v3, 0xfc, v3
	s_delay_alu instid0(VALU_DEP_2) | instskip(NEXT) | instid1(VALU_DEP_2)
	v_cmp_eq_u64_e32 vcc_lo, 0, v[0:1]
	v_and_or_b32 v0, v0, 3, v3
	s_and_b32 s10, s10, vcc_lo
	s_delay_alu instid0(VALU_DEP_1) | instid1(SALU_CYCLE_1)
	v_cndmask_b32_e64 v0, v0, 0, s10
	s_delay_alu instid0(VALU_DEP_1)
	v_or_b32_e32 v34, v0, v35
.LBB6_1480:                             ;   in Loop: Header=BB6_130 Depth=2
	s_or_b32 exec_lo, exec_lo, s27
                                        ; implicit-def: $vgpr35
.LBB6_1481:                             ;   in Loop: Header=BB6_130 Depth=2
	s_and_not1_saveexec_b32 s10, s26
; %bb.1482:                             ;   in Loop: Header=BB6_130 Depth=2
	v_or_b32_e32 v34, 0x7b, v35
; %bb.1483:                             ;   in Loop: Header=BB6_130 Depth=2
	s_or_b32 exec_lo, exec_lo, s10
                                        ; implicit-def: $vgpr0
                                        ; implicit-def: $vgpr1
.LBB6_1484:                             ;   in Loop: Header=BB6_130 Depth=2
	s_and_not1_saveexec_b32 s10, s25
	s_cbranch_execz .LBB6_1490
; %bb.1485:                             ;   in Loop: Header=BB6_130 Depth=2
	s_mov_b32 s25, exec_lo
                                        ; implicit-def: $vgpr34
	v_cmpx_ne_u64_e32 0, v[4:5]
	s_xor_b32 s25, exec_lo, s25
; %bb.1486:                             ;   in Loop: Header=BB6_130 Depth=2
	v_or_b32_e32 v34, 0x7f, v1
                                        ; implicit-def: $vgpr0
; %bb.1487:                             ;   in Loop: Header=BB6_130 Depth=2
	s_and_not1_saveexec_b32 s25, s25
; %bb.1488:                             ;   in Loop: Header=BB6_130 Depth=2
	v_cmp_lt_i32_e32 vcc_lo, -1, v0
	v_cndmask_b32_e32 v34, 0xfc, v108, vcc_lo
; %bb.1489:                             ;   in Loop: Header=BB6_130 Depth=2
	s_or_b32 exec_lo, exec_lo, s25
.LBB6_1490:                             ;   in Loop: Header=BB6_130 Depth=2
	s_delay_alu instid0(SALU_CYCLE_1) | instskip(SKIP_3) | instid1(VALU_DEP_2)
	s_or_b32 exec_lo, exec_lo, s10
	v_dual_mov_b32 v1, 0 :: v_dual_lshrrev_b32 v0, 16, v22
	v_mov_b32_e32 v2, 0
	s_mov_b32 s10, exec_lo
	v_and_b32_e32 v3, 0xff, v0
	s_delay_alu instid0(VALU_DEP_1)
	v_cmpx_ne_u16_e32 0, v3
	s_cbranch_execz .LBB6_1500
; %bb.1491:                             ;   in Loop: Header=BB6_130 Depth=2
	v_bfrev_b32_e32 v2, 1
	s_mov_b32 s25, exec_lo
	v_cmpx_ne_u16_e32 0x80, v3
	s_cbranch_execz .LBB6_1499
; %bb.1492:                             ;   in Loop: Header=BB6_130 Depth=2
	v_and_b32_e32 v2, 0x7c0000, v22
	v_bfe_u32 v3, v22, 16, 2
	s_delay_alu instid0(VALU_DEP_2) | instskip(SKIP_1) | instid1(SALU_CYCLE_1)
	v_cmp_ne_u32_e32 vcc_lo, 0x7c0000, v2
                                        ; implicit-def: $vgpr2
	s_and_saveexec_b32 s26, vcc_lo
	s_xor_b32 s26, exec_lo, s26
	s_cbranch_execz .LBB6_1496
; %bb.1493:                             ;   in Loop: Header=BB6_130 Depth=2
	v_bfe_u32 v2, v22, 18, 5
	s_mov_b32 s27, exec_lo
	s_delay_alu instid0(VALU_DEP_1)
	v_cmpx_eq_u32_e32 0, v2
; %bb.1494:                             ;   in Loop: Header=BB6_130 Depth=2
	v_clz_i32_u32_e32 v2, v3
	s_delay_alu instid0(VALU_DEP_1) | instskip(NEXT) | instid1(VALU_DEP_1)
	v_min_u32_e32 v2, 32, v2
	v_subrev_nc_u32_e32 v3, 29, v2
	v_sub_nc_u32_e32 v2, 30, v2
	s_delay_alu instid0(VALU_DEP_2) | instskip(NEXT) | instid1(VALU_DEP_1)
	v_lshlrev_b64_e32 v[82:83], v3, v[0:1]
	v_and_b32_e32 v3, 3, v82
; %bb.1495:                             ;   in Loop: Header=BB6_130 Depth=2
	s_or_b32 exec_lo, exec_lo, s27
	v_lshlrev_b32_e32 v0, 24, v0
	s_delay_alu instid0(VALU_DEP_1) | instskip(NEXT) | instid1(VALU_DEP_1)
	v_and_b32_e32 v0, 0x80000000, v0
	v_lshl_add_u32 v0, v2, 23, v0
	s_delay_alu instid0(VALU_DEP_1) | instskip(NEXT) | instid1(VALU_DEP_1)
	v_lshl_or_b32 v0, v3, 21, v0
                                        ; implicit-def: $vgpr3
	v_add_nc_u32_e32 v2, 0x38000000, v0
                                        ; implicit-def: $vgpr0
.LBB6_1496:                             ;   in Loop: Header=BB6_130 Depth=2
	s_and_not1_saveexec_b32 s26, s26
; %bb.1497:                             ;   in Loop: Header=BB6_130 Depth=2
	v_bfe_i32 v0, v0, 0, 8
	s_delay_alu instid0(VALU_DEP_1) | instskip(SKIP_2) | instid1(VALU_DEP_2)
	v_cmp_lt_i16_e32 vcc_lo, -1, v0
	v_cndmask_b32_e32 v0, 0xff800000, v109, vcc_lo
	v_cmp_eq_u32_e32 vcc_lo, 0, v3
	v_cndmask_b32_e32 v2, 0x7f800001, v0, vcc_lo
; %bb.1498:                             ;   in Loop: Header=BB6_130 Depth=2
	s_or_b32 exec_lo, exec_lo, s26
.LBB6_1499:                             ;   in Loop: Header=BB6_130 Depth=2
	s_delay_alu instid0(SALU_CYCLE_1)
	s_or_b32 exec_lo, exec_lo, s25
.LBB6_1500:                             ;   in Loop: Header=BB6_130 Depth=2
	s_delay_alu instid0(SALU_CYCLE_1) | instskip(SKIP_2) | instid1(VALU_DEP_1)
	s_or_b32 exec_lo, exec_lo, s10
	v_lshrrev_b32_e32 v0, 16, v18
	s_mov_b32 s10, exec_lo
	v_and_b32_e32 v3, 0xff, v0
	s_delay_alu instid0(VALU_DEP_1)
	v_cmpx_ne_u16_e32 0, v3
	s_cbranch_execz .LBB6_1510
; %bb.1501:                             ;   in Loop: Header=BB6_130 Depth=2
	v_bfrev_b32_e32 v1, 1
	s_mov_b32 s25, exec_lo
	v_cmpx_ne_u16_e32 0x80, v3
	s_cbranch_execz .LBB6_1509
; %bb.1502:                             ;   in Loop: Header=BB6_130 Depth=2
	v_and_b32_e32 v1, 0x7c0000, v18
	v_bfe_u32 v3, v18, 16, 2
	s_delay_alu instid0(VALU_DEP_2) | instskip(SKIP_1) | instid1(SALU_CYCLE_1)
	v_cmp_ne_u32_e32 vcc_lo, 0x7c0000, v1
                                        ; implicit-def: $vgpr1
	s_and_saveexec_b32 s26, vcc_lo
	s_xor_b32 s26, exec_lo, s26
	s_cbranch_execz .LBB6_1506
; %bb.1503:                             ;   in Loop: Header=BB6_130 Depth=2
	v_bfe_u32 v1, v18, 18, 5
	s_mov_b32 s27, exec_lo
	s_delay_alu instid0(VALU_DEP_1)
	v_cmpx_eq_u32_e32 0, v1
; %bb.1504:                             ;   in Loop: Header=BB6_130 Depth=2
	v_clz_i32_u32_e32 v1, v3
	s_delay_alu instid0(VALU_DEP_1) | instskip(NEXT) | instid1(VALU_DEP_1)
	v_min_u32_e32 v1, 32, v1
	v_subrev_nc_u32_e32 v3, 29, v1
	s_delay_alu instid0(VALU_DEP_1) | instskip(NEXT) | instid1(VALU_DEP_1)
	v_lshlrev_b64_e32 v[82:83], v3, v[0:1]
	v_dual_sub_nc_u32 v1, 30, v1 :: v_dual_bitop2_b32 v3, 3, v82 bitop3:0x40
; %bb.1505:                             ;   in Loop: Header=BB6_130 Depth=2
	s_or_b32 exec_lo, exec_lo, s27
	v_lshlrev_b32_e32 v0, 24, v0
	s_delay_alu instid0(VALU_DEP_1) | instskip(NEXT) | instid1(VALU_DEP_1)
	v_and_b32_e32 v0, 0x80000000, v0
	v_lshl_add_u32 v0, v1, 23, v0
	s_delay_alu instid0(VALU_DEP_1) | instskip(NEXT) | instid1(VALU_DEP_1)
	v_lshl_or_b32 v0, v3, 21, v0
                                        ; implicit-def: $vgpr3
	v_add_nc_u32_e32 v1, 0x38000000, v0
                                        ; implicit-def: $vgpr0
.LBB6_1506:                             ;   in Loop: Header=BB6_130 Depth=2
	s_and_not1_saveexec_b32 s26, s26
; %bb.1507:                             ;   in Loop: Header=BB6_130 Depth=2
	v_bfe_i32 v0, v0, 0, 8
	s_delay_alu instid0(VALU_DEP_1) | instskip(SKIP_2) | instid1(VALU_DEP_2)
	v_cmp_lt_i16_e32 vcc_lo, -1, v0
	v_cndmask_b32_e32 v0, 0xff800000, v109, vcc_lo
	v_cmp_eq_u32_e32 vcc_lo, 0, v3
	v_cndmask_b32_e32 v1, 0x7f800001, v0, vcc_lo
; %bb.1508:                             ;   in Loop: Header=BB6_130 Depth=2
	s_or_b32 exec_lo, exec_lo, s26
.LBB6_1509:                             ;   in Loop: Header=BB6_130 Depth=2
	s_delay_alu instid0(SALU_CYCLE_1)
	s_or_b32 exec_lo, exec_lo, s25
.LBB6_1510:                             ;   in Loop: Header=BB6_130 Depth=2
	s_delay_alu instid0(SALU_CYCLE_1) | instskip(NEXT) | instid1(VALU_DEP_1)
	s_or_b32 exec_lo, exec_lo, s10
	v_dual_mul_f32 v0, v2, v1 :: v_dual_mov_b32 v3, v5
                                        ; implicit-def: $vgpr35
	s_mov_b32 s10, exec_lo
	s_delay_alu instid0(VALU_DEP_1) | instskip(SKIP_2) | instid1(VALU_DEP_3)
	v_and_b32_e32 v2, 0x7f800000, v0
	v_and_b32_e32 v4, 0x7fffff, v0
	v_lshrrev_b32_e32 v1, 24, v0
	v_cmpx_ne_u64_e32 0x7f800000, v[2:3]
	s_xor_b32 s25, exec_lo, s10
	s_cbranch_execz .LBB6_1524
; %bb.1511:                             ;   in Loop: Header=BB6_130 Depth=2
	v_and_b32_e32 v2, 0x7fffffff, v0
	v_mov_b32_e32 v3, v5
	v_and_b32_e32 v82, 0x80, v1
                                        ; implicit-def: $vgpr35
	s_mov_b32 s10, exec_lo
	s_delay_alu instid0(VALU_DEP_2)
	v_cmpx_gt_u64_e32 0x47600001, v[2:3]
	s_xor_b32 s26, exec_lo, s10
	s_cbranch_execz .LBB6_1521
; %bb.1512:                             ;   in Loop: Header=BB6_130 Depth=2
	v_mov_b32_e32 v35, 0
	s_mov_b32 s27, exec_lo
	v_cmpx_ne_u32_e32 0, v0
	s_cbranch_execz .LBB6_1520
; %bb.1513:                             ;   in Loop: Header=BB6_130 Depth=2
	v_bfe_u32 v35, v0, 23, 8
	v_or_b32_e32 v1, 0x800000, v4
	s_delay_alu instid0(VALU_DEP_2) | instskip(SKIP_2) | instid1(VALU_DEP_2)
	v_cmp_gt_u32_e64 s10, 0x72, v35
	v_sub_nc_u32_e32 v0, 0x71, v35
	v_cmp_eq_u32_e32 vcc_lo, 0, v35
	v_cndmask_b32_e64 v0, 0, v0, s10
	s_delay_alu instid0(VALU_DEP_1) | instskip(SKIP_1) | instid1(VALU_DEP_2)
	v_cndmask_b32_e64 v83, v0, 0x70, vcc_lo
	v_cndmask_b32_e32 v0, v1, v4, vcc_lo
	v_dual_mov_b32 v1, v5 :: v_dual_add_nc_u32 v2, 21, v83
	v_add_nc_u32_e32 v4, 20, v83
	s_delay_alu instid0(VALU_DEP_2) | instskip(NEXT) | instid1(VALU_DEP_2)
	v_lshlrev_b64_e64 v[2:3], v2, -1
	v_lshlrev_b64_e64 v[84:85], v4, 1
	s_delay_alu instid0(VALU_DEP_2) | instskip(SKIP_1) | instid1(VALU_DEP_4)
	v_bfi_b32 v2, v2, 0, v0
	v_lshrrev_b64 v[0:1], v83, v[0:1]
	v_bfi_b32 v3, v3, 0, 0
	s_delay_alu instid0(VALU_DEP_1) | instskip(NEXT) | instid1(VALU_DEP_3)
	v_cmp_eq_u64_e64 s10, v[2:3], v[84:85]
	v_mov_b64_e32 v[2:3], v[0:1]
	s_and_saveexec_b32 s28, s10
; %bb.1514:                             ;   in Loop: Header=BB6_130 Depth=2
	v_bfe_u32 v2, v0, 21, 1
	v_mov_b32_e32 v3, v5
	s_delay_alu instid0(VALU_DEP_1) | instskip(NEXT) | instid1(VALU_DEP_1)
	v_add_nc_u64_e32 v[2:3], v[0:1], v[2:3]
	v_add_nc_u64_e32 v[2:3], -1, v[2:3]
; %bb.1515:                             ;   in Loop: Header=BB6_130 Depth=2
	s_or_b32 exec_lo, exec_lo, s28
	v_add_nc_u32_e32 v1, 0xffffff81, v35
	v_lshrrev_b32_e32 v3, 23, v0
	s_mov_b32 s10, exec_lo
	s_delay_alu instid0(VALU_DEP_2) | instskip(NEXT) | instid1(VALU_DEP_1)
	v_cndmask_b32_e64 v1, v1, 0xffffff82, vcc_lo
	v_add3_u32 v3, v83, v1, v3
	v_and_b32_e32 v1, 0x1fffff, v2
                                        ; implicit-def: $vgpr2
	s_delay_alu instid0(VALU_DEP_1) | instskip(NEXT) | instid1(VALU_DEP_1)
	v_dual_add_nc_u32 v35, 14, v3 :: v_dual_add_nc_u32 v4, v1, v0
                                        ; implicit-def: $vgpr0_vgpr1
	v_cmpx_ne_u32_e32 0, v35
	s_xor_b32 s10, exec_lo, s10
; %bb.1516:                             ;   in Loop: Header=BB6_130 Depth=2
	s_delay_alu instid0(VALU_DEP_2) | instskip(SKIP_1) | instid1(VALU_DEP_1)
	v_cmp_lt_u64_e32 vcc_lo, 0xffffff, v[4:5]
	v_add_nc_u32_e32 v0, 15, v3
	v_cndmask_b32_e32 v2, v35, v0, vcc_lo
	v_cndmask_b32_e64 v0, 0, 1, vcc_lo
	s_delay_alu instid0(VALU_DEP_1)
	v_lshrrev_b64 v[0:1], v0, v[4:5]
; %bb.1517:                             ;   in Loop: Header=BB6_130 Depth=2
	s_and_not1_saveexec_b32 s10, s10
; %bb.1518:                             ;   in Loop: Header=BB6_130 Depth=2
	v_mov_b64_e32 v[0:1], v[4:5]
	v_bfe_u32 v2, v4, 23, 1
; %bb.1519:                             ;   in Loop: Header=BB6_130 Depth=2
	s_or_b32 exec_lo, exec_lo, s10
	s_delay_alu instid0(VALU_DEP_2) | instskip(NEXT) | instid1(VALU_DEP_2)
	v_lshrrev_b64 v[0:1], 21, v[0:1]
	v_cmp_gt_i32_e32 vcc_lo, 32, v2
	v_min_i32_e32 v3, 31, v2
	v_cmp_eq_u32_e64 s10, 0, v2
	s_delay_alu instid0(VALU_DEP_2) | instskip(SKIP_1) | instid1(VALU_DEP_2)
	v_dual_cndmask_b32 v1, 0, v1, vcc_lo :: v_dual_lshlrev_b32 v3, 2, v3
	v_cndmask_b32_e32 v0, 3, v0, vcc_lo
	v_and_b32_e32 v3, 0xfc, v3
	s_delay_alu instid0(VALU_DEP_2) | instskip(NEXT) | instid1(VALU_DEP_2)
	v_cmp_eq_u64_e32 vcc_lo, 0, v[0:1]
	v_and_or_b32 v0, v0, 3, v3
	s_and_b32 s10, s10, vcc_lo
	s_delay_alu instid0(VALU_DEP_1) | instid1(SALU_CYCLE_1)
	v_cndmask_b32_e64 v0, v0, 0, s10
	s_delay_alu instid0(VALU_DEP_1)
	v_or_b32_e32 v35, v0, v82
.LBB6_1520:                             ;   in Loop: Header=BB6_130 Depth=2
	s_or_b32 exec_lo, exec_lo, s27
                                        ; implicit-def: $vgpr82
.LBB6_1521:                             ;   in Loop: Header=BB6_130 Depth=2
	s_and_not1_saveexec_b32 s10, s26
; %bb.1522:                             ;   in Loop: Header=BB6_130 Depth=2
	v_or_b32_e32 v35, 0x7b, v82
; %bb.1523:                             ;   in Loop: Header=BB6_130 Depth=2
	s_or_b32 exec_lo, exec_lo, s10
                                        ; implicit-def: $vgpr0
                                        ; implicit-def: $vgpr1
.LBB6_1524:                             ;   in Loop: Header=BB6_130 Depth=2
	s_and_not1_saveexec_b32 s10, s25
	s_cbranch_execz .LBB6_1530
; %bb.1525:                             ;   in Loop: Header=BB6_130 Depth=2
	s_mov_b32 s25, exec_lo
                                        ; implicit-def: $vgpr35
	v_cmpx_ne_u64_e32 0, v[4:5]
	s_xor_b32 s25, exec_lo, s25
; %bb.1526:                             ;   in Loop: Header=BB6_130 Depth=2
	v_or_b32_e32 v35, 0x7f, v1
                                        ; implicit-def: $vgpr0
; %bb.1527:                             ;   in Loop: Header=BB6_130 Depth=2
	s_and_not1_saveexec_b32 s25, s25
; %bb.1528:                             ;   in Loop: Header=BB6_130 Depth=2
	v_cmp_lt_i32_e32 vcc_lo, -1, v0
	v_cndmask_b32_e32 v35, 0xfc, v108, vcc_lo
; %bb.1529:                             ;   in Loop: Header=BB6_130 Depth=2
	s_or_b32 exec_lo, exec_lo, s25
.LBB6_1530:                             ;   in Loop: Header=BB6_130 Depth=2
	s_delay_alu instid0(SALU_CYCLE_1)
	s_or_b32 exec_lo, exec_lo, s10
	v_dual_mov_b32 v1, 0 :: v_dual_mov_b32 v2, 0
	s_mov_b32 s10, exec_lo
	v_cmpx_lt_u32_e32 0xffffff, v22
	s_cbranch_execz .LBB6_1540
; %bb.1531:                             ;   in Loop: Header=BB6_130 Depth=2
	v_lshrrev_b32_e32 v0, 24, v22
	v_bfrev_b32_e32 v2, 1
	s_mov_b32 s25, exec_lo
	s_delay_alu instid0(VALU_DEP_2)
	v_cmpx_ne_u32_e32 0x80, v0
	s_cbranch_execz .LBB6_1539
; %bb.1532:                             ;   in Loop: Header=BB6_130 Depth=2
	v_and_b32_e32 v2, 0x7c000000, v22
	v_bfe_u32 v3, v22, 24, 2
	s_delay_alu instid0(VALU_DEP_2) | instskip(SKIP_1) | instid1(SALU_CYCLE_1)
	v_cmp_ne_u32_e32 vcc_lo, 0x7c000000, v2
                                        ; implicit-def: $vgpr2
	s_and_saveexec_b32 s26, vcc_lo
	s_xor_b32 s26, exec_lo, s26
	s_cbranch_execz .LBB6_1536
; %bb.1533:                             ;   in Loop: Header=BB6_130 Depth=2
	v_bfe_u32 v2, v22, 26, 5
	s_mov_b32 s27, exec_lo
	s_delay_alu instid0(VALU_DEP_1)
	v_cmpx_eq_u32_e32 0, v2
; %bb.1534:                             ;   in Loop: Header=BB6_130 Depth=2
	v_clz_i32_u32_e32 v2, v3
	s_delay_alu instid0(VALU_DEP_1) | instskip(NEXT) | instid1(VALU_DEP_1)
	v_min_u32_e32 v2, 32, v2
	v_subrev_nc_u32_e32 v3, 29, v2
	v_sub_nc_u32_e32 v2, 30, v2
	s_delay_alu instid0(VALU_DEP_2) | instskip(NEXT) | instid1(VALU_DEP_1)
	v_lshlrev_b64_e32 v[82:83], v3, v[0:1]
	v_and_b32_e32 v3, 3, v82
; %bb.1535:                             ;   in Loop: Header=BB6_130 Depth=2
	s_or_b32 exec_lo, exec_lo, s27
	v_and_b32_e32 v0, 0x80000000, v22
	s_delay_alu instid0(VALU_DEP_1) | instskip(NEXT) | instid1(VALU_DEP_1)
	v_lshl_add_u32 v0, v2, 23, v0
	v_lshl_or_b32 v0, v3, 21, v0
                                        ; implicit-def: $vgpr3
	s_delay_alu instid0(VALU_DEP_1)
	v_add_nc_u32_e32 v2, 0x38000000, v0
.LBB6_1536:                             ;   in Loop: Header=BB6_130 Depth=2
	s_and_not1_saveexec_b32 s26, s26
; %bb.1537:                             ;   in Loop: Header=BB6_130 Depth=2
	v_cmp_lt_i32_e32 vcc_lo, -1, v22
	v_cndmask_b32_e32 v0, 0xff800000, v109, vcc_lo
	v_cmp_eq_u32_e32 vcc_lo, 0, v3
	s_delay_alu instid0(VALU_DEP_2)
	v_cndmask_b32_e32 v2, 0x7f800001, v0, vcc_lo
; %bb.1538:                             ;   in Loop: Header=BB6_130 Depth=2
	s_or_b32 exec_lo, exec_lo, s26
.LBB6_1539:                             ;   in Loop: Header=BB6_130 Depth=2
	s_delay_alu instid0(SALU_CYCLE_1)
	s_or_b32 exec_lo, exec_lo, s25
.LBB6_1540:                             ;   in Loop: Header=BB6_130 Depth=2
	s_delay_alu instid0(SALU_CYCLE_1) | instskip(NEXT) | instid1(SALU_CYCLE_1)
	s_or_b32 exec_lo, exec_lo, s10
	s_mov_b32 s10, exec_lo
	v_cmpx_lt_u32_e32 0xffffff, v18
	s_cbranch_execz .LBB6_1550
; %bb.1541:                             ;   in Loop: Header=BB6_130 Depth=2
	v_lshrrev_b32_e32 v0, 24, v18
	v_bfrev_b32_e32 v1, 1
	s_mov_b32 s25, exec_lo
	s_delay_alu instid0(VALU_DEP_2)
	v_cmpx_ne_u32_e32 0x80, v0
	s_cbranch_execz .LBB6_1549
; %bb.1542:                             ;   in Loop: Header=BB6_130 Depth=2
	v_and_b32_e32 v1, 0x7c000000, v18
	v_bfe_u32 v3, v18, 24, 2
	s_delay_alu instid0(VALU_DEP_2) | instskip(SKIP_1) | instid1(SALU_CYCLE_1)
	v_cmp_ne_u32_e32 vcc_lo, 0x7c000000, v1
                                        ; implicit-def: $vgpr1
	s_and_saveexec_b32 s26, vcc_lo
	s_xor_b32 s26, exec_lo, s26
	s_cbranch_execz .LBB6_1546
; %bb.1543:                             ;   in Loop: Header=BB6_130 Depth=2
	v_bfe_u32 v1, v18, 26, 5
	s_mov_b32 s27, exec_lo
	s_delay_alu instid0(VALU_DEP_1)
	v_cmpx_eq_u32_e32 0, v1
; %bb.1544:                             ;   in Loop: Header=BB6_130 Depth=2
	v_clz_i32_u32_e32 v1, v3
	s_delay_alu instid0(VALU_DEP_1) | instskip(NEXT) | instid1(VALU_DEP_1)
	v_min_u32_e32 v3, 32, v1
	v_subrev_nc_u32_e32 v1, 29, v3
	s_delay_alu instid0(VALU_DEP_1) | instskip(NEXT) | instid1(VALU_DEP_1)
	v_lshlrev_b64_e32 v[0:1], v1, v[0:1]
	v_dual_sub_nc_u32 v1, 30, v3 :: v_dual_bitop2_b32 v3, 3, v0 bitop3:0x40
; %bb.1545:                             ;   in Loop: Header=BB6_130 Depth=2
	s_or_b32 exec_lo, exec_lo, s27
	v_and_b32_e32 v0, 0x80000000, v18
	s_delay_alu instid0(VALU_DEP_1) | instskip(NEXT) | instid1(VALU_DEP_1)
	v_lshl_add_u32 v0, v1, 23, v0
	v_lshl_or_b32 v0, v3, 21, v0
                                        ; implicit-def: $vgpr3
	s_delay_alu instid0(VALU_DEP_1)
	v_add_nc_u32_e32 v1, 0x38000000, v0
.LBB6_1546:                             ;   in Loop: Header=BB6_130 Depth=2
	s_and_not1_saveexec_b32 s26, s26
; %bb.1547:                             ;   in Loop: Header=BB6_130 Depth=2
	v_cmp_lt_i32_e32 vcc_lo, -1, v18
	v_cndmask_b32_e32 v0, 0xff800000, v109, vcc_lo
	v_cmp_eq_u32_e32 vcc_lo, 0, v3
	s_delay_alu instid0(VALU_DEP_2)
	v_cndmask_b32_e32 v1, 0x7f800001, v0, vcc_lo
; %bb.1548:                             ;   in Loop: Header=BB6_130 Depth=2
	s_or_b32 exec_lo, exec_lo, s26
.LBB6_1549:                             ;   in Loop: Header=BB6_130 Depth=2
	s_delay_alu instid0(SALU_CYCLE_1)
	s_or_b32 exec_lo, exec_lo, s25
.LBB6_1550:                             ;   in Loop: Header=BB6_130 Depth=2
	s_delay_alu instid0(SALU_CYCLE_1) | instskip(NEXT) | instid1(VALU_DEP_1)
	s_or_b32 exec_lo, exec_lo, s10
	v_dual_mul_f32 v0, v2, v1 :: v_dual_mov_b32 v3, v5
                                        ; implicit-def: $vgpr82
	s_mov_b32 s10, exec_lo
	s_delay_alu instid0(VALU_DEP_1) | instskip(SKIP_2) | instid1(VALU_DEP_3)
	v_and_b32_e32 v2, 0x7f800000, v0
	v_and_b32_e32 v4, 0x7fffff, v0
	v_lshrrev_b32_e32 v1, 24, v0
	v_cmpx_ne_u64_e32 0x7f800000, v[2:3]
	s_xor_b32 s25, exec_lo, s10
	s_cbranch_execz .LBB6_1564
; %bb.1551:                             ;   in Loop: Header=BB6_130 Depth=2
	v_and_b32_e32 v2, 0x7fffffff, v0
	v_mov_b32_e32 v3, v5
	v_and_b32_e32 v83, 0x80, v1
                                        ; implicit-def: $vgpr82
	s_mov_b32 s10, exec_lo
	s_delay_alu instid0(VALU_DEP_2)
	v_cmpx_gt_u64_e32 0x47600001, v[2:3]
	s_xor_b32 s26, exec_lo, s10
	s_cbranch_execz .LBB6_1561
; %bb.1552:                             ;   in Loop: Header=BB6_130 Depth=2
	v_mov_b32_e32 v82, 0
	s_mov_b32 s27, exec_lo
	v_cmpx_ne_u32_e32 0, v0
	s_cbranch_execz .LBB6_1560
; %bb.1553:                             ;   in Loop: Header=BB6_130 Depth=2
	v_bfe_u32 v82, v0, 23, 8
	v_or_b32_e32 v1, 0x800000, v4
	s_delay_alu instid0(VALU_DEP_2) | instskip(SKIP_2) | instid1(VALU_DEP_2)
	v_cmp_gt_u32_e64 s10, 0x72, v82
	v_sub_nc_u32_e32 v0, 0x71, v82
	v_cmp_eq_u32_e32 vcc_lo, 0, v82
	v_cndmask_b32_e64 v0, 0, v0, s10
	s_delay_alu instid0(VALU_DEP_1) | instskip(SKIP_1) | instid1(VALU_DEP_2)
	v_cndmask_b32_e64 v84, v0, 0x70, vcc_lo
	v_cndmask_b32_e32 v0, v1, v4, vcc_lo
	v_dual_mov_b32 v1, v5 :: v_dual_add_nc_u32 v2, 21, v84
	v_add_nc_u32_e32 v4, 20, v84
	s_delay_alu instid0(VALU_DEP_2) | instskip(NEXT) | instid1(VALU_DEP_2)
	v_lshlrev_b64_e64 v[2:3], v2, -1
	v_lshlrev_b64_e64 v[86:87], v4, 1
	s_delay_alu instid0(VALU_DEP_2) | instskip(SKIP_1) | instid1(VALU_DEP_4)
	v_bfi_b32 v2, v2, 0, v0
	v_lshrrev_b64 v[0:1], v84, v[0:1]
	v_bfi_b32 v3, v3, 0, 0
	s_delay_alu instid0(VALU_DEP_1) | instskip(NEXT) | instid1(VALU_DEP_3)
	v_cmp_eq_u64_e64 s10, v[2:3], v[86:87]
	v_mov_b64_e32 v[2:3], v[0:1]
	s_and_saveexec_b32 s28, s10
; %bb.1554:                             ;   in Loop: Header=BB6_130 Depth=2
	v_bfe_u32 v2, v0, 21, 1
	v_mov_b32_e32 v3, v5
	s_delay_alu instid0(VALU_DEP_1) | instskip(NEXT) | instid1(VALU_DEP_1)
	v_add_nc_u64_e32 v[2:3], v[0:1], v[2:3]
	v_add_nc_u64_e32 v[2:3], -1, v[2:3]
; %bb.1555:                             ;   in Loop: Header=BB6_130 Depth=2
	s_or_b32 exec_lo, exec_lo, s28
	v_add_nc_u32_e32 v1, 0xffffff81, v82
	v_lshrrev_b32_e32 v3, 23, v0
	s_mov_b32 s10, exec_lo
	s_delay_alu instid0(VALU_DEP_2) | instskip(NEXT) | instid1(VALU_DEP_1)
	v_cndmask_b32_e64 v1, v1, 0xffffff82, vcc_lo
	v_add3_u32 v3, v84, v1, v3
	v_and_b32_e32 v1, 0x1fffff, v2
                                        ; implicit-def: $vgpr2
	s_delay_alu instid0(VALU_DEP_1) | instskip(NEXT) | instid1(VALU_DEP_1)
	v_dual_add_nc_u32 v82, 14, v3 :: v_dual_add_nc_u32 v4, v1, v0
                                        ; implicit-def: $vgpr0_vgpr1
	v_cmpx_ne_u32_e32 0, v82
	s_xor_b32 s10, exec_lo, s10
; %bb.1556:                             ;   in Loop: Header=BB6_130 Depth=2
	s_delay_alu instid0(VALU_DEP_2) | instskip(SKIP_1) | instid1(VALU_DEP_1)
	v_cmp_lt_u64_e32 vcc_lo, 0xffffff, v[4:5]
	v_add_nc_u32_e32 v0, 15, v3
	v_cndmask_b32_e32 v2, v82, v0, vcc_lo
	v_cndmask_b32_e64 v0, 0, 1, vcc_lo
	s_delay_alu instid0(VALU_DEP_1)
	v_lshrrev_b64 v[0:1], v0, v[4:5]
; %bb.1557:                             ;   in Loop: Header=BB6_130 Depth=2
	s_and_not1_saveexec_b32 s10, s10
; %bb.1558:                             ;   in Loop: Header=BB6_130 Depth=2
	v_mov_b64_e32 v[0:1], v[4:5]
	v_bfe_u32 v2, v4, 23, 1
; %bb.1559:                             ;   in Loop: Header=BB6_130 Depth=2
	s_or_b32 exec_lo, exec_lo, s10
	s_delay_alu instid0(VALU_DEP_2) | instskip(NEXT) | instid1(VALU_DEP_2)
	v_lshrrev_b64 v[0:1], 21, v[0:1]
	v_cmp_gt_i32_e32 vcc_lo, 32, v2
	v_min_i32_e32 v3, 31, v2
	v_cmp_eq_u32_e64 s10, 0, v2
	s_delay_alu instid0(VALU_DEP_2) | instskip(SKIP_1) | instid1(VALU_DEP_2)
	v_dual_cndmask_b32 v1, 0, v1, vcc_lo :: v_dual_lshlrev_b32 v3, 2, v3
	v_cndmask_b32_e32 v0, 3, v0, vcc_lo
	v_and_b32_e32 v3, 0xfc, v3
	s_delay_alu instid0(VALU_DEP_2) | instskip(NEXT) | instid1(VALU_DEP_2)
	v_cmp_eq_u64_e32 vcc_lo, 0, v[0:1]
	v_and_or_b32 v0, v0, 3, v3
	s_and_b32 s10, s10, vcc_lo
	s_delay_alu instid0(VALU_DEP_1) | instid1(SALU_CYCLE_1)
	v_cndmask_b32_e64 v0, v0, 0, s10
	s_delay_alu instid0(VALU_DEP_1)
	v_or_b32_e32 v82, v0, v83
.LBB6_1560:                             ;   in Loop: Header=BB6_130 Depth=2
	s_or_b32 exec_lo, exec_lo, s27
                                        ; implicit-def: $vgpr83
.LBB6_1561:                             ;   in Loop: Header=BB6_130 Depth=2
	s_and_not1_saveexec_b32 s10, s26
; %bb.1562:                             ;   in Loop: Header=BB6_130 Depth=2
	v_or_b32_e32 v82, 0x7b, v83
; %bb.1563:                             ;   in Loop: Header=BB6_130 Depth=2
	s_or_b32 exec_lo, exec_lo, s10
                                        ; implicit-def: $vgpr0
                                        ; implicit-def: $vgpr1
.LBB6_1564:                             ;   in Loop: Header=BB6_130 Depth=2
	s_and_not1_saveexec_b32 s10, s25
	s_cbranch_execz .LBB6_1570
; %bb.1565:                             ;   in Loop: Header=BB6_130 Depth=2
	s_mov_b32 s25, exec_lo
                                        ; implicit-def: $vgpr82
	v_cmpx_ne_u64_e32 0, v[4:5]
	s_xor_b32 s25, exec_lo, s25
; %bb.1566:                             ;   in Loop: Header=BB6_130 Depth=2
	v_or_b32_e32 v82, 0x7f, v1
                                        ; implicit-def: $vgpr0
; %bb.1567:                             ;   in Loop: Header=BB6_130 Depth=2
	s_and_not1_saveexec_b32 s25, s25
; %bb.1568:                             ;   in Loop: Header=BB6_130 Depth=2
	v_cmp_lt_i32_e32 vcc_lo, -1, v0
	v_cndmask_b32_e32 v82, 0xfc, v108, vcc_lo
; %bb.1569:                             ;   in Loop: Header=BB6_130 Depth=2
	s_or_b32 exec_lo, exec_lo, s25
.LBB6_1570:                             ;   in Loop: Header=BB6_130 Depth=2
	s_delay_alu instid0(SALU_CYCLE_1) | instskip(SKIP_4) | instid1(VALU_DEP_3)
	s_or_b32 exec_lo, exec_lo, s10
	v_and_b32_e32 v2, 0xff, v23
	v_dual_mov_b32 v4, v23 :: v_dual_mov_b32 v1, 0
	v_mov_b32_e32 v0, 0
	s_mov_b32 s10, exec_lo
	v_cmpx_ne_u16_e32 0, v2
	s_cbranch_execz .LBB6_1580
; %bb.1571:                             ;   in Loop: Header=BB6_130 Depth=2
	v_bfrev_b32_e32 v0, 1
	s_mov_b32 s25, exec_lo
	v_cmpx_ne_u16_e32 0x80, v2
	s_cbranch_execz .LBB6_1579
; %bb.1572:                             ;   in Loop: Header=BB6_130 Depth=2
	v_and_b32_e32 v0, 0x7c, v23
	v_and_b32_e32 v2, 3, v23
	s_delay_alu instid0(VALU_DEP_2) | instskip(SKIP_1) | instid1(SALU_CYCLE_1)
	v_cmp_ne_u32_e32 vcc_lo, 0x7c, v0
                                        ; implicit-def: $vgpr0
	s_and_saveexec_b32 s26, vcc_lo
	s_xor_b32 s26, exec_lo, s26
	s_cbranch_execz .LBB6_1576
; %bb.1573:                             ;   in Loop: Header=BB6_130 Depth=2
	v_bfe_u32 v0, v23, 2, 5
	s_mov_b32 s27, exec_lo
	s_delay_alu instid0(VALU_DEP_1)
	v_cmpx_eq_u32_e32 0, v0
; %bb.1574:                             ;   in Loop: Header=BB6_130 Depth=2
	v_clz_i32_u32_e32 v0, v2
	s_delay_alu instid0(VALU_DEP_1) | instskip(NEXT) | instid1(VALU_DEP_1)
	v_min_u32_e32 v0, 32, v0
	v_subrev_nc_u32_e32 v2, 29, v0
	s_delay_alu instid0(VALU_DEP_1) | instskip(NEXT) | instid1(VALU_DEP_1)
	v_lshlrev_b64_e32 v[2:3], v2, v[4:5]
	v_dual_sub_nc_u32 v0, 30, v0 :: v_dual_bitop2_b32 v2, 3, v2 bitop3:0x40
; %bb.1575:                             ;   in Loop: Header=BB6_130 Depth=2
	s_or_b32 exec_lo, exec_lo, s27
	v_lshlrev_b32_e32 v3, 24, v23
	s_delay_alu instid0(VALU_DEP_1) | instskip(NEXT) | instid1(VALU_DEP_1)
	v_and_b32_e32 v3, 0x80000000, v3
	v_lshl_add_u32 v0, v0, 23, v3
	s_delay_alu instid0(VALU_DEP_1) | instskip(NEXT) | instid1(VALU_DEP_1)
	v_lshl_or_b32 v0, v2, 21, v0
                                        ; implicit-def: $vgpr2
	v_add_nc_u32_e32 v0, 0x38000000, v0
.LBB6_1576:                             ;   in Loop: Header=BB6_130 Depth=2
	s_and_not1_saveexec_b32 s26, s26
; %bb.1577:                             ;   in Loop: Header=BB6_130 Depth=2
	v_bfe_i32 v0, v23, 0, 8
	s_delay_alu instid0(VALU_DEP_1) | instskip(SKIP_2) | instid1(VALU_DEP_2)
	v_cmp_lt_i16_e32 vcc_lo, -1, v0
	v_cndmask_b32_e32 v0, 0xff800000, v109, vcc_lo
	v_cmp_eq_u32_e32 vcc_lo, 0, v2
	v_cndmask_b32_e32 v0, 0x7f800001, v0, vcc_lo
; %bb.1578:                             ;   in Loop: Header=BB6_130 Depth=2
	s_or_b32 exec_lo, exec_lo, s26
.LBB6_1579:                             ;   in Loop: Header=BB6_130 Depth=2
	s_delay_alu instid0(SALU_CYCLE_1)
	s_or_b32 exec_lo, exec_lo, s25
.LBB6_1580:                             ;   in Loop: Header=BB6_130 Depth=2
	s_delay_alu instid0(SALU_CYCLE_1) | instskip(SKIP_2) | instid1(VALU_DEP_1)
	s_or_b32 exec_lo, exec_lo, s10
	v_and_b32_e32 v2, 0xff, v19
	s_mov_b32 s10, exec_lo
	v_cmpx_ne_u16_e32 0, v2
	s_cbranch_execz .LBB6_1590
; %bb.1581:                             ;   in Loop: Header=BB6_130 Depth=2
	v_bfrev_b32_e32 v1, 1
	s_mov_b32 s25, exec_lo
	v_cmpx_ne_u16_e32 0x80, v2
	s_cbranch_execz .LBB6_1589
; %bb.1582:                             ;   in Loop: Header=BB6_130 Depth=2
	v_and_b32_e32 v1, 0x7c, v19
	v_and_b32_e32 v2, 3, v19
	s_delay_alu instid0(VALU_DEP_2) | instskip(SKIP_1) | instid1(SALU_CYCLE_1)
	v_cmp_ne_u32_e32 vcc_lo, 0x7c, v1
                                        ; implicit-def: $vgpr1
	s_and_saveexec_b32 s26, vcc_lo
	s_xor_b32 s26, exec_lo, s26
	s_cbranch_execz .LBB6_1586
; %bb.1583:                             ;   in Loop: Header=BB6_130 Depth=2
	v_bfe_u32 v1, v19, 2, 5
	s_mov_b32 s27, exec_lo
	s_delay_alu instid0(VALU_DEP_1)
	v_cmpx_eq_u32_e32 0, v1
; %bb.1584:                             ;   in Loop: Header=BB6_130 Depth=2
	v_clz_i32_u32_e32 v1, v2
	v_dual_mov_b32 v2, v19 :: v_dual_mov_b32 v3, v5
	s_delay_alu instid0(VALU_DEP_2) | instskip(NEXT) | instid1(VALU_DEP_1)
	v_min_u32_e32 v1, 32, v1
	v_subrev_nc_u32_e32 v83, 29, v1
	s_delay_alu instid0(VALU_DEP_1) | instskip(NEXT) | instid1(VALU_DEP_1)
	v_lshlrev_b64_e32 v[2:3], v83, v[2:3]
	v_dual_sub_nc_u32 v1, 30, v1 :: v_dual_bitop2_b32 v2, 3, v2 bitop3:0x40
; %bb.1585:                             ;   in Loop: Header=BB6_130 Depth=2
	s_or_b32 exec_lo, exec_lo, s27
	v_lshlrev_b32_e32 v3, 24, v19
	s_delay_alu instid0(VALU_DEP_1) | instskip(NEXT) | instid1(VALU_DEP_1)
	v_and_b32_e32 v3, 0x80000000, v3
	v_lshl_add_u32 v1, v1, 23, v3
	s_delay_alu instid0(VALU_DEP_1) | instskip(NEXT) | instid1(VALU_DEP_1)
	v_lshl_or_b32 v1, v2, 21, v1
                                        ; implicit-def: $vgpr2
	v_add_nc_u32_e32 v1, 0x38000000, v1
.LBB6_1586:                             ;   in Loop: Header=BB6_130 Depth=2
	s_and_not1_saveexec_b32 s26, s26
; %bb.1587:                             ;   in Loop: Header=BB6_130 Depth=2
	v_bfe_i32 v1, v19, 0, 8
	s_delay_alu instid0(VALU_DEP_1) | instskip(SKIP_2) | instid1(VALU_DEP_2)
	v_cmp_lt_i16_e32 vcc_lo, -1, v1
	v_cndmask_b32_e32 v1, 0xff800000, v109, vcc_lo
	v_cmp_eq_u32_e32 vcc_lo, 0, v2
	v_cndmask_b32_e32 v1, 0x7f800001, v1, vcc_lo
; %bb.1588:                             ;   in Loop: Header=BB6_130 Depth=2
	s_or_b32 exec_lo, exec_lo, s26
.LBB6_1589:                             ;   in Loop: Header=BB6_130 Depth=2
	s_delay_alu instid0(SALU_CYCLE_1)
	s_or_b32 exec_lo, exec_lo, s25
.LBB6_1590:                             ;   in Loop: Header=BB6_130 Depth=2
	s_delay_alu instid0(SALU_CYCLE_1) | instskip(NEXT) | instid1(VALU_DEP_1)
	s_or_b32 exec_lo, exec_lo, s10
	v_dual_mul_f32 v2, v0, v1 :: v_dual_mov_b32 v85, v5
	v_mov_b32_e32 v1, v5
                                        ; implicit-def: $vgpr83
	s_mov_b32 s10, exec_lo
	s_delay_alu instid0(VALU_DEP_2) | instskip(SKIP_2) | instid1(VALU_DEP_3)
	v_and_b32_e32 v84, 0x7f800000, v2
	v_and_b32_e32 v0, 0x7fffff, v2
	v_lshrrev_b32_e32 v3, 24, v2
	v_cmpx_ne_u64_e32 0x7f800000, v[84:85]
	s_xor_b32 s25, exec_lo, s10
	s_cbranch_execz .LBB6_1604
; %bb.1591:                             ;   in Loop: Header=BB6_130 Depth=2
	v_and_b32_e32 v84, 0x7fffffff, v2
	v_mov_b32_e32 v85, v5
                                        ; implicit-def: $vgpr83
	s_delay_alu instid0(VALU_DEP_1) | instskip(SKIP_2) | instid1(SALU_CYCLE_1)
	v_cmp_gt_u64_e32 vcc_lo, 0x47600001, v[84:85]
	v_and_b32_e32 v84, 0x80, v3
	s_and_saveexec_b32 s10, vcc_lo
	s_xor_b32 s26, exec_lo, s10
	s_cbranch_execz .LBB6_1601
; %bb.1592:                             ;   in Loop: Header=BB6_130 Depth=2
	v_mov_b32_e32 v83, 0
	s_mov_b32 s27, exec_lo
	v_cmpx_ne_u32_e32 0, v2
	s_cbranch_execz .LBB6_1600
; %bb.1593:                             ;   in Loop: Header=BB6_130 Depth=2
	v_bfe_u32 v83, v2, 23, 8
	v_or_b32_e32 v3, 0x800000, v0
	s_delay_alu instid0(VALU_DEP_2) | instskip(SKIP_2) | instid1(VALU_DEP_2)
	v_cmp_gt_u32_e64 s10, 0x72, v83
	v_sub_nc_u32_e32 v2, 0x71, v83
	v_cmp_eq_u32_e32 vcc_lo, 0, v83
	v_dual_cndmask_b32 v2, 0, v2, s10 :: v_dual_cndmask_b32 v0, v3, v0, vcc_lo
	s_delay_alu instid0(VALU_DEP_1) | instskip(NEXT) | instid1(VALU_DEP_1)
	v_cndmask_b32_e64 v85, v2, 0x70, vcc_lo
	v_dual_add_nc_u32 v2, 21, v85 :: v_dual_add_nc_u32 v86, 20, v85
	s_delay_alu instid0(VALU_DEP_1) | instskip(NEXT) | instid1(VALU_DEP_2)
	v_lshlrev_b64_e64 v[2:3], v2, -1
	v_lshlrev_b64_e64 v[86:87], v86, 1
	s_delay_alu instid0(VALU_DEP_2) | instskip(SKIP_1) | instid1(VALU_DEP_4)
	v_bfi_b32 v2, v2, 0, v0
	v_lshrrev_b64 v[0:1], v85, v[0:1]
	v_bfi_b32 v3, v3, 0, 0
	s_delay_alu instid0(VALU_DEP_1) | instskip(NEXT) | instid1(VALU_DEP_3)
	v_cmp_eq_u64_e64 s10, v[2:3], v[86:87]
	v_mov_b64_e32 v[2:3], v[0:1]
	s_and_saveexec_b32 s28, s10
; %bb.1594:                             ;   in Loop: Header=BB6_130 Depth=2
	v_bfe_u32 v2, v0, 21, 1
	v_mov_b32_e32 v3, v5
	s_delay_alu instid0(VALU_DEP_1) | instskip(NEXT) | instid1(VALU_DEP_1)
	v_add_nc_u64_e32 v[2:3], v[0:1], v[2:3]
	v_add_nc_u64_e32 v[2:3], -1, v[2:3]
; %bb.1595:                             ;   in Loop: Header=BB6_130 Depth=2
	s_or_b32 exec_lo, exec_lo, s28
	v_add_nc_u32_e32 v1, 0xffffff81, v83
	v_lshrrev_b32_e32 v3, 23, v0
	s_mov_b32 s10, exec_lo
	s_delay_alu instid0(VALU_DEP_2) | instskip(NEXT) | instid1(VALU_DEP_1)
	v_cndmask_b32_e64 v1, v1, 0xffffff82, vcc_lo
	v_add3_u32 v3, v85, v1, v3
	v_and_b32_e32 v1, 0x1fffff, v2
                                        ; implicit-def: $vgpr2
	s_delay_alu instid0(VALU_DEP_1) | instskip(SKIP_1) | instid1(VALU_DEP_2)
	v_dual_add_nc_u32 v83, 14, v3 :: v_dual_add_nc_u32 v0, v1, v0
	v_mov_b32_e32 v1, v5
	v_cmpx_ne_u32_e32 0, v83
	s_xor_b32 s10, exec_lo, s10
; %bb.1596:                             ;   in Loop: Header=BB6_130 Depth=2
	s_delay_alu instid0(VALU_DEP_2) | instskip(SKIP_2) | instid1(VALU_DEP_2)
	v_cmp_lt_u64_e32 vcc_lo, 0xffffff, v[0:1]
	v_add_nc_u32_e32 v2, 15, v3
	v_cndmask_b32_e64 v3, 0, 1, vcc_lo
	v_cndmask_b32_e32 v2, v83, v2, vcc_lo
	s_delay_alu instid0(VALU_DEP_2)
	v_lshrrev_b64 v[0:1], v3, v[0:1]
; %bb.1597:                             ;   in Loop: Header=BB6_130 Depth=2
	s_and_not1_saveexec_b32 s10, s10
; %bb.1598:                             ;   in Loop: Header=BB6_130 Depth=2
	s_delay_alu instid0(VALU_DEP_1)
	v_bfe_u32 v2, v0, 23, 1
; %bb.1599:                             ;   in Loop: Header=BB6_130 Depth=2
	s_or_b32 exec_lo, exec_lo, s10
	s_delay_alu instid0(VALU_DEP_2) | instskip(NEXT) | instid1(VALU_DEP_2)
	v_lshrrev_b64 v[0:1], 21, v[0:1]
	v_cmp_gt_i32_e32 vcc_lo, 32, v2
	v_min_i32_e32 v3, 31, v2
	v_cmp_eq_u32_e64 s10, 0, v2
	s_delay_alu instid0(VALU_DEP_2) | instskip(SKIP_1) | instid1(VALU_DEP_2)
	v_dual_cndmask_b32 v1, 0, v1, vcc_lo :: v_dual_lshlrev_b32 v3, 2, v3
	v_cndmask_b32_e32 v0, 3, v0, vcc_lo
	v_and_b32_e32 v3, 0xfc, v3
	s_delay_alu instid0(VALU_DEP_2) | instskip(NEXT) | instid1(VALU_DEP_2)
	v_cmp_eq_u64_e32 vcc_lo, 0, v[0:1]
	v_and_or_b32 v0, v0, 3, v3
	s_and_b32 s10, s10, vcc_lo
	s_delay_alu instid0(VALU_DEP_1) | instid1(SALU_CYCLE_1)
	v_cndmask_b32_e64 v0, v0, 0, s10
	s_delay_alu instid0(VALU_DEP_1)
	v_or_b32_e32 v83, v0, v84
.LBB6_1600:                             ;   in Loop: Header=BB6_130 Depth=2
	s_or_b32 exec_lo, exec_lo, s27
                                        ; implicit-def: $vgpr84
.LBB6_1601:                             ;   in Loop: Header=BB6_130 Depth=2
	s_and_not1_saveexec_b32 s10, s26
; %bb.1602:                             ;   in Loop: Header=BB6_130 Depth=2
	v_or_b32_e32 v83, 0x7b, v84
; %bb.1603:                             ;   in Loop: Header=BB6_130 Depth=2
	s_or_b32 exec_lo, exec_lo, s10
                                        ; implicit-def: $vgpr2
                                        ; implicit-def: $vgpr0_vgpr1
                                        ; implicit-def: $vgpr3
.LBB6_1604:                             ;   in Loop: Header=BB6_130 Depth=2
	s_and_not1_saveexec_b32 s10, s25
	s_cbranch_execz .LBB6_1610
; %bb.1605:                             ;   in Loop: Header=BB6_130 Depth=2
	s_mov_b32 s25, exec_lo
                                        ; implicit-def: $vgpr83
	v_cmpx_ne_u64_e32 0, v[0:1]
	s_xor_b32 s25, exec_lo, s25
; %bb.1606:                             ;   in Loop: Header=BB6_130 Depth=2
	v_or_b32_e32 v83, 0x7f, v3
                                        ; implicit-def: $vgpr2
; %bb.1607:                             ;   in Loop: Header=BB6_130 Depth=2
	s_and_not1_saveexec_b32 s25, s25
; %bb.1608:                             ;   in Loop: Header=BB6_130 Depth=2
	v_cmp_lt_i32_e32 vcc_lo, -1, v2
	v_cndmask_b32_e32 v83, 0xfc, v108, vcc_lo
; %bb.1609:                             ;   in Loop: Header=BB6_130 Depth=2
	s_or_b32 exec_lo, exec_lo, s25
.LBB6_1610:                             ;   in Loop: Header=BB6_130 Depth=2
	s_delay_alu instid0(SALU_CYCLE_1) | instskip(SKIP_3) | instid1(VALU_DEP_2)
	s_or_b32 exec_lo, exec_lo, s10
	v_lshrrev_b16 v0, 8, v4
	v_dual_mov_b32 v2, 0 :: v_dual_mov_b32 v3, 0
	s_mov_b32 s10, exec_lo
	v_cmpx_ne_u16_e32 0, v0
	s_cbranch_execz .LBB6_1620
; %bb.1611:                             ;   in Loop: Header=BB6_130 Depth=2
	v_bfrev_b32_e32 v3, 1
	s_mov_b32 s25, exec_lo
	v_cmpx_ne_u16_e32 0x80, v0
	s_cbranch_execz .LBB6_1619
; %bb.1612:                             ;   in Loop: Header=BB6_130 Depth=2
	v_and_b32_e32 v84, 0xffff, v0
	s_delay_alu instid0(VALU_DEP_1) | instskip(SKIP_1) | instid1(VALU_DEP_2)
	v_and_b32_e32 v3, 0x7c, v84
	v_and_b32_e32 v1, 3, v84
	v_cmp_ne_u32_e32 vcc_lo, 0x7c, v3
                                        ; implicit-def: $vgpr3
	s_and_saveexec_b32 s26, vcc_lo
	s_delay_alu instid0(SALU_CYCLE_1)
	s_xor_b32 s26, exec_lo, s26
	s_cbranch_execz .LBB6_1616
; %bb.1613:                             ;   in Loop: Header=BB6_130 Depth=2
	v_bfe_u32 v3, v84, 2, 5
	s_mov_b32 s27, exec_lo
	s_delay_alu instid0(VALU_DEP_1)
	v_cmpx_eq_u32_e32 0, v3
	s_cbranch_execz .LBB6_1615
; %bb.1614:                             ;   in Loop: Header=BB6_130 Depth=2
	v_clz_i32_u32_e32 v1, v1
	s_delay_alu instid0(VALU_DEP_1) | instskip(SKIP_1) | instid1(VALU_DEP_2)
	v_min_u32_e32 v3, 32, v1
	v_mov_b32_e32 v1, v5
	v_subrev_nc_u32_e32 v84, 29, v3
	v_sub_nc_u32_e32 v3, 30, v3
	s_delay_alu instid0(VALU_DEP_2) | instskip(NEXT) | instid1(VALU_DEP_1)
	v_lshlrev_b64_e32 v[0:1], v84, v[0:1]
	v_and_b32_e32 v1, 3, v0
.LBB6_1615:                             ;   in Loop: Header=BB6_130 Depth=2
	s_or_b32 exec_lo, exec_lo, s27
	v_lshlrev_b32_e32 v0, 16, v4
	s_delay_alu instid0(VALU_DEP_1) | instskip(NEXT) | instid1(VALU_DEP_1)
	v_and_b32_e32 v0, 0x80000000, v0
	v_lshl_add_u32 v0, v3, 23, v0
	s_delay_alu instid0(VALU_DEP_1) | instskip(NEXT) | instid1(VALU_DEP_1)
	v_lshl_or_b32 v0, v1, 21, v0
                                        ; implicit-def: $vgpr1
	v_add_nc_u32_e32 v3, 0x38000000, v0
.LBB6_1616:                             ;   in Loop: Header=BB6_130 Depth=2
	s_and_not1_saveexec_b32 s26, s26
; %bb.1617:                             ;   in Loop: Header=BB6_130 Depth=2
	v_cmp_lt_i16_e32 vcc_lo, -1, v4
	v_cndmask_b32_e32 v0, 0xff800000, v109, vcc_lo
	v_cmp_eq_u32_e32 vcc_lo, 0, v1
	s_delay_alu instid0(VALU_DEP_2)
	v_cndmask_b32_e32 v3, 0x7f800001, v0, vcc_lo
; %bb.1618:                             ;   in Loop: Header=BB6_130 Depth=2
	s_or_b32 exec_lo, exec_lo, s26
.LBB6_1619:                             ;   in Loop: Header=BB6_130 Depth=2
	s_delay_alu instid0(SALU_CYCLE_1)
	s_or_b32 exec_lo, exec_lo, s25
.LBB6_1620:                             ;   in Loop: Header=BB6_130 Depth=2
	s_delay_alu instid0(SALU_CYCLE_1) | instskip(SKIP_2) | instid1(VALU_DEP_1)
	s_or_b32 exec_lo, exec_lo, s10
	v_lshrrev_b16 v0, 8, v19
	s_mov_b32 s10, exec_lo
	v_cmpx_ne_u16_e32 0, v0
	s_cbranch_execz .LBB6_1630
; %bb.1621:                             ;   in Loop: Header=BB6_130 Depth=2
	v_bfrev_b32_e32 v2, 1
	s_mov_b32 s25, exec_lo
	v_cmpx_ne_u16_e32 0x80, v0
	s_cbranch_execz .LBB6_1629
; %bb.1622:                             ;   in Loop: Header=BB6_130 Depth=2
	v_and_b32_e32 v4, 0xffff, v0
	s_delay_alu instid0(VALU_DEP_1) | instskip(SKIP_1) | instid1(VALU_DEP_2)
	v_and_b32_e32 v2, 0x7c, v4
	v_and_b32_e32 v1, 3, v4
	v_cmp_ne_u32_e32 vcc_lo, 0x7c, v2
                                        ; implicit-def: $vgpr2
	s_and_saveexec_b32 s26, vcc_lo
	s_delay_alu instid0(SALU_CYCLE_1)
	s_xor_b32 s26, exec_lo, s26
	s_cbranch_execz .LBB6_1626
; %bb.1623:                             ;   in Loop: Header=BB6_130 Depth=2
	v_bfe_u32 v2, v4, 2, 5
	s_mov_b32 s27, exec_lo
	s_delay_alu instid0(VALU_DEP_1)
	v_cmpx_eq_u32_e32 0, v2
	s_cbranch_execz .LBB6_1625
; %bb.1624:                             ;   in Loop: Header=BB6_130 Depth=2
	v_clz_i32_u32_e32 v1, v1
	s_delay_alu instid0(VALU_DEP_1) | instskip(SKIP_1) | instid1(VALU_DEP_2)
	v_min_u32_e32 v2, 32, v1
	v_mov_b32_e32 v1, v5
	v_subrev_nc_u32_e32 v4, 29, v2
	v_sub_nc_u32_e32 v2, 30, v2
	s_delay_alu instid0(VALU_DEP_2) | instskip(NEXT) | instid1(VALU_DEP_1)
	v_lshlrev_b64_e32 v[0:1], v4, v[0:1]
	v_and_b32_e32 v1, 3, v0
.LBB6_1625:                             ;   in Loop: Header=BB6_130 Depth=2
	s_or_b32 exec_lo, exec_lo, s27
	v_lshlrev_b32_e32 v0, 16, v19
	s_delay_alu instid0(VALU_DEP_1) | instskip(NEXT) | instid1(VALU_DEP_1)
	v_and_b32_e32 v0, 0x80000000, v0
	v_lshl_add_u32 v0, v2, 23, v0
	s_delay_alu instid0(VALU_DEP_1) | instskip(NEXT) | instid1(VALU_DEP_1)
	v_lshl_or_b32 v0, v1, 21, v0
                                        ; implicit-def: $vgpr1
	v_add_nc_u32_e32 v2, 0x38000000, v0
.LBB6_1626:                             ;   in Loop: Header=BB6_130 Depth=2
	s_and_not1_saveexec_b32 s26, s26
; %bb.1627:                             ;   in Loop: Header=BB6_130 Depth=2
	v_cmp_lt_i16_e32 vcc_lo, -1, v19
	v_cndmask_b32_e32 v0, 0xff800000, v109, vcc_lo
	v_cmp_eq_u32_e32 vcc_lo, 0, v1
	s_delay_alu instid0(VALU_DEP_2)
	v_cndmask_b32_e32 v2, 0x7f800001, v0, vcc_lo
; %bb.1628:                             ;   in Loop: Header=BB6_130 Depth=2
	s_or_b32 exec_lo, exec_lo, s26
.LBB6_1629:                             ;   in Loop: Header=BB6_130 Depth=2
	s_delay_alu instid0(SALU_CYCLE_1)
	s_or_b32 exec_lo, exec_lo, s25
.LBB6_1630:                             ;   in Loop: Header=BB6_130 Depth=2
	s_delay_alu instid0(SALU_CYCLE_1) | instskip(NEXT) | instid1(VALU_DEP_1)
	s_or_b32 exec_lo, exec_lo, s10
	v_dual_mul_f32 v0, v3, v2 :: v_dual_mov_b32 v3, v5
                                        ; implicit-def: $vgpr84
	s_mov_b32 s10, exec_lo
	s_delay_alu instid0(VALU_DEP_1) | instskip(SKIP_2) | instid1(VALU_DEP_3)
	v_and_b32_e32 v2, 0x7f800000, v0
	v_and_b32_e32 v4, 0x7fffff, v0
	v_lshrrev_b32_e32 v1, 24, v0
	v_cmpx_ne_u64_e32 0x7f800000, v[2:3]
	s_xor_b32 s25, exec_lo, s10
	s_cbranch_execz .LBB6_1644
; %bb.1631:                             ;   in Loop: Header=BB6_130 Depth=2
	v_and_b32_e32 v2, 0x7fffffff, v0
	v_mov_b32_e32 v3, v5
	v_and_b32_e32 v85, 0x80, v1
                                        ; implicit-def: $vgpr84
	s_mov_b32 s10, exec_lo
	s_delay_alu instid0(VALU_DEP_2)
	v_cmpx_gt_u64_e32 0x47600001, v[2:3]
	s_xor_b32 s26, exec_lo, s10
	s_cbranch_execz .LBB6_1641
; %bb.1632:                             ;   in Loop: Header=BB6_130 Depth=2
	v_mov_b32_e32 v84, 0
	s_mov_b32 s27, exec_lo
	v_cmpx_ne_u32_e32 0, v0
	s_cbranch_execz .LBB6_1640
; %bb.1633:                             ;   in Loop: Header=BB6_130 Depth=2
	v_bfe_u32 v84, v0, 23, 8
	v_or_b32_e32 v1, 0x800000, v4
	s_delay_alu instid0(VALU_DEP_2) | instskip(SKIP_2) | instid1(VALU_DEP_2)
	v_cmp_gt_u32_e64 s10, 0x72, v84
	v_sub_nc_u32_e32 v0, 0x71, v84
	v_cmp_eq_u32_e32 vcc_lo, 0, v84
	v_cndmask_b32_e64 v0, 0, v0, s10
	s_delay_alu instid0(VALU_DEP_1) | instskip(SKIP_1) | instid1(VALU_DEP_2)
	v_cndmask_b32_e64 v86, v0, 0x70, vcc_lo
	v_cndmask_b32_e32 v0, v1, v4, vcc_lo
	v_dual_mov_b32 v1, v5 :: v_dual_add_nc_u32 v2, 21, v86
	v_add_nc_u32_e32 v4, 20, v86
	s_delay_alu instid0(VALU_DEP_2) | instskip(NEXT) | instid1(VALU_DEP_2)
	v_lshlrev_b64_e64 v[2:3], v2, -1
	v_lshlrev_b64_e64 v[96:97], v4, 1
	s_delay_alu instid0(VALU_DEP_2) | instskip(SKIP_1) | instid1(VALU_DEP_4)
	v_bfi_b32 v2, v2, 0, v0
	v_lshrrev_b64 v[0:1], v86, v[0:1]
	v_bfi_b32 v3, v3, 0, 0
	s_delay_alu instid0(VALU_DEP_1) | instskip(NEXT) | instid1(VALU_DEP_3)
	v_cmp_eq_u64_e64 s10, v[2:3], v[96:97]
	v_mov_b64_e32 v[2:3], v[0:1]
	s_and_saveexec_b32 s28, s10
; %bb.1634:                             ;   in Loop: Header=BB6_130 Depth=2
	v_bfe_u32 v2, v0, 21, 1
	v_mov_b32_e32 v3, v5
	s_delay_alu instid0(VALU_DEP_1) | instskip(NEXT) | instid1(VALU_DEP_1)
	v_add_nc_u64_e32 v[2:3], v[0:1], v[2:3]
	v_add_nc_u64_e32 v[2:3], -1, v[2:3]
; %bb.1635:                             ;   in Loop: Header=BB6_130 Depth=2
	s_or_b32 exec_lo, exec_lo, s28
	v_add_nc_u32_e32 v1, 0xffffff81, v84
	v_lshrrev_b32_e32 v3, 23, v0
	s_mov_b32 s10, exec_lo
	s_delay_alu instid0(VALU_DEP_2) | instskip(NEXT) | instid1(VALU_DEP_1)
	v_cndmask_b32_e64 v1, v1, 0xffffff82, vcc_lo
	v_add3_u32 v3, v86, v1, v3
	v_and_b32_e32 v1, 0x1fffff, v2
                                        ; implicit-def: $vgpr2
	s_delay_alu instid0(VALU_DEP_1) | instskip(NEXT) | instid1(VALU_DEP_1)
	v_dual_add_nc_u32 v84, 14, v3 :: v_dual_add_nc_u32 v4, v1, v0
                                        ; implicit-def: $vgpr0_vgpr1
	v_cmpx_ne_u32_e32 0, v84
	s_xor_b32 s10, exec_lo, s10
; %bb.1636:                             ;   in Loop: Header=BB6_130 Depth=2
	s_delay_alu instid0(VALU_DEP_2) | instskip(SKIP_1) | instid1(VALU_DEP_1)
	v_cmp_lt_u64_e32 vcc_lo, 0xffffff, v[4:5]
	v_add_nc_u32_e32 v0, 15, v3
	v_cndmask_b32_e32 v2, v84, v0, vcc_lo
	v_cndmask_b32_e64 v0, 0, 1, vcc_lo
	s_delay_alu instid0(VALU_DEP_1)
	v_lshrrev_b64 v[0:1], v0, v[4:5]
; %bb.1637:                             ;   in Loop: Header=BB6_130 Depth=2
	s_and_not1_saveexec_b32 s10, s10
; %bb.1638:                             ;   in Loop: Header=BB6_130 Depth=2
	v_mov_b64_e32 v[0:1], v[4:5]
	v_bfe_u32 v2, v4, 23, 1
; %bb.1639:                             ;   in Loop: Header=BB6_130 Depth=2
	s_or_b32 exec_lo, exec_lo, s10
	s_delay_alu instid0(VALU_DEP_2) | instskip(NEXT) | instid1(VALU_DEP_2)
	v_lshrrev_b64 v[0:1], 21, v[0:1]
	v_cmp_gt_i32_e32 vcc_lo, 32, v2
	v_min_i32_e32 v3, 31, v2
	v_cmp_eq_u32_e64 s10, 0, v2
	s_delay_alu instid0(VALU_DEP_2) | instskip(SKIP_1) | instid1(VALU_DEP_2)
	v_dual_cndmask_b32 v1, 0, v1, vcc_lo :: v_dual_lshlrev_b32 v3, 2, v3
	v_cndmask_b32_e32 v0, 3, v0, vcc_lo
	v_and_b32_e32 v3, 0xfc, v3
	s_delay_alu instid0(VALU_DEP_2) | instskip(NEXT) | instid1(VALU_DEP_2)
	v_cmp_eq_u64_e32 vcc_lo, 0, v[0:1]
	v_and_or_b32 v0, v0, 3, v3
	s_and_b32 s10, s10, vcc_lo
	s_delay_alu instid0(VALU_DEP_1) | instid1(SALU_CYCLE_1)
	v_cndmask_b32_e64 v0, v0, 0, s10
	s_delay_alu instid0(VALU_DEP_1)
	v_or_b32_e32 v84, v0, v85
.LBB6_1640:                             ;   in Loop: Header=BB6_130 Depth=2
	s_or_b32 exec_lo, exec_lo, s27
                                        ; implicit-def: $vgpr85
.LBB6_1641:                             ;   in Loop: Header=BB6_130 Depth=2
	s_and_not1_saveexec_b32 s10, s26
; %bb.1642:                             ;   in Loop: Header=BB6_130 Depth=2
	v_or_b32_e32 v84, 0x7b, v85
; %bb.1643:                             ;   in Loop: Header=BB6_130 Depth=2
	s_or_b32 exec_lo, exec_lo, s10
                                        ; implicit-def: $vgpr0
                                        ; implicit-def: $vgpr1
.LBB6_1644:                             ;   in Loop: Header=BB6_130 Depth=2
	s_and_not1_saveexec_b32 s10, s25
	s_cbranch_execz .LBB6_1650
; %bb.1645:                             ;   in Loop: Header=BB6_130 Depth=2
	s_mov_b32 s25, exec_lo
                                        ; implicit-def: $vgpr84
	v_cmpx_ne_u64_e32 0, v[4:5]
	s_xor_b32 s25, exec_lo, s25
; %bb.1646:                             ;   in Loop: Header=BB6_130 Depth=2
	v_or_b32_e32 v84, 0x7f, v1
                                        ; implicit-def: $vgpr0
; %bb.1647:                             ;   in Loop: Header=BB6_130 Depth=2
	s_and_not1_saveexec_b32 s25, s25
; %bb.1648:                             ;   in Loop: Header=BB6_130 Depth=2
	v_cmp_lt_i32_e32 vcc_lo, -1, v0
	v_cndmask_b32_e32 v84, 0xfc, v108, vcc_lo
; %bb.1649:                             ;   in Loop: Header=BB6_130 Depth=2
	s_or_b32 exec_lo, exec_lo, s25
.LBB6_1650:                             ;   in Loop: Header=BB6_130 Depth=2
	s_delay_alu instid0(SALU_CYCLE_1) | instskip(SKIP_3) | instid1(VALU_DEP_2)
	s_or_b32 exec_lo, exec_lo, s10
	v_dual_mov_b32 v1, 0 :: v_dual_lshrrev_b32 v0, 16, v23
	v_mov_b32_e32 v2, 0
	s_mov_b32 s10, exec_lo
	v_and_b32_e32 v3, 0xff, v0
	s_delay_alu instid0(VALU_DEP_1)
	v_cmpx_ne_u16_e32 0, v3
	s_cbranch_execz .LBB6_1660
; %bb.1651:                             ;   in Loop: Header=BB6_130 Depth=2
	v_bfrev_b32_e32 v2, 1
	s_mov_b32 s25, exec_lo
	v_cmpx_ne_u16_e32 0x80, v3
	s_cbranch_execz .LBB6_1659
; %bb.1652:                             ;   in Loop: Header=BB6_130 Depth=2
	v_and_b32_e32 v2, 0x7c0000, v23
	v_bfe_u32 v3, v23, 16, 2
	s_delay_alu instid0(VALU_DEP_2) | instskip(SKIP_1) | instid1(SALU_CYCLE_1)
	v_cmp_ne_u32_e32 vcc_lo, 0x7c0000, v2
                                        ; implicit-def: $vgpr2
	s_and_saveexec_b32 s26, vcc_lo
	s_xor_b32 s26, exec_lo, s26
	s_cbranch_execz .LBB6_1656
; %bb.1653:                             ;   in Loop: Header=BB6_130 Depth=2
	v_bfe_u32 v2, v23, 18, 5
	s_mov_b32 s27, exec_lo
	s_delay_alu instid0(VALU_DEP_1)
	v_cmpx_eq_u32_e32 0, v2
; %bb.1654:                             ;   in Loop: Header=BB6_130 Depth=2
	v_clz_i32_u32_e32 v2, v3
	s_delay_alu instid0(VALU_DEP_1) | instskip(NEXT) | instid1(VALU_DEP_1)
	v_min_u32_e32 v2, 32, v2
	v_subrev_nc_u32_e32 v3, 29, v2
	v_sub_nc_u32_e32 v2, 30, v2
	s_delay_alu instid0(VALU_DEP_2) | instskip(NEXT) | instid1(VALU_DEP_1)
	v_lshlrev_b64_e32 v[86:87], v3, v[0:1]
	v_and_b32_e32 v3, 3, v86
; %bb.1655:                             ;   in Loop: Header=BB6_130 Depth=2
	s_or_b32 exec_lo, exec_lo, s27
	v_lshlrev_b32_e32 v0, 24, v0
	s_delay_alu instid0(VALU_DEP_1) | instskip(NEXT) | instid1(VALU_DEP_1)
	v_and_b32_e32 v0, 0x80000000, v0
	v_lshl_add_u32 v0, v2, 23, v0
	s_delay_alu instid0(VALU_DEP_1) | instskip(NEXT) | instid1(VALU_DEP_1)
	v_lshl_or_b32 v0, v3, 21, v0
                                        ; implicit-def: $vgpr3
	v_add_nc_u32_e32 v2, 0x38000000, v0
                                        ; implicit-def: $vgpr0
.LBB6_1656:                             ;   in Loop: Header=BB6_130 Depth=2
	s_and_not1_saveexec_b32 s26, s26
; %bb.1657:                             ;   in Loop: Header=BB6_130 Depth=2
	v_bfe_i32 v0, v0, 0, 8
	s_delay_alu instid0(VALU_DEP_1) | instskip(SKIP_2) | instid1(VALU_DEP_2)
	v_cmp_lt_i16_e32 vcc_lo, -1, v0
	v_cndmask_b32_e32 v0, 0xff800000, v109, vcc_lo
	v_cmp_eq_u32_e32 vcc_lo, 0, v3
	v_cndmask_b32_e32 v2, 0x7f800001, v0, vcc_lo
; %bb.1658:                             ;   in Loop: Header=BB6_130 Depth=2
	s_or_b32 exec_lo, exec_lo, s26
.LBB6_1659:                             ;   in Loop: Header=BB6_130 Depth=2
	s_delay_alu instid0(SALU_CYCLE_1)
	s_or_b32 exec_lo, exec_lo, s25
.LBB6_1660:                             ;   in Loop: Header=BB6_130 Depth=2
	s_delay_alu instid0(SALU_CYCLE_1) | instskip(SKIP_2) | instid1(VALU_DEP_1)
	s_or_b32 exec_lo, exec_lo, s10
	v_lshrrev_b32_e32 v0, 16, v19
	s_mov_b32 s10, exec_lo
	v_and_b32_e32 v3, 0xff, v0
	s_delay_alu instid0(VALU_DEP_1)
	v_cmpx_ne_u16_e32 0, v3
	s_cbranch_execz .LBB6_1670
; %bb.1661:                             ;   in Loop: Header=BB6_130 Depth=2
	v_bfrev_b32_e32 v1, 1
	s_mov_b32 s25, exec_lo
	v_cmpx_ne_u16_e32 0x80, v3
	s_cbranch_execz .LBB6_1669
; %bb.1662:                             ;   in Loop: Header=BB6_130 Depth=2
	v_and_b32_e32 v1, 0x7c0000, v19
	v_bfe_u32 v3, v19, 16, 2
	s_delay_alu instid0(VALU_DEP_2) | instskip(SKIP_1) | instid1(SALU_CYCLE_1)
	v_cmp_ne_u32_e32 vcc_lo, 0x7c0000, v1
                                        ; implicit-def: $vgpr1
	s_and_saveexec_b32 s26, vcc_lo
	s_xor_b32 s26, exec_lo, s26
	s_cbranch_execz .LBB6_1666
; %bb.1663:                             ;   in Loop: Header=BB6_130 Depth=2
	v_bfe_u32 v1, v19, 18, 5
	s_mov_b32 s27, exec_lo
	s_delay_alu instid0(VALU_DEP_1)
	v_cmpx_eq_u32_e32 0, v1
; %bb.1664:                             ;   in Loop: Header=BB6_130 Depth=2
	v_clz_i32_u32_e32 v1, v3
	s_delay_alu instid0(VALU_DEP_1) | instskip(NEXT) | instid1(VALU_DEP_1)
	v_min_u32_e32 v1, 32, v1
	v_subrev_nc_u32_e32 v3, 29, v1
	s_delay_alu instid0(VALU_DEP_1) | instskip(NEXT) | instid1(VALU_DEP_1)
	v_lshlrev_b64_e32 v[86:87], v3, v[0:1]
	v_dual_sub_nc_u32 v1, 30, v1 :: v_dual_bitop2_b32 v3, 3, v86 bitop3:0x40
; %bb.1665:                             ;   in Loop: Header=BB6_130 Depth=2
	s_or_b32 exec_lo, exec_lo, s27
	v_lshlrev_b32_e32 v0, 24, v0
	s_delay_alu instid0(VALU_DEP_1) | instskip(NEXT) | instid1(VALU_DEP_1)
	v_and_b32_e32 v0, 0x80000000, v0
	v_lshl_add_u32 v0, v1, 23, v0
	s_delay_alu instid0(VALU_DEP_1) | instskip(NEXT) | instid1(VALU_DEP_1)
	v_lshl_or_b32 v0, v3, 21, v0
                                        ; implicit-def: $vgpr3
	v_add_nc_u32_e32 v1, 0x38000000, v0
                                        ; implicit-def: $vgpr0
.LBB6_1666:                             ;   in Loop: Header=BB6_130 Depth=2
	s_and_not1_saveexec_b32 s26, s26
; %bb.1667:                             ;   in Loop: Header=BB6_130 Depth=2
	v_bfe_i32 v0, v0, 0, 8
	s_delay_alu instid0(VALU_DEP_1) | instskip(SKIP_2) | instid1(VALU_DEP_2)
	v_cmp_lt_i16_e32 vcc_lo, -1, v0
	v_cndmask_b32_e32 v0, 0xff800000, v109, vcc_lo
	v_cmp_eq_u32_e32 vcc_lo, 0, v3
	v_cndmask_b32_e32 v1, 0x7f800001, v0, vcc_lo
; %bb.1668:                             ;   in Loop: Header=BB6_130 Depth=2
	s_or_b32 exec_lo, exec_lo, s26
.LBB6_1669:                             ;   in Loop: Header=BB6_130 Depth=2
	s_delay_alu instid0(SALU_CYCLE_1)
	s_or_b32 exec_lo, exec_lo, s25
.LBB6_1670:                             ;   in Loop: Header=BB6_130 Depth=2
	s_delay_alu instid0(SALU_CYCLE_1) | instskip(NEXT) | instid1(VALU_DEP_1)
	s_or_b32 exec_lo, exec_lo, s10
	v_dual_mul_f32 v0, v2, v1 :: v_dual_mov_b32 v3, v5
                                        ; implicit-def: $vgpr85
	s_mov_b32 s10, exec_lo
	s_delay_alu instid0(VALU_DEP_1) | instskip(SKIP_2) | instid1(VALU_DEP_3)
	v_and_b32_e32 v2, 0x7f800000, v0
	v_and_b32_e32 v4, 0x7fffff, v0
	v_lshrrev_b32_e32 v1, 24, v0
	v_cmpx_ne_u64_e32 0x7f800000, v[2:3]
	s_xor_b32 s25, exec_lo, s10
	s_cbranch_execz .LBB6_1684
; %bb.1671:                             ;   in Loop: Header=BB6_130 Depth=2
	v_and_b32_e32 v2, 0x7fffffff, v0
	v_mov_b32_e32 v3, v5
	v_and_b32_e32 v86, 0x80, v1
                                        ; implicit-def: $vgpr85
	s_mov_b32 s10, exec_lo
	s_delay_alu instid0(VALU_DEP_2)
	v_cmpx_gt_u64_e32 0x47600001, v[2:3]
	s_xor_b32 s26, exec_lo, s10
	s_cbranch_execz .LBB6_1681
; %bb.1672:                             ;   in Loop: Header=BB6_130 Depth=2
	v_mov_b32_e32 v85, 0
	s_mov_b32 s27, exec_lo
	v_cmpx_ne_u32_e32 0, v0
	s_cbranch_execz .LBB6_1680
; %bb.1673:                             ;   in Loop: Header=BB6_130 Depth=2
	v_bfe_u32 v85, v0, 23, 8
	v_or_b32_e32 v1, 0x800000, v4
	s_delay_alu instid0(VALU_DEP_2) | instskip(SKIP_2) | instid1(VALU_DEP_2)
	v_cmp_gt_u32_e64 s10, 0x72, v85
	v_sub_nc_u32_e32 v0, 0x71, v85
	v_cmp_eq_u32_e32 vcc_lo, 0, v85
	v_cndmask_b32_e64 v0, 0, v0, s10
	s_delay_alu instid0(VALU_DEP_1) | instskip(SKIP_1) | instid1(VALU_DEP_2)
	v_cndmask_b32_e64 v87, v0, 0x70, vcc_lo
	v_cndmask_b32_e32 v0, v1, v4, vcc_lo
	v_dual_mov_b32 v1, v5 :: v_dual_add_nc_u32 v2, 21, v87
	v_add_nc_u32_e32 v4, 20, v87
	s_delay_alu instid0(VALU_DEP_2) | instskip(NEXT) | instid1(VALU_DEP_2)
	v_lshlrev_b64_e64 v[2:3], v2, -1
	v_lshlrev_b64_e64 v[96:97], v4, 1
	s_delay_alu instid0(VALU_DEP_2) | instskip(SKIP_1) | instid1(VALU_DEP_4)
	v_bfi_b32 v2, v2, 0, v0
	v_lshrrev_b64 v[0:1], v87, v[0:1]
	v_bfi_b32 v3, v3, 0, 0
	s_delay_alu instid0(VALU_DEP_1) | instskip(NEXT) | instid1(VALU_DEP_3)
	v_cmp_eq_u64_e64 s10, v[2:3], v[96:97]
	v_mov_b64_e32 v[2:3], v[0:1]
	s_and_saveexec_b32 s28, s10
; %bb.1674:                             ;   in Loop: Header=BB6_130 Depth=2
	v_bfe_u32 v2, v0, 21, 1
	v_mov_b32_e32 v3, v5
	s_delay_alu instid0(VALU_DEP_1) | instskip(NEXT) | instid1(VALU_DEP_1)
	v_add_nc_u64_e32 v[2:3], v[0:1], v[2:3]
	v_add_nc_u64_e32 v[2:3], -1, v[2:3]
; %bb.1675:                             ;   in Loop: Header=BB6_130 Depth=2
	s_or_b32 exec_lo, exec_lo, s28
	v_add_nc_u32_e32 v1, 0xffffff81, v85
	v_lshrrev_b32_e32 v3, 23, v0
	s_mov_b32 s10, exec_lo
	s_delay_alu instid0(VALU_DEP_2) | instskip(NEXT) | instid1(VALU_DEP_1)
	v_cndmask_b32_e64 v1, v1, 0xffffff82, vcc_lo
	v_add3_u32 v3, v87, v1, v3
	v_and_b32_e32 v1, 0x1fffff, v2
                                        ; implicit-def: $vgpr2
	s_delay_alu instid0(VALU_DEP_1) | instskip(NEXT) | instid1(VALU_DEP_1)
	v_dual_add_nc_u32 v85, 14, v3 :: v_dual_add_nc_u32 v4, v1, v0
                                        ; implicit-def: $vgpr0_vgpr1
	v_cmpx_ne_u32_e32 0, v85
	s_xor_b32 s10, exec_lo, s10
; %bb.1676:                             ;   in Loop: Header=BB6_130 Depth=2
	s_delay_alu instid0(VALU_DEP_2) | instskip(SKIP_1) | instid1(VALU_DEP_1)
	v_cmp_lt_u64_e32 vcc_lo, 0xffffff, v[4:5]
	v_add_nc_u32_e32 v0, 15, v3
	v_cndmask_b32_e32 v2, v85, v0, vcc_lo
	v_cndmask_b32_e64 v0, 0, 1, vcc_lo
	s_delay_alu instid0(VALU_DEP_1)
	v_lshrrev_b64 v[0:1], v0, v[4:5]
; %bb.1677:                             ;   in Loop: Header=BB6_130 Depth=2
	s_and_not1_saveexec_b32 s10, s10
; %bb.1678:                             ;   in Loop: Header=BB6_130 Depth=2
	v_mov_b64_e32 v[0:1], v[4:5]
	v_bfe_u32 v2, v4, 23, 1
; %bb.1679:                             ;   in Loop: Header=BB6_130 Depth=2
	s_or_b32 exec_lo, exec_lo, s10
	s_delay_alu instid0(VALU_DEP_2) | instskip(NEXT) | instid1(VALU_DEP_2)
	v_lshrrev_b64 v[0:1], 21, v[0:1]
	v_cmp_gt_i32_e32 vcc_lo, 32, v2
	v_min_i32_e32 v3, 31, v2
	v_cmp_eq_u32_e64 s10, 0, v2
	s_delay_alu instid0(VALU_DEP_2) | instskip(SKIP_1) | instid1(VALU_DEP_2)
	v_dual_cndmask_b32 v1, 0, v1, vcc_lo :: v_dual_lshlrev_b32 v3, 2, v3
	v_cndmask_b32_e32 v0, 3, v0, vcc_lo
	v_and_b32_e32 v3, 0xfc, v3
	s_delay_alu instid0(VALU_DEP_2) | instskip(NEXT) | instid1(VALU_DEP_2)
	v_cmp_eq_u64_e32 vcc_lo, 0, v[0:1]
	v_and_or_b32 v0, v0, 3, v3
	s_and_b32 s10, s10, vcc_lo
	s_delay_alu instid0(VALU_DEP_1) | instid1(SALU_CYCLE_1)
	v_cndmask_b32_e64 v0, v0, 0, s10
	s_delay_alu instid0(VALU_DEP_1)
	v_or_b32_e32 v85, v0, v86
.LBB6_1680:                             ;   in Loop: Header=BB6_130 Depth=2
	s_or_b32 exec_lo, exec_lo, s27
                                        ; implicit-def: $vgpr86
.LBB6_1681:                             ;   in Loop: Header=BB6_130 Depth=2
	s_and_not1_saveexec_b32 s10, s26
; %bb.1682:                             ;   in Loop: Header=BB6_130 Depth=2
	v_or_b32_e32 v85, 0x7b, v86
; %bb.1683:                             ;   in Loop: Header=BB6_130 Depth=2
	s_or_b32 exec_lo, exec_lo, s10
                                        ; implicit-def: $vgpr0
                                        ; implicit-def: $vgpr1
.LBB6_1684:                             ;   in Loop: Header=BB6_130 Depth=2
	s_and_not1_saveexec_b32 s10, s25
	s_cbranch_execz .LBB6_1690
; %bb.1685:                             ;   in Loop: Header=BB6_130 Depth=2
	s_mov_b32 s25, exec_lo
                                        ; implicit-def: $vgpr85
	v_cmpx_ne_u64_e32 0, v[4:5]
	s_xor_b32 s25, exec_lo, s25
; %bb.1686:                             ;   in Loop: Header=BB6_130 Depth=2
	v_or_b32_e32 v85, 0x7f, v1
                                        ; implicit-def: $vgpr0
; %bb.1687:                             ;   in Loop: Header=BB6_130 Depth=2
	s_and_not1_saveexec_b32 s25, s25
; %bb.1688:                             ;   in Loop: Header=BB6_130 Depth=2
	v_cmp_lt_i32_e32 vcc_lo, -1, v0
	v_cndmask_b32_e32 v85, 0xfc, v108, vcc_lo
; %bb.1689:                             ;   in Loop: Header=BB6_130 Depth=2
	s_or_b32 exec_lo, exec_lo, s25
.LBB6_1690:                             ;   in Loop: Header=BB6_130 Depth=2
	s_delay_alu instid0(SALU_CYCLE_1)
	s_or_b32 exec_lo, exec_lo, s10
	v_dual_mov_b32 v1, 0 :: v_dual_mov_b32 v2, 0
	s_mov_b32 s10, exec_lo
	v_cmpx_lt_u64_e64 s[12:13], v[22:23]
	s_cbranch_execz .LBB6_1700
; %bb.1691:                             ;   in Loop: Header=BB6_130 Depth=2
	v_lshrrev_b32_e32 v0, 24, v23
	v_bfrev_b32_e32 v2, 1
	s_mov_b32 s25, exec_lo
	s_delay_alu instid0(VALU_DEP_2)
	v_cmpx_ne_u32_e32 0x80, v0
	s_cbranch_execz .LBB6_1699
; %bb.1692:                             ;   in Loop: Header=BB6_130 Depth=2
	v_and_b32_e32 v2, 0x7c000000, v23
	v_bfe_u32 v3, v23, 24, 2
	s_delay_alu instid0(VALU_DEP_2) | instskip(SKIP_1) | instid1(SALU_CYCLE_1)
	v_cmp_ne_u32_e32 vcc_lo, 0x7c000000, v2
                                        ; implicit-def: $vgpr2
	s_and_saveexec_b32 s26, vcc_lo
	s_xor_b32 s26, exec_lo, s26
	s_cbranch_execz .LBB6_1696
; %bb.1693:                             ;   in Loop: Header=BB6_130 Depth=2
	v_bfe_u32 v2, v23, 26, 5
	s_mov_b32 s27, exec_lo
	s_delay_alu instid0(VALU_DEP_1)
	v_cmpx_eq_u32_e32 0, v2
; %bb.1694:                             ;   in Loop: Header=BB6_130 Depth=2
	v_clz_i32_u32_e32 v2, v3
	s_delay_alu instid0(VALU_DEP_1) | instskip(NEXT) | instid1(VALU_DEP_1)
	v_min_u32_e32 v2, 32, v2
	v_subrev_nc_u32_e32 v3, 29, v2
	v_sub_nc_u32_e32 v2, 30, v2
	s_delay_alu instid0(VALU_DEP_2) | instskip(NEXT) | instid1(VALU_DEP_1)
	v_lshlrev_b64_e32 v[86:87], v3, v[0:1]
	v_and_b32_e32 v3, 3, v86
; %bb.1695:                             ;   in Loop: Header=BB6_130 Depth=2
	s_or_b32 exec_lo, exec_lo, s27
	v_and_b32_e32 v0, 0x80000000, v23
	s_delay_alu instid0(VALU_DEP_1) | instskip(NEXT) | instid1(VALU_DEP_1)
	v_lshl_add_u32 v0, v2, 23, v0
	v_lshl_or_b32 v0, v3, 21, v0
                                        ; implicit-def: $vgpr3
	s_delay_alu instid0(VALU_DEP_1)
	v_add_nc_u32_e32 v2, 0x38000000, v0
.LBB6_1696:                             ;   in Loop: Header=BB6_130 Depth=2
	s_and_not1_saveexec_b32 s26, s26
; %bb.1697:                             ;   in Loop: Header=BB6_130 Depth=2
	v_cmp_lt_i64_e32 vcc_lo, -1, v[22:23]
	v_cndmask_b32_e32 v0, 0xff800000, v109, vcc_lo
	v_cmp_eq_u32_e32 vcc_lo, 0, v3
	s_delay_alu instid0(VALU_DEP_2)
	v_cndmask_b32_e32 v2, 0x7f800001, v0, vcc_lo
; %bb.1698:                             ;   in Loop: Header=BB6_130 Depth=2
	s_or_b32 exec_lo, exec_lo, s26
.LBB6_1699:                             ;   in Loop: Header=BB6_130 Depth=2
	s_delay_alu instid0(SALU_CYCLE_1)
	s_or_b32 exec_lo, exec_lo, s25
.LBB6_1700:                             ;   in Loop: Header=BB6_130 Depth=2
	s_delay_alu instid0(SALU_CYCLE_1) | instskip(NEXT) | instid1(SALU_CYCLE_1)
	s_or_b32 exec_lo, exec_lo, s10
	s_mov_b32 s10, exec_lo
	v_cmpx_lt_u64_e64 s[12:13], v[18:19]
	s_cbranch_execz .LBB6_1710
; %bb.1701:                             ;   in Loop: Header=BB6_130 Depth=2
	v_lshrrev_b32_e32 v0, 24, v19
	v_bfrev_b32_e32 v1, 1
	s_mov_b32 s25, exec_lo
	s_delay_alu instid0(VALU_DEP_2)
	v_cmpx_ne_u32_e32 0x80, v0
	s_cbranch_execz .LBB6_1709
; %bb.1702:                             ;   in Loop: Header=BB6_130 Depth=2
	v_and_b32_e32 v1, 0x7c000000, v19
	v_bfe_u32 v3, v19, 24, 2
	s_delay_alu instid0(VALU_DEP_2) | instskip(SKIP_1) | instid1(SALU_CYCLE_1)
	v_cmp_ne_u32_e32 vcc_lo, 0x7c000000, v1
                                        ; implicit-def: $vgpr1
	s_and_saveexec_b32 s26, vcc_lo
	s_xor_b32 s26, exec_lo, s26
	s_cbranch_execz .LBB6_1706
; %bb.1703:                             ;   in Loop: Header=BB6_130 Depth=2
	v_bfe_u32 v1, v19, 26, 5
	s_mov_b32 s27, exec_lo
	s_delay_alu instid0(VALU_DEP_1)
	v_cmpx_eq_u32_e32 0, v1
; %bb.1704:                             ;   in Loop: Header=BB6_130 Depth=2
	v_clz_i32_u32_e32 v1, v3
	s_delay_alu instid0(VALU_DEP_1) | instskip(NEXT) | instid1(VALU_DEP_1)
	v_min_u32_e32 v3, 32, v1
	v_subrev_nc_u32_e32 v1, 29, v3
	s_delay_alu instid0(VALU_DEP_1) | instskip(NEXT) | instid1(VALU_DEP_1)
	v_lshlrev_b64_e32 v[0:1], v1, v[0:1]
	v_dual_sub_nc_u32 v1, 30, v3 :: v_dual_bitop2_b32 v3, 3, v0 bitop3:0x40
; %bb.1705:                             ;   in Loop: Header=BB6_130 Depth=2
	s_or_b32 exec_lo, exec_lo, s27
	v_and_b32_e32 v0, 0x80000000, v19
	s_delay_alu instid0(VALU_DEP_1) | instskip(NEXT) | instid1(VALU_DEP_1)
	v_lshl_add_u32 v0, v1, 23, v0
	v_lshl_or_b32 v0, v3, 21, v0
                                        ; implicit-def: $vgpr3
	s_delay_alu instid0(VALU_DEP_1)
	v_add_nc_u32_e32 v1, 0x38000000, v0
.LBB6_1706:                             ;   in Loop: Header=BB6_130 Depth=2
	s_and_not1_saveexec_b32 s26, s26
; %bb.1707:                             ;   in Loop: Header=BB6_130 Depth=2
	v_cmp_lt_i64_e32 vcc_lo, -1, v[18:19]
	v_cndmask_b32_e32 v0, 0xff800000, v109, vcc_lo
	v_cmp_eq_u32_e32 vcc_lo, 0, v3
	s_delay_alu instid0(VALU_DEP_2)
	v_cndmask_b32_e32 v1, 0x7f800001, v0, vcc_lo
; %bb.1708:                             ;   in Loop: Header=BB6_130 Depth=2
	s_or_b32 exec_lo, exec_lo, s26
.LBB6_1709:                             ;   in Loop: Header=BB6_130 Depth=2
	s_delay_alu instid0(SALU_CYCLE_1)
	s_or_b32 exec_lo, exec_lo, s25
.LBB6_1710:                             ;   in Loop: Header=BB6_130 Depth=2
	s_delay_alu instid0(SALU_CYCLE_1) | instskip(NEXT) | instid1(VALU_DEP_1)
	s_or_b32 exec_lo, exec_lo, s10
	v_dual_mul_f32 v0, v2, v1 :: v_dual_mov_b32 v3, v5
                                        ; implicit-def: $vgpr18
	s_mov_b32 s10, exec_lo
	s_delay_alu instid0(VALU_DEP_1) | instskip(SKIP_2) | instid1(VALU_DEP_3)
	v_and_b32_e32 v2, 0x7f800000, v0
	v_and_b32_e32 v4, 0x7fffff, v0
	v_lshrrev_b32_e32 v1, 24, v0
	v_cmpx_ne_u64_e32 0x7f800000, v[2:3]
	s_xor_b32 s25, exec_lo, s10
	s_cbranch_execz .LBB6_1724
; %bb.1711:                             ;   in Loop: Header=BB6_130 Depth=2
	v_and_b32_e32 v2, 0x7fffffff, v0
	v_mov_b32_e32 v3, v5
	v_and_b32_e32 v19, 0x80, v1
                                        ; implicit-def: $vgpr18
	s_mov_b32 s10, exec_lo
	s_delay_alu instid0(VALU_DEP_2)
	v_cmpx_gt_u64_e32 0x47600001, v[2:3]
	s_xor_b32 s26, exec_lo, s10
	s_cbranch_execz .LBB6_1721
; %bb.1712:                             ;   in Loop: Header=BB6_130 Depth=2
	v_mov_b32_e32 v18, 0
	s_mov_b32 s27, exec_lo
	v_cmpx_ne_u32_e32 0, v0
	s_cbranch_execz .LBB6_1720
; %bb.1713:                             ;   in Loop: Header=BB6_130 Depth=2
	v_bfe_u32 v18, v0, 23, 8
	v_or_b32_e32 v1, 0x800000, v4
	s_delay_alu instid0(VALU_DEP_2) | instskip(SKIP_2) | instid1(VALU_DEP_2)
	v_cmp_gt_u32_e64 s10, 0x72, v18
	v_sub_nc_u32_e32 v0, 0x71, v18
	v_cmp_eq_u32_e32 vcc_lo, 0, v18
	v_cndmask_b32_e64 v0, 0, v0, s10
	s_delay_alu instid0(VALU_DEP_1) | instskip(SKIP_1) | instid1(VALU_DEP_2)
	v_cndmask_b32_e64 v22, v0, 0x70, vcc_lo
	v_cndmask_b32_e32 v0, v1, v4, vcc_lo
	v_dual_mov_b32 v1, v5 :: v_dual_add_nc_u32 v2, 21, v22
	v_add_nc_u32_e32 v4, 20, v22
	s_delay_alu instid0(VALU_DEP_2) | instskip(NEXT) | instid1(VALU_DEP_2)
	v_lshlrev_b64_e64 v[2:3], v2, -1
	v_lshlrev_b64_e64 v[86:87], v4, 1
	s_delay_alu instid0(VALU_DEP_2) | instskip(SKIP_1) | instid1(VALU_DEP_4)
	v_bfi_b32 v2, v2, 0, v0
	v_lshrrev_b64 v[0:1], v22, v[0:1]
	v_bfi_b32 v3, v3, 0, 0
	s_delay_alu instid0(VALU_DEP_1) | instskip(NEXT) | instid1(VALU_DEP_3)
	v_cmp_eq_u64_e64 s10, v[2:3], v[86:87]
	v_mov_b64_e32 v[2:3], v[0:1]
	s_and_saveexec_b32 s28, s10
; %bb.1714:                             ;   in Loop: Header=BB6_130 Depth=2
	v_bfe_u32 v2, v0, 21, 1
	v_mov_b32_e32 v3, v5
	s_delay_alu instid0(VALU_DEP_1) | instskip(NEXT) | instid1(VALU_DEP_1)
	v_add_nc_u64_e32 v[2:3], v[0:1], v[2:3]
	v_add_nc_u64_e32 v[2:3], -1, v[2:3]
; %bb.1715:                             ;   in Loop: Header=BB6_130 Depth=2
	s_or_b32 exec_lo, exec_lo, s28
	v_add_nc_u32_e32 v1, 0xffffff81, v18
	v_lshrrev_b32_e32 v3, 23, v0
	s_mov_b32 s10, exec_lo
	s_delay_alu instid0(VALU_DEP_2) | instskip(NEXT) | instid1(VALU_DEP_1)
	v_cndmask_b32_e64 v1, v1, 0xffffff82, vcc_lo
	v_add3_u32 v3, v22, v1, v3
	v_and_b32_e32 v1, 0x1fffff, v2
                                        ; implicit-def: $vgpr2
	s_delay_alu instid0(VALU_DEP_1) | instskip(NEXT) | instid1(VALU_DEP_1)
	v_dual_add_nc_u32 v18, 14, v3 :: v_dual_add_nc_u32 v4, v1, v0
                                        ; implicit-def: $vgpr0_vgpr1
	v_cmpx_ne_u32_e32 0, v18
	s_xor_b32 s10, exec_lo, s10
; %bb.1716:                             ;   in Loop: Header=BB6_130 Depth=2
	s_delay_alu instid0(VALU_DEP_2) | instskip(SKIP_1) | instid1(VALU_DEP_1)
	v_cmp_lt_u64_e32 vcc_lo, 0xffffff, v[4:5]
	v_add_nc_u32_e32 v0, 15, v3
	v_cndmask_b32_e32 v2, v18, v0, vcc_lo
	v_cndmask_b32_e64 v0, 0, 1, vcc_lo
	s_delay_alu instid0(VALU_DEP_1)
	v_lshrrev_b64 v[0:1], v0, v[4:5]
; %bb.1717:                             ;   in Loop: Header=BB6_130 Depth=2
	s_and_not1_saveexec_b32 s10, s10
; %bb.1718:                             ;   in Loop: Header=BB6_130 Depth=2
	v_mov_b64_e32 v[0:1], v[4:5]
	v_bfe_u32 v2, v4, 23, 1
; %bb.1719:                             ;   in Loop: Header=BB6_130 Depth=2
	s_or_b32 exec_lo, exec_lo, s10
	s_delay_alu instid0(VALU_DEP_2) | instskip(NEXT) | instid1(VALU_DEP_2)
	v_lshrrev_b64 v[0:1], 21, v[0:1]
	v_cmp_gt_i32_e32 vcc_lo, 32, v2
	v_min_i32_e32 v3, 31, v2
	v_cmp_eq_u32_e64 s10, 0, v2
	s_delay_alu instid0(VALU_DEP_2) | instskip(SKIP_1) | instid1(VALU_DEP_2)
	v_dual_cndmask_b32 v1, 0, v1, vcc_lo :: v_dual_lshlrev_b32 v3, 2, v3
	v_cndmask_b32_e32 v0, 3, v0, vcc_lo
	v_and_b32_e32 v3, 0xfc, v3
	s_delay_alu instid0(VALU_DEP_2) | instskip(NEXT) | instid1(VALU_DEP_2)
	v_cmp_eq_u64_e32 vcc_lo, 0, v[0:1]
	v_and_or_b32 v0, v0, 3, v3
	s_and_b32 s10, s10, vcc_lo
	s_delay_alu instid0(VALU_DEP_1) | instid1(SALU_CYCLE_1)
	v_cndmask_b32_e64 v0, v0, 0, s10
	s_delay_alu instid0(VALU_DEP_1)
	v_or_b32_e32 v18, v0, v19
.LBB6_1720:                             ;   in Loop: Header=BB6_130 Depth=2
	s_or_b32 exec_lo, exec_lo, s27
                                        ; implicit-def: $vgpr19
.LBB6_1721:                             ;   in Loop: Header=BB6_130 Depth=2
	s_and_not1_saveexec_b32 s10, s26
; %bb.1722:                             ;   in Loop: Header=BB6_130 Depth=2
	v_or_b32_e32 v18, 0x7b, v19
; %bb.1723:                             ;   in Loop: Header=BB6_130 Depth=2
	s_or_b32 exec_lo, exec_lo, s10
                                        ; implicit-def: $vgpr0
                                        ; implicit-def: $vgpr1
.LBB6_1724:                             ;   in Loop: Header=BB6_130 Depth=2
	s_and_not1_saveexec_b32 s10, s25
	s_cbranch_execz .LBB6_1730
; %bb.1725:                             ;   in Loop: Header=BB6_130 Depth=2
	s_mov_b32 s25, exec_lo
                                        ; implicit-def: $vgpr18
	v_cmpx_ne_u64_e32 0, v[4:5]
	s_xor_b32 s25, exec_lo, s25
; %bb.1726:                             ;   in Loop: Header=BB6_130 Depth=2
	v_or_b32_e32 v18, 0x7f, v1
                                        ; implicit-def: $vgpr0
; %bb.1727:                             ;   in Loop: Header=BB6_130 Depth=2
	s_and_not1_saveexec_b32 s25, s25
; %bb.1728:                             ;   in Loop: Header=BB6_130 Depth=2
	v_cmp_lt_i32_e32 vcc_lo, -1, v0
	v_cndmask_b32_e32 v18, 0xfc, v108, vcc_lo
; %bb.1729:                             ;   in Loop: Header=BB6_130 Depth=2
	s_or_b32 exec_lo, exec_lo, s25
.LBB6_1730:                             ;   in Loop: Header=BB6_130 Depth=2
	s_delay_alu instid0(SALU_CYCLE_1) | instskip(SKIP_2) | instid1(VALU_DEP_2)
	s_or_b32 exec_lo, exec_lo, s10
	v_and_b32_e32 v1, 0xff, v24
	v_mov_b32_e32 v0, 0
	v_cmp_ne_u16_e32 vcc_lo, 0, v1
	v_mov_b32_e32 v1, 0
	s_and_saveexec_b32 s10, vcc_lo
	s_cbranch_execz .LBB6_1740
; %bb.1731:                             ;   in Loop: Header=BB6_130 Depth=2
	v_bfe_i32 v3, v24, 0, 8
	v_bfrev_b32_e32 v1, 1
	s_mov_b32 s25, exec_lo
	s_delay_alu instid0(VALU_DEP_2)
	v_cmpx_ne_u16_e32 0xff80, v3
	s_cbranch_execz .LBB6_1739
; %bb.1732:                             ;   in Loop: Header=BB6_130 Depth=2
	v_and_b32_e32 v1, 0x7c, v24
	v_and_b32_e32 v2, 3, v24
	s_delay_alu instid0(VALU_DEP_2) | instskip(SKIP_1) | instid1(SALU_CYCLE_1)
	v_cmp_ne_u32_e32 vcc_lo, 0x7c, v1
                                        ; implicit-def: $vgpr1
	s_and_saveexec_b32 s26, vcc_lo
	s_xor_b32 s26, exec_lo, s26
	s_cbranch_execz .LBB6_1736
; %bb.1733:                             ;   in Loop: Header=BB6_130 Depth=2
	v_bfe_u32 v1, v24, 2, 5
	s_mov_b32 s27, exec_lo
	s_delay_alu instid0(VALU_DEP_1)
	v_cmpx_eq_u32_e32 0, v1
; %bb.1734:                             ;   in Loop: Header=BB6_130 Depth=2
	v_clz_i32_u32_e32 v1, v2
	s_delay_alu instid0(VALU_DEP_1) | instskip(NEXT) | instid1(VALU_DEP_1)
	v_min_u32_e32 v1, 32, v1
	v_subrev_nc_u32_e32 v2, 29, v1
	s_delay_alu instid0(VALU_DEP_1) | instskip(NEXT) | instid1(VALU_DEP_1)
	v_lshlrev_b64_e32 v[2:3], v2, v[24:25]
	v_dual_sub_nc_u32 v1, 30, v1 :: v_dual_bitop2_b32 v2, 3, v2 bitop3:0x40
; %bb.1735:                             ;   in Loop: Header=BB6_130 Depth=2
	s_or_b32 exec_lo, exec_lo, s27
	v_lshlrev_b32_e32 v3, 24, v24
	s_delay_alu instid0(VALU_DEP_1) | instskip(NEXT) | instid1(VALU_DEP_1)
	v_and_b32_e32 v3, 0x80000000, v3
	v_lshl_add_u32 v1, v1, 23, v3
                                        ; implicit-def: $vgpr3
	s_delay_alu instid0(VALU_DEP_1) | instskip(NEXT) | instid1(VALU_DEP_1)
	v_lshl_or_b32 v1, v2, 21, v1
                                        ; implicit-def: $vgpr2
	v_add_nc_u32_e32 v1, 0x38000000, v1
.LBB6_1736:                             ;   in Loop: Header=BB6_130 Depth=2
	s_and_not1_saveexec_b32 s26, s26
; %bb.1737:                             ;   in Loop: Header=BB6_130 Depth=2
	v_cmp_lt_i16_e32 vcc_lo, -1, v3
	v_cndmask_b32_e32 v1, 0xff800000, v109, vcc_lo
	v_cmp_eq_u32_e32 vcc_lo, 0, v2
	s_delay_alu instid0(VALU_DEP_2)
	v_cndmask_b32_e32 v1, 0x7f800001, v1, vcc_lo
; %bb.1738:                             ;   in Loop: Header=BB6_130 Depth=2
	s_or_b32 exec_lo, exec_lo, s26
.LBB6_1739:                             ;   in Loop: Header=BB6_130 Depth=2
	s_delay_alu instid0(SALU_CYCLE_1)
	s_or_b32 exec_lo, exec_lo, s25
.LBB6_1740:                             ;   in Loop: Header=BB6_130 Depth=2
	s_delay_alu instid0(SALU_CYCLE_1) | instskip(SKIP_2) | instid1(VALU_DEP_1)
	s_or_b32 exec_lo, exec_lo, s10
	v_and_b32_e32 v2, 0xff, v20
	s_mov_b32 s10, exec_lo
	v_cmpx_ne_u16_e32 0, v2
	s_cbranch_execz .LBB6_1750
; %bb.1741:                             ;   in Loop: Header=BB6_130 Depth=2
	v_bfe_i32 v3, v20, 0, 8
	v_bfrev_b32_e32 v0, 1
	s_mov_b32 s25, exec_lo
	s_delay_alu instid0(VALU_DEP_2)
	v_cmpx_ne_u16_e32 0xff80, v3
	s_cbranch_execz .LBB6_1749
; %bb.1742:                             ;   in Loop: Header=BB6_130 Depth=2
	v_and_b32_e32 v0, 0x7c, v20
	v_and_b32_e32 v2, 3, v20
	s_delay_alu instid0(VALU_DEP_2) | instskip(SKIP_1) | instid1(SALU_CYCLE_1)
	v_cmp_ne_u32_e32 vcc_lo, 0x7c, v0
                                        ; implicit-def: $vgpr0
	s_and_saveexec_b32 s26, vcc_lo
	s_xor_b32 s26, exec_lo, s26
	s_cbranch_execz .LBB6_1746
; %bb.1743:                             ;   in Loop: Header=BB6_130 Depth=2
	v_bfe_u32 v0, v20, 2, 5
	s_mov_b32 s27, exec_lo
	s_delay_alu instid0(VALU_DEP_1)
	v_cmpx_eq_u32_e32 0, v0
; %bb.1744:                             ;   in Loop: Header=BB6_130 Depth=2
	v_clz_i32_u32_e32 v0, v2
	s_delay_alu instid0(VALU_DEP_1) | instskip(NEXT) | instid1(VALU_DEP_1)
	v_min_u32_e32 v0, 32, v0
	v_subrev_nc_u32_e32 v2, 29, v0
	s_delay_alu instid0(VALU_DEP_1) | instskip(NEXT) | instid1(VALU_DEP_1)
	v_lshlrev_b64_e32 v[2:3], v2, v[20:21]
	v_dual_sub_nc_u32 v0, 30, v0 :: v_dual_bitop2_b32 v2, 3, v2 bitop3:0x40
; %bb.1745:                             ;   in Loop: Header=BB6_130 Depth=2
	s_or_b32 exec_lo, exec_lo, s27
	v_lshlrev_b32_e32 v3, 24, v20
	s_delay_alu instid0(VALU_DEP_1) | instskip(NEXT) | instid1(VALU_DEP_1)
	v_and_b32_e32 v3, 0x80000000, v3
	v_lshl_add_u32 v0, v0, 23, v3
                                        ; implicit-def: $vgpr3
	s_delay_alu instid0(VALU_DEP_1) | instskip(NEXT) | instid1(VALU_DEP_1)
	v_lshl_or_b32 v0, v2, 21, v0
                                        ; implicit-def: $vgpr2
	v_add_nc_u32_e32 v0, 0x38000000, v0
.LBB6_1746:                             ;   in Loop: Header=BB6_130 Depth=2
	s_and_not1_saveexec_b32 s26, s26
; %bb.1747:                             ;   in Loop: Header=BB6_130 Depth=2
	v_cmp_lt_i16_e32 vcc_lo, -1, v3
	v_cndmask_b32_e32 v0, 0xff800000, v109, vcc_lo
	v_cmp_eq_u32_e32 vcc_lo, 0, v2
	s_delay_alu instid0(VALU_DEP_2)
	v_cndmask_b32_e32 v0, 0x7f800001, v0, vcc_lo
; %bb.1748:                             ;   in Loop: Header=BB6_130 Depth=2
	s_or_b32 exec_lo, exec_lo, s26
.LBB6_1749:                             ;   in Loop: Header=BB6_130 Depth=2
	s_delay_alu instid0(SALU_CYCLE_1)
	s_or_b32 exec_lo, exec_lo, s25
.LBB6_1750:                             ;   in Loop: Header=BB6_130 Depth=2
	s_delay_alu instid0(SALU_CYCLE_1) | instskip(NEXT) | instid1(VALU_DEP_1)
	s_or_b32 exec_lo, exec_lo, s10
	v_mul_f32_e32 v0, v1, v0
	v_mov_b32_e32 v3, v5
                                        ; implicit-def: $vgpr19
	s_mov_b32 s10, exec_lo
	s_delay_alu instid0(VALU_DEP_2) | instskip(SKIP_2) | instid1(VALU_DEP_3)
	v_and_b32_e32 v2, 0x7f800000, v0
	v_and_b32_e32 v4, 0x7fffff, v0
	v_lshrrev_b32_e32 v1, 24, v0
	v_cmpx_ne_u64_e32 0x7f800000, v[2:3]
	s_xor_b32 s25, exec_lo, s10
	s_cbranch_execz .LBB6_1764
; %bb.1751:                             ;   in Loop: Header=BB6_130 Depth=2
	v_and_b32_e32 v2, 0x7fffffff, v0
	v_mov_b32_e32 v3, v5
	v_and_b32_e32 v22, 0x80, v1
                                        ; implicit-def: $vgpr19
	s_mov_b32 s10, exec_lo
	s_delay_alu instid0(VALU_DEP_2)
	v_cmpx_gt_u64_e32 0x47600001, v[2:3]
	s_xor_b32 s26, exec_lo, s10
	s_cbranch_execz .LBB6_1761
; %bb.1752:                             ;   in Loop: Header=BB6_130 Depth=2
	v_mov_b32_e32 v19, 0
	s_mov_b32 s27, exec_lo
	v_cmpx_ne_u32_e32 0, v0
	s_cbranch_execz .LBB6_1760
; %bb.1753:                             ;   in Loop: Header=BB6_130 Depth=2
	v_bfe_u32 v19, v0, 23, 8
	v_or_b32_e32 v1, 0x800000, v4
	s_delay_alu instid0(VALU_DEP_2) | instskip(SKIP_2) | instid1(VALU_DEP_2)
	v_cmp_gt_u32_e64 s10, 0x72, v19
	v_sub_nc_u32_e32 v0, 0x71, v19
	v_cmp_eq_u32_e32 vcc_lo, 0, v19
	v_cndmask_b32_e64 v0, 0, v0, s10
	s_delay_alu instid0(VALU_DEP_1) | instskip(SKIP_1) | instid1(VALU_DEP_2)
	v_cndmask_b32_e64 v23, v0, 0x70, vcc_lo
	v_cndmask_b32_e32 v0, v1, v4, vcc_lo
	v_dual_mov_b32 v1, v5 :: v_dual_add_nc_u32 v2, 21, v23
	v_add_nc_u32_e32 v4, 20, v23
	s_delay_alu instid0(VALU_DEP_2) | instskip(NEXT) | instid1(VALU_DEP_2)
	v_lshlrev_b64_e64 v[2:3], v2, -1
	v_lshlrev_b64_e64 v[86:87], v4, 1
	s_delay_alu instid0(VALU_DEP_2) | instskip(SKIP_1) | instid1(VALU_DEP_4)
	v_bfi_b32 v2, v2, 0, v0
	v_lshrrev_b64 v[0:1], v23, v[0:1]
	v_bfi_b32 v3, v3, 0, 0
	s_delay_alu instid0(VALU_DEP_1) | instskip(NEXT) | instid1(VALU_DEP_3)
	v_cmp_eq_u64_e64 s10, v[2:3], v[86:87]
	v_mov_b64_e32 v[2:3], v[0:1]
	s_and_saveexec_b32 s28, s10
; %bb.1754:                             ;   in Loop: Header=BB6_130 Depth=2
	v_bfe_u32 v2, v0, 21, 1
	v_mov_b32_e32 v3, v5
	s_delay_alu instid0(VALU_DEP_1) | instskip(NEXT) | instid1(VALU_DEP_1)
	v_add_nc_u64_e32 v[2:3], v[0:1], v[2:3]
	v_add_nc_u64_e32 v[2:3], -1, v[2:3]
; %bb.1755:                             ;   in Loop: Header=BB6_130 Depth=2
	s_or_b32 exec_lo, exec_lo, s28
	v_add_nc_u32_e32 v1, 0xffffff81, v19
	v_lshrrev_b32_e32 v3, 23, v0
	s_mov_b32 s10, exec_lo
	s_delay_alu instid0(VALU_DEP_2) | instskip(NEXT) | instid1(VALU_DEP_1)
	v_cndmask_b32_e64 v1, v1, 0xffffff82, vcc_lo
	v_add3_u32 v3, v23, v1, v3
	v_and_b32_e32 v1, 0x1fffff, v2
                                        ; implicit-def: $vgpr2
	s_delay_alu instid0(VALU_DEP_1) | instskip(NEXT) | instid1(VALU_DEP_1)
	v_dual_add_nc_u32 v19, 14, v3 :: v_dual_add_nc_u32 v4, v1, v0
                                        ; implicit-def: $vgpr0_vgpr1
	v_cmpx_ne_u32_e32 0, v19
	s_xor_b32 s10, exec_lo, s10
; %bb.1756:                             ;   in Loop: Header=BB6_130 Depth=2
	s_delay_alu instid0(VALU_DEP_2) | instskip(SKIP_1) | instid1(VALU_DEP_1)
	v_cmp_lt_u64_e32 vcc_lo, 0xffffff, v[4:5]
	v_add_nc_u32_e32 v0, 15, v3
	v_cndmask_b32_e32 v2, v19, v0, vcc_lo
	v_cndmask_b32_e64 v0, 0, 1, vcc_lo
	s_delay_alu instid0(VALU_DEP_1)
	v_lshrrev_b64 v[0:1], v0, v[4:5]
; %bb.1757:                             ;   in Loop: Header=BB6_130 Depth=2
	s_and_not1_saveexec_b32 s10, s10
; %bb.1758:                             ;   in Loop: Header=BB6_130 Depth=2
	v_mov_b64_e32 v[0:1], v[4:5]
	v_bfe_u32 v2, v4, 23, 1
; %bb.1759:                             ;   in Loop: Header=BB6_130 Depth=2
	s_or_b32 exec_lo, exec_lo, s10
	s_delay_alu instid0(VALU_DEP_2) | instskip(NEXT) | instid1(VALU_DEP_2)
	v_lshrrev_b64 v[0:1], 21, v[0:1]
	v_cmp_gt_i32_e32 vcc_lo, 32, v2
	v_min_i32_e32 v3, 31, v2
	v_cmp_eq_u32_e64 s10, 0, v2
	s_delay_alu instid0(VALU_DEP_2) | instskip(SKIP_1) | instid1(VALU_DEP_2)
	v_dual_cndmask_b32 v1, 0, v1, vcc_lo :: v_dual_lshlrev_b32 v3, 2, v3
	v_cndmask_b32_e32 v0, 3, v0, vcc_lo
	v_and_b32_e32 v3, 0xfc, v3
	s_delay_alu instid0(VALU_DEP_2) | instskip(NEXT) | instid1(VALU_DEP_2)
	v_cmp_eq_u64_e32 vcc_lo, 0, v[0:1]
	v_and_or_b32 v0, v0, 3, v3
	s_and_b32 s10, s10, vcc_lo
	s_delay_alu instid0(VALU_DEP_1) | instid1(SALU_CYCLE_1)
	v_cndmask_b32_e64 v0, v0, 0, s10
	s_delay_alu instid0(VALU_DEP_1)
	v_or_b32_e32 v19, v0, v22
.LBB6_1760:                             ;   in Loop: Header=BB6_130 Depth=2
	s_or_b32 exec_lo, exec_lo, s27
                                        ; implicit-def: $vgpr22
.LBB6_1761:                             ;   in Loop: Header=BB6_130 Depth=2
	s_and_not1_saveexec_b32 s10, s26
; %bb.1762:                             ;   in Loop: Header=BB6_130 Depth=2
	v_or_b32_e32 v19, 0x7b, v22
; %bb.1763:                             ;   in Loop: Header=BB6_130 Depth=2
	s_or_b32 exec_lo, exec_lo, s10
                                        ; implicit-def: $vgpr0
                                        ; implicit-def: $vgpr1
.LBB6_1764:                             ;   in Loop: Header=BB6_130 Depth=2
	s_and_not1_saveexec_b32 s10, s25
	s_cbranch_execz .LBB6_1770
; %bb.1765:                             ;   in Loop: Header=BB6_130 Depth=2
	s_mov_b32 s25, exec_lo
                                        ; implicit-def: $vgpr19
	v_cmpx_ne_u64_e32 0, v[4:5]
	s_xor_b32 s25, exec_lo, s25
; %bb.1766:                             ;   in Loop: Header=BB6_130 Depth=2
	v_or_b32_e32 v19, 0x7f, v1
                                        ; implicit-def: $vgpr0
; %bb.1767:                             ;   in Loop: Header=BB6_130 Depth=2
	s_and_not1_saveexec_b32 s25, s25
; %bb.1768:                             ;   in Loop: Header=BB6_130 Depth=2
	v_cmp_lt_i32_e32 vcc_lo, -1, v0
	v_cndmask_b32_e32 v19, 0xfc, v108, vcc_lo
; %bb.1769:                             ;   in Loop: Header=BB6_130 Depth=2
	s_or_b32 exec_lo, exec_lo, s25
.LBB6_1770:                             ;   in Loop: Header=BB6_130 Depth=2
	s_delay_alu instid0(SALU_CYCLE_1) | instskip(SKIP_3) | instid1(VALU_DEP_2)
	s_or_b32 exec_lo, exec_lo, s10
	v_lshrrev_b16 v0, 8, v24
	v_dual_mov_b32 v2, 0 :: v_dual_mov_b32 v3, 0
	s_mov_b32 s10, exec_lo
	v_cmpx_ne_u16_e32 0, v0
	s_cbranch_execz .LBB6_1780
; %bb.1771:                             ;   in Loop: Header=BB6_130 Depth=2
	v_bfrev_b32_e32 v3, 1
	s_mov_b32 s25, exec_lo
	v_cmpx_ne_u16_e32 0x80, v0
	s_cbranch_execz .LBB6_1779
; %bb.1772:                             ;   in Loop: Header=BB6_130 Depth=2
	v_and_b32_e32 v4, 0xffff, v0
	s_delay_alu instid0(VALU_DEP_1) | instskip(SKIP_1) | instid1(VALU_DEP_2)
	v_and_b32_e32 v3, 0x7c, v4
	v_and_b32_e32 v1, 3, v4
	v_cmp_ne_u32_e32 vcc_lo, 0x7c, v3
                                        ; implicit-def: $vgpr3
	s_and_saveexec_b32 s26, vcc_lo
	s_delay_alu instid0(SALU_CYCLE_1)
	s_xor_b32 s26, exec_lo, s26
	s_cbranch_execz .LBB6_1776
; %bb.1773:                             ;   in Loop: Header=BB6_130 Depth=2
	v_bfe_u32 v3, v4, 2, 5
	s_mov_b32 s27, exec_lo
	s_delay_alu instid0(VALU_DEP_1)
	v_cmpx_eq_u32_e32 0, v3
	s_cbranch_execz .LBB6_1775
; %bb.1774:                             ;   in Loop: Header=BB6_130 Depth=2
	v_clz_i32_u32_e32 v1, v1
	s_delay_alu instid0(VALU_DEP_1) | instskip(SKIP_1) | instid1(VALU_DEP_2)
	v_min_u32_e32 v3, 32, v1
	v_mov_b32_e32 v1, v5
	v_subrev_nc_u32_e32 v4, 29, v3
	v_sub_nc_u32_e32 v3, 30, v3
	s_delay_alu instid0(VALU_DEP_2) | instskip(NEXT) | instid1(VALU_DEP_1)
	v_lshlrev_b64_e32 v[0:1], v4, v[0:1]
	v_and_b32_e32 v1, 3, v0
.LBB6_1775:                             ;   in Loop: Header=BB6_130 Depth=2
	s_or_b32 exec_lo, exec_lo, s27
	v_lshlrev_b32_e32 v0, 16, v24
	s_delay_alu instid0(VALU_DEP_1) | instskip(NEXT) | instid1(VALU_DEP_1)
	v_and_b32_e32 v0, 0x80000000, v0
	v_lshl_add_u32 v0, v3, 23, v0
	s_delay_alu instid0(VALU_DEP_1) | instskip(NEXT) | instid1(VALU_DEP_1)
	v_lshl_or_b32 v0, v1, 21, v0
                                        ; implicit-def: $vgpr1
	v_add_nc_u32_e32 v3, 0x38000000, v0
.LBB6_1776:                             ;   in Loop: Header=BB6_130 Depth=2
	s_and_not1_saveexec_b32 s26, s26
; %bb.1777:                             ;   in Loop: Header=BB6_130 Depth=2
	v_cmp_lt_i16_e32 vcc_lo, -1, v24
	v_cndmask_b32_e32 v0, 0xff800000, v109, vcc_lo
	v_cmp_eq_u32_e32 vcc_lo, 0, v1
	s_delay_alu instid0(VALU_DEP_2)
	v_cndmask_b32_e32 v3, 0x7f800001, v0, vcc_lo
; %bb.1778:                             ;   in Loop: Header=BB6_130 Depth=2
	s_or_b32 exec_lo, exec_lo, s26
.LBB6_1779:                             ;   in Loop: Header=BB6_130 Depth=2
	s_delay_alu instid0(SALU_CYCLE_1)
	s_or_b32 exec_lo, exec_lo, s25
.LBB6_1780:                             ;   in Loop: Header=BB6_130 Depth=2
	s_delay_alu instid0(SALU_CYCLE_1) | instskip(SKIP_2) | instid1(VALU_DEP_1)
	s_or_b32 exec_lo, exec_lo, s10
	v_lshrrev_b16 v0, 8, v20
	s_mov_b32 s10, exec_lo
	v_cmpx_ne_u16_e32 0, v0
	s_cbranch_execz .LBB6_1790
; %bb.1781:                             ;   in Loop: Header=BB6_130 Depth=2
	v_bfrev_b32_e32 v2, 1
	s_mov_b32 s25, exec_lo
	v_cmpx_ne_u16_e32 0x80, v0
	s_cbranch_execz .LBB6_1789
; %bb.1782:                             ;   in Loop: Header=BB6_130 Depth=2
	v_and_b32_e32 v4, 0xffff, v0
	s_delay_alu instid0(VALU_DEP_1) | instskip(SKIP_1) | instid1(VALU_DEP_2)
	v_and_b32_e32 v2, 0x7c, v4
	v_and_b32_e32 v1, 3, v4
	v_cmp_ne_u32_e32 vcc_lo, 0x7c, v2
                                        ; implicit-def: $vgpr2
	s_and_saveexec_b32 s26, vcc_lo
	s_delay_alu instid0(SALU_CYCLE_1)
	s_xor_b32 s26, exec_lo, s26
	s_cbranch_execz .LBB6_1786
; %bb.1783:                             ;   in Loop: Header=BB6_130 Depth=2
	v_bfe_u32 v2, v4, 2, 5
	s_mov_b32 s27, exec_lo
	s_delay_alu instid0(VALU_DEP_1)
	v_cmpx_eq_u32_e32 0, v2
	s_cbranch_execz .LBB6_1785
; %bb.1784:                             ;   in Loop: Header=BB6_130 Depth=2
	v_clz_i32_u32_e32 v1, v1
	s_delay_alu instid0(VALU_DEP_1) | instskip(SKIP_1) | instid1(VALU_DEP_2)
	v_min_u32_e32 v2, 32, v1
	v_mov_b32_e32 v1, v5
	v_subrev_nc_u32_e32 v4, 29, v2
	v_sub_nc_u32_e32 v2, 30, v2
	s_delay_alu instid0(VALU_DEP_2) | instskip(NEXT) | instid1(VALU_DEP_1)
	v_lshlrev_b64_e32 v[0:1], v4, v[0:1]
	v_and_b32_e32 v1, 3, v0
.LBB6_1785:                             ;   in Loop: Header=BB6_130 Depth=2
	s_or_b32 exec_lo, exec_lo, s27
	v_lshlrev_b32_e32 v0, 16, v20
	s_delay_alu instid0(VALU_DEP_1) | instskip(NEXT) | instid1(VALU_DEP_1)
	v_and_b32_e32 v0, 0x80000000, v0
	v_lshl_add_u32 v0, v2, 23, v0
	s_delay_alu instid0(VALU_DEP_1) | instskip(NEXT) | instid1(VALU_DEP_1)
	v_lshl_or_b32 v0, v1, 21, v0
                                        ; implicit-def: $vgpr1
	v_add_nc_u32_e32 v2, 0x38000000, v0
.LBB6_1786:                             ;   in Loop: Header=BB6_130 Depth=2
	s_and_not1_saveexec_b32 s26, s26
; %bb.1787:                             ;   in Loop: Header=BB6_130 Depth=2
	v_cmp_lt_i16_e32 vcc_lo, -1, v20
	v_cndmask_b32_e32 v0, 0xff800000, v109, vcc_lo
	v_cmp_eq_u32_e32 vcc_lo, 0, v1
	s_delay_alu instid0(VALU_DEP_2)
	v_cndmask_b32_e32 v2, 0x7f800001, v0, vcc_lo
; %bb.1788:                             ;   in Loop: Header=BB6_130 Depth=2
	s_or_b32 exec_lo, exec_lo, s26
.LBB6_1789:                             ;   in Loop: Header=BB6_130 Depth=2
	s_delay_alu instid0(SALU_CYCLE_1)
	s_or_b32 exec_lo, exec_lo, s25
.LBB6_1790:                             ;   in Loop: Header=BB6_130 Depth=2
	s_delay_alu instid0(SALU_CYCLE_1) | instskip(NEXT) | instid1(VALU_DEP_1)
	s_or_b32 exec_lo, exec_lo, s10
	v_dual_mul_f32 v0, v3, v2 :: v_dual_mov_b32 v3, v5
                                        ; implicit-def: $vgpr22
	s_mov_b32 s10, exec_lo
	s_delay_alu instid0(VALU_DEP_1) | instskip(SKIP_2) | instid1(VALU_DEP_3)
	v_and_b32_e32 v2, 0x7f800000, v0
	v_and_b32_e32 v4, 0x7fffff, v0
	v_lshrrev_b32_e32 v1, 24, v0
	v_cmpx_ne_u64_e32 0x7f800000, v[2:3]
	s_xor_b32 s25, exec_lo, s10
	s_cbranch_execz .LBB6_1804
; %bb.1791:                             ;   in Loop: Header=BB6_130 Depth=2
	v_and_b32_e32 v2, 0x7fffffff, v0
	v_mov_b32_e32 v3, v5
	v_and_b32_e32 v23, 0x80, v1
                                        ; implicit-def: $vgpr22
	s_mov_b32 s10, exec_lo
	s_delay_alu instid0(VALU_DEP_2)
	v_cmpx_gt_u64_e32 0x47600001, v[2:3]
	s_xor_b32 s26, exec_lo, s10
	s_cbranch_execz .LBB6_1801
; %bb.1792:                             ;   in Loop: Header=BB6_130 Depth=2
	v_mov_b32_e32 v22, 0
	s_mov_b32 s27, exec_lo
	v_cmpx_ne_u32_e32 0, v0
	s_cbranch_execz .LBB6_1800
; %bb.1793:                             ;   in Loop: Header=BB6_130 Depth=2
	v_bfe_u32 v22, v0, 23, 8
	v_or_b32_e32 v1, 0x800000, v4
	s_delay_alu instid0(VALU_DEP_2) | instskip(SKIP_2) | instid1(VALU_DEP_2)
	v_cmp_gt_u32_e64 s10, 0x72, v22
	v_sub_nc_u32_e32 v0, 0x71, v22
	v_cmp_eq_u32_e32 vcc_lo, 0, v22
	v_cndmask_b32_e64 v0, 0, v0, s10
	s_delay_alu instid0(VALU_DEP_1) | instskip(SKIP_1) | instid1(VALU_DEP_2)
	v_cndmask_b32_e64 v86, v0, 0x70, vcc_lo
	v_cndmask_b32_e32 v0, v1, v4, vcc_lo
	v_dual_mov_b32 v1, v5 :: v_dual_add_nc_u32 v2, 21, v86
	v_add_nc_u32_e32 v4, 20, v86
	s_delay_alu instid0(VALU_DEP_2) | instskip(NEXT) | instid1(VALU_DEP_2)
	v_lshlrev_b64_e64 v[2:3], v2, -1
	v_lshlrev_b64_e64 v[96:97], v4, 1
	s_delay_alu instid0(VALU_DEP_2) | instskip(SKIP_1) | instid1(VALU_DEP_4)
	v_bfi_b32 v2, v2, 0, v0
	v_lshrrev_b64 v[0:1], v86, v[0:1]
	v_bfi_b32 v3, v3, 0, 0
	s_delay_alu instid0(VALU_DEP_1) | instskip(NEXT) | instid1(VALU_DEP_3)
	v_cmp_eq_u64_e64 s10, v[2:3], v[96:97]
	v_mov_b64_e32 v[2:3], v[0:1]
	s_and_saveexec_b32 s28, s10
; %bb.1794:                             ;   in Loop: Header=BB6_130 Depth=2
	v_bfe_u32 v2, v0, 21, 1
	v_mov_b32_e32 v3, v5
	s_delay_alu instid0(VALU_DEP_1) | instskip(NEXT) | instid1(VALU_DEP_1)
	v_add_nc_u64_e32 v[2:3], v[0:1], v[2:3]
	v_add_nc_u64_e32 v[2:3], -1, v[2:3]
; %bb.1795:                             ;   in Loop: Header=BB6_130 Depth=2
	s_or_b32 exec_lo, exec_lo, s28
	v_add_nc_u32_e32 v1, 0xffffff81, v22
	v_lshrrev_b32_e32 v3, 23, v0
	s_mov_b32 s10, exec_lo
	s_delay_alu instid0(VALU_DEP_2) | instskip(NEXT) | instid1(VALU_DEP_1)
	v_cndmask_b32_e64 v1, v1, 0xffffff82, vcc_lo
	v_add3_u32 v3, v86, v1, v3
	v_and_b32_e32 v1, 0x1fffff, v2
                                        ; implicit-def: $vgpr2
	s_delay_alu instid0(VALU_DEP_1) | instskip(NEXT) | instid1(VALU_DEP_1)
	v_dual_add_nc_u32 v22, 14, v3 :: v_dual_add_nc_u32 v4, v1, v0
                                        ; implicit-def: $vgpr0_vgpr1
	v_cmpx_ne_u32_e32 0, v22
	s_xor_b32 s10, exec_lo, s10
; %bb.1796:                             ;   in Loop: Header=BB6_130 Depth=2
	s_delay_alu instid0(VALU_DEP_2) | instskip(SKIP_1) | instid1(VALU_DEP_1)
	v_cmp_lt_u64_e32 vcc_lo, 0xffffff, v[4:5]
	v_add_nc_u32_e32 v0, 15, v3
	v_cndmask_b32_e32 v2, v22, v0, vcc_lo
	v_cndmask_b32_e64 v0, 0, 1, vcc_lo
	s_delay_alu instid0(VALU_DEP_1)
	v_lshrrev_b64 v[0:1], v0, v[4:5]
; %bb.1797:                             ;   in Loop: Header=BB6_130 Depth=2
	s_and_not1_saveexec_b32 s10, s10
; %bb.1798:                             ;   in Loop: Header=BB6_130 Depth=2
	v_mov_b64_e32 v[0:1], v[4:5]
	v_bfe_u32 v2, v4, 23, 1
; %bb.1799:                             ;   in Loop: Header=BB6_130 Depth=2
	s_or_b32 exec_lo, exec_lo, s10
	s_delay_alu instid0(VALU_DEP_2) | instskip(NEXT) | instid1(VALU_DEP_2)
	v_lshrrev_b64 v[0:1], 21, v[0:1]
	v_cmp_gt_i32_e32 vcc_lo, 32, v2
	v_min_i32_e32 v3, 31, v2
	v_cmp_eq_u32_e64 s10, 0, v2
	s_delay_alu instid0(VALU_DEP_2) | instskip(SKIP_1) | instid1(VALU_DEP_2)
	v_dual_cndmask_b32 v1, 0, v1, vcc_lo :: v_dual_lshlrev_b32 v3, 2, v3
	v_cndmask_b32_e32 v0, 3, v0, vcc_lo
	v_and_b32_e32 v3, 0xfc, v3
	s_delay_alu instid0(VALU_DEP_2) | instskip(NEXT) | instid1(VALU_DEP_2)
	v_cmp_eq_u64_e32 vcc_lo, 0, v[0:1]
	v_and_or_b32 v0, v0, 3, v3
	s_and_b32 s10, s10, vcc_lo
	s_delay_alu instid0(VALU_DEP_1) | instid1(SALU_CYCLE_1)
	v_cndmask_b32_e64 v0, v0, 0, s10
	s_delay_alu instid0(VALU_DEP_1)
	v_or_b32_e32 v22, v0, v23
.LBB6_1800:                             ;   in Loop: Header=BB6_130 Depth=2
	s_or_b32 exec_lo, exec_lo, s27
                                        ; implicit-def: $vgpr23
.LBB6_1801:                             ;   in Loop: Header=BB6_130 Depth=2
	s_and_not1_saveexec_b32 s10, s26
; %bb.1802:                             ;   in Loop: Header=BB6_130 Depth=2
	v_or_b32_e32 v22, 0x7b, v23
; %bb.1803:                             ;   in Loop: Header=BB6_130 Depth=2
	s_or_b32 exec_lo, exec_lo, s10
                                        ; implicit-def: $vgpr0
                                        ; implicit-def: $vgpr1
.LBB6_1804:                             ;   in Loop: Header=BB6_130 Depth=2
	s_and_not1_saveexec_b32 s10, s25
	s_cbranch_execz .LBB6_1810
; %bb.1805:                             ;   in Loop: Header=BB6_130 Depth=2
	s_mov_b32 s25, exec_lo
                                        ; implicit-def: $vgpr22
	v_cmpx_ne_u64_e32 0, v[4:5]
	s_xor_b32 s25, exec_lo, s25
; %bb.1806:                             ;   in Loop: Header=BB6_130 Depth=2
	v_or_b32_e32 v22, 0x7f, v1
                                        ; implicit-def: $vgpr0
; %bb.1807:                             ;   in Loop: Header=BB6_130 Depth=2
	s_and_not1_saveexec_b32 s25, s25
; %bb.1808:                             ;   in Loop: Header=BB6_130 Depth=2
	v_cmp_lt_i32_e32 vcc_lo, -1, v0
	v_cndmask_b32_e32 v22, 0xfc, v108, vcc_lo
; %bb.1809:                             ;   in Loop: Header=BB6_130 Depth=2
	s_or_b32 exec_lo, exec_lo, s25
.LBB6_1810:                             ;   in Loop: Header=BB6_130 Depth=2
	s_delay_alu instid0(SALU_CYCLE_1) | instskip(SKIP_3) | instid1(VALU_DEP_2)
	s_or_b32 exec_lo, exec_lo, s10
	v_dual_mov_b32 v1, 0 :: v_dual_lshrrev_b32 v0, 16, v24
	v_mov_b32_e32 v2, 0
	s_mov_b32 s10, exec_lo
	v_and_b32_e32 v3, 0xff, v0
	s_delay_alu instid0(VALU_DEP_1)
	v_cmpx_ne_u16_e32 0, v3
	s_cbranch_execz .LBB6_1820
; %bb.1811:                             ;   in Loop: Header=BB6_130 Depth=2
	v_bfrev_b32_e32 v2, 1
	s_mov_b32 s25, exec_lo
	v_cmpx_ne_u16_e32 0x80, v3
	s_cbranch_execz .LBB6_1819
; %bb.1812:                             ;   in Loop: Header=BB6_130 Depth=2
	v_and_b32_e32 v2, 0x7c0000, v24
	v_bfe_u32 v3, v24, 16, 2
	s_delay_alu instid0(VALU_DEP_2) | instskip(SKIP_1) | instid1(SALU_CYCLE_1)
	v_cmp_ne_u32_e32 vcc_lo, 0x7c0000, v2
                                        ; implicit-def: $vgpr2
	s_and_saveexec_b32 s26, vcc_lo
	s_xor_b32 s26, exec_lo, s26
	s_cbranch_execz .LBB6_1816
; %bb.1813:                             ;   in Loop: Header=BB6_130 Depth=2
	v_bfe_u32 v2, v24, 18, 5
	s_mov_b32 s27, exec_lo
	s_delay_alu instid0(VALU_DEP_1)
	v_cmpx_eq_u32_e32 0, v2
; %bb.1814:                             ;   in Loop: Header=BB6_130 Depth=2
	v_clz_i32_u32_e32 v2, v3
	s_delay_alu instid0(VALU_DEP_1) | instskip(NEXT) | instid1(VALU_DEP_1)
	v_min_u32_e32 v2, 32, v2
	v_subrev_nc_u32_e32 v3, 29, v2
	v_sub_nc_u32_e32 v2, 30, v2
	s_delay_alu instid0(VALU_DEP_2) | instskip(NEXT) | instid1(VALU_DEP_1)
	v_lshlrev_b64_e32 v[86:87], v3, v[0:1]
	v_and_b32_e32 v3, 3, v86
; %bb.1815:                             ;   in Loop: Header=BB6_130 Depth=2
	s_or_b32 exec_lo, exec_lo, s27
	v_lshlrev_b32_e32 v0, 24, v0
	s_delay_alu instid0(VALU_DEP_1) | instskip(NEXT) | instid1(VALU_DEP_1)
	v_and_b32_e32 v0, 0x80000000, v0
	v_lshl_add_u32 v0, v2, 23, v0
	s_delay_alu instid0(VALU_DEP_1) | instskip(NEXT) | instid1(VALU_DEP_1)
	v_lshl_or_b32 v0, v3, 21, v0
                                        ; implicit-def: $vgpr3
	v_add_nc_u32_e32 v2, 0x38000000, v0
                                        ; implicit-def: $vgpr0
.LBB6_1816:                             ;   in Loop: Header=BB6_130 Depth=2
	s_and_not1_saveexec_b32 s26, s26
; %bb.1817:                             ;   in Loop: Header=BB6_130 Depth=2
	v_bfe_i32 v0, v0, 0, 8
	s_delay_alu instid0(VALU_DEP_1) | instskip(SKIP_2) | instid1(VALU_DEP_2)
	v_cmp_lt_i16_e32 vcc_lo, -1, v0
	v_cndmask_b32_e32 v0, 0xff800000, v109, vcc_lo
	v_cmp_eq_u32_e32 vcc_lo, 0, v3
	v_cndmask_b32_e32 v2, 0x7f800001, v0, vcc_lo
; %bb.1818:                             ;   in Loop: Header=BB6_130 Depth=2
	s_or_b32 exec_lo, exec_lo, s26
.LBB6_1819:                             ;   in Loop: Header=BB6_130 Depth=2
	s_delay_alu instid0(SALU_CYCLE_1)
	s_or_b32 exec_lo, exec_lo, s25
.LBB6_1820:                             ;   in Loop: Header=BB6_130 Depth=2
	s_delay_alu instid0(SALU_CYCLE_1) | instskip(SKIP_2) | instid1(VALU_DEP_1)
	s_or_b32 exec_lo, exec_lo, s10
	v_lshrrev_b32_e32 v0, 16, v20
	s_mov_b32 s10, exec_lo
	v_and_b32_e32 v3, 0xff, v0
	s_delay_alu instid0(VALU_DEP_1)
	v_cmpx_ne_u16_e32 0, v3
	s_cbranch_execz .LBB6_1830
; %bb.1821:                             ;   in Loop: Header=BB6_130 Depth=2
	v_bfrev_b32_e32 v1, 1
	s_mov_b32 s25, exec_lo
	v_cmpx_ne_u16_e32 0x80, v3
	s_cbranch_execz .LBB6_1829
; %bb.1822:                             ;   in Loop: Header=BB6_130 Depth=2
	v_and_b32_e32 v1, 0x7c0000, v20
	v_bfe_u32 v3, v20, 16, 2
	s_delay_alu instid0(VALU_DEP_2) | instskip(SKIP_1) | instid1(SALU_CYCLE_1)
	v_cmp_ne_u32_e32 vcc_lo, 0x7c0000, v1
                                        ; implicit-def: $vgpr1
	s_and_saveexec_b32 s26, vcc_lo
	s_xor_b32 s26, exec_lo, s26
	s_cbranch_execz .LBB6_1826
; %bb.1823:                             ;   in Loop: Header=BB6_130 Depth=2
	v_bfe_u32 v1, v20, 18, 5
	s_mov_b32 s27, exec_lo
	s_delay_alu instid0(VALU_DEP_1)
	v_cmpx_eq_u32_e32 0, v1
; %bb.1824:                             ;   in Loop: Header=BB6_130 Depth=2
	v_clz_i32_u32_e32 v1, v3
	s_delay_alu instid0(VALU_DEP_1) | instskip(NEXT) | instid1(VALU_DEP_1)
	v_min_u32_e32 v1, 32, v1
	v_subrev_nc_u32_e32 v3, 29, v1
	s_delay_alu instid0(VALU_DEP_1) | instskip(NEXT) | instid1(VALU_DEP_1)
	v_lshlrev_b64_e32 v[86:87], v3, v[0:1]
	v_dual_sub_nc_u32 v1, 30, v1 :: v_dual_bitop2_b32 v3, 3, v86 bitop3:0x40
; %bb.1825:                             ;   in Loop: Header=BB6_130 Depth=2
	s_or_b32 exec_lo, exec_lo, s27
	v_lshlrev_b32_e32 v0, 24, v0
	s_delay_alu instid0(VALU_DEP_1) | instskip(NEXT) | instid1(VALU_DEP_1)
	v_and_b32_e32 v0, 0x80000000, v0
	v_lshl_add_u32 v0, v1, 23, v0
	s_delay_alu instid0(VALU_DEP_1) | instskip(NEXT) | instid1(VALU_DEP_1)
	v_lshl_or_b32 v0, v3, 21, v0
                                        ; implicit-def: $vgpr3
	v_add_nc_u32_e32 v1, 0x38000000, v0
                                        ; implicit-def: $vgpr0
.LBB6_1826:                             ;   in Loop: Header=BB6_130 Depth=2
	s_and_not1_saveexec_b32 s26, s26
; %bb.1827:                             ;   in Loop: Header=BB6_130 Depth=2
	v_bfe_i32 v0, v0, 0, 8
	s_delay_alu instid0(VALU_DEP_1) | instskip(SKIP_2) | instid1(VALU_DEP_2)
	v_cmp_lt_i16_e32 vcc_lo, -1, v0
	v_cndmask_b32_e32 v0, 0xff800000, v109, vcc_lo
	v_cmp_eq_u32_e32 vcc_lo, 0, v3
	v_cndmask_b32_e32 v1, 0x7f800001, v0, vcc_lo
; %bb.1828:                             ;   in Loop: Header=BB6_130 Depth=2
	s_or_b32 exec_lo, exec_lo, s26
.LBB6_1829:                             ;   in Loop: Header=BB6_130 Depth=2
	s_delay_alu instid0(SALU_CYCLE_1)
	s_or_b32 exec_lo, exec_lo, s25
.LBB6_1830:                             ;   in Loop: Header=BB6_130 Depth=2
	s_delay_alu instid0(SALU_CYCLE_1) | instskip(NEXT) | instid1(VALU_DEP_1)
	s_or_b32 exec_lo, exec_lo, s10
	v_dual_mul_f32 v0, v2, v1 :: v_dual_mov_b32 v3, v5
                                        ; implicit-def: $vgpr23
	s_mov_b32 s10, exec_lo
	s_delay_alu instid0(VALU_DEP_1) | instskip(SKIP_2) | instid1(VALU_DEP_3)
	v_and_b32_e32 v2, 0x7f800000, v0
	v_and_b32_e32 v4, 0x7fffff, v0
	v_lshrrev_b32_e32 v1, 24, v0
	v_cmpx_ne_u64_e32 0x7f800000, v[2:3]
	s_xor_b32 s25, exec_lo, s10
	s_cbranch_execz .LBB6_1844
; %bb.1831:                             ;   in Loop: Header=BB6_130 Depth=2
	v_and_b32_e32 v2, 0x7fffffff, v0
	v_mov_b32_e32 v3, v5
	v_and_b32_e32 v86, 0x80, v1
                                        ; implicit-def: $vgpr23
	s_mov_b32 s10, exec_lo
	s_delay_alu instid0(VALU_DEP_2)
	v_cmpx_gt_u64_e32 0x47600001, v[2:3]
	s_xor_b32 s26, exec_lo, s10
	s_cbranch_execz .LBB6_1841
; %bb.1832:                             ;   in Loop: Header=BB6_130 Depth=2
	v_mov_b32_e32 v23, 0
	s_mov_b32 s27, exec_lo
	v_cmpx_ne_u32_e32 0, v0
	s_cbranch_execz .LBB6_1840
; %bb.1833:                             ;   in Loop: Header=BB6_130 Depth=2
	v_bfe_u32 v23, v0, 23, 8
	v_or_b32_e32 v1, 0x800000, v4
	s_delay_alu instid0(VALU_DEP_2) | instskip(SKIP_2) | instid1(VALU_DEP_2)
	v_cmp_gt_u32_e64 s10, 0x72, v23
	v_sub_nc_u32_e32 v0, 0x71, v23
	v_cmp_eq_u32_e32 vcc_lo, 0, v23
	v_cndmask_b32_e64 v0, 0, v0, s10
	s_delay_alu instid0(VALU_DEP_1) | instskip(SKIP_1) | instid1(VALU_DEP_2)
	v_cndmask_b32_e64 v87, v0, 0x70, vcc_lo
	v_cndmask_b32_e32 v0, v1, v4, vcc_lo
	v_dual_mov_b32 v1, v5 :: v_dual_add_nc_u32 v2, 21, v87
	v_add_nc_u32_e32 v4, 20, v87
	s_delay_alu instid0(VALU_DEP_2) | instskip(NEXT) | instid1(VALU_DEP_2)
	v_lshlrev_b64_e64 v[2:3], v2, -1
	v_lshlrev_b64_e64 v[96:97], v4, 1
	s_delay_alu instid0(VALU_DEP_2) | instskip(SKIP_1) | instid1(VALU_DEP_4)
	v_bfi_b32 v2, v2, 0, v0
	v_lshrrev_b64 v[0:1], v87, v[0:1]
	v_bfi_b32 v3, v3, 0, 0
	s_delay_alu instid0(VALU_DEP_1) | instskip(NEXT) | instid1(VALU_DEP_3)
	v_cmp_eq_u64_e64 s10, v[2:3], v[96:97]
	v_mov_b64_e32 v[2:3], v[0:1]
	s_and_saveexec_b32 s28, s10
; %bb.1834:                             ;   in Loop: Header=BB6_130 Depth=2
	v_bfe_u32 v2, v0, 21, 1
	v_mov_b32_e32 v3, v5
	s_delay_alu instid0(VALU_DEP_1) | instskip(NEXT) | instid1(VALU_DEP_1)
	v_add_nc_u64_e32 v[2:3], v[0:1], v[2:3]
	v_add_nc_u64_e32 v[2:3], -1, v[2:3]
; %bb.1835:                             ;   in Loop: Header=BB6_130 Depth=2
	s_or_b32 exec_lo, exec_lo, s28
	v_add_nc_u32_e32 v1, 0xffffff81, v23
	v_lshrrev_b32_e32 v3, 23, v0
	s_mov_b32 s10, exec_lo
	s_delay_alu instid0(VALU_DEP_2) | instskip(NEXT) | instid1(VALU_DEP_1)
	v_cndmask_b32_e64 v1, v1, 0xffffff82, vcc_lo
	v_add3_u32 v3, v87, v1, v3
	v_and_b32_e32 v1, 0x1fffff, v2
                                        ; implicit-def: $vgpr2
	s_delay_alu instid0(VALU_DEP_1) | instskip(NEXT) | instid1(VALU_DEP_1)
	v_dual_add_nc_u32 v23, 14, v3 :: v_dual_add_nc_u32 v4, v1, v0
                                        ; implicit-def: $vgpr0_vgpr1
	v_cmpx_ne_u32_e32 0, v23
	s_xor_b32 s10, exec_lo, s10
; %bb.1836:                             ;   in Loop: Header=BB6_130 Depth=2
	s_delay_alu instid0(VALU_DEP_2) | instskip(SKIP_1) | instid1(VALU_DEP_1)
	v_cmp_lt_u64_e32 vcc_lo, 0xffffff, v[4:5]
	v_add_nc_u32_e32 v0, 15, v3
	v_cndmask_b32_e32 v2, v23, v0, vcc_lo
	v_cndmask_b32_e64 v0, 0, 1, vcc_lo
	s_delay_alu instid0(VALU_DEP_1)
	v_lshrrev_b64 v[0:1], v0, v[4:5]
; %bb.1837:                             ;   in Loop: Header=BB6_130 Depth=2
	s_and_not1_saveexec_b32 s10, s10
; %bb.1838:                             ;   in Loop: Header=BB6_130 Depth=2
	v_mov_b64_e32 v[0:1], v[4:5]
	v_bfe_u32 v2, v4, 23, 1
; %bb.1839:                             ;   in Loop: Header=BB6_130 Depth=2
	s_or_b32 exec_lo, exec_lo, s10
	s_delay_alu instid0(VALU_DEP_2) | instskip(NEXT) | instid1(VALU_DEP_2)
	v_lshrrev_b64 v[0:1], 21, v[0:1]
	v_cmp_gt_i32_e32 vcc_lo, 32, v2
	v_min_i32_e32 v3, 31, v2
	v_cmp_eq_u32_e64 s10, 0, v2
	s_delay_alu instid0(VALU_DEP_2) | instskip(SKIP_1) | instid1(VALU_DEP_2)
	v_dual_cndmask_b32 v1, 0, v1, vcc_lo :: v_dual_lshlrev_b32 v3, 2, v3
	v_cndmask_b32_e32 v0, 3, v0, vcc_lo
	v_and_b32_e32 v3, 0xfc, v3
	s_delay_alu instid0(VALU_DEP_2) | instskip(NEXT) | instid1(VALU_DEP_2)
	v_cmp_eq_u64_e32 vcc_lo, 0, v[0:1]
	v_and_or_b32 v0, v0, 3, v3
	s_and_b32 s10, s10, vcc_lo
	s_delay_alu instid0(VALU_DEP_1) | instid1(SALU_CYCLE_1)
	v_cndmask_b32_e64 v0, v0, 0, s10
	s_delay_alu instid0(VALU_DEP_1)
	v_or_b32_e32 v23, v0, v86
.LBB6_1840:                             ;   in Loop: Header=BB6_130 Depth=2
	s_or_b32 exec_lo, exec_lo, s27
                                        ; implicit-def: $vgpr86
.LBB6_1841:                             ;   in Loop: Header=BB6_130 Depth=2
	s_and_not1_saveexec_b32 s10, s26
; %bb.1842:                             ;   in Loop: Header=BB6_130 Depth=2
	v_or_b32_e32 v23, 0x7b, v86
; %bb.1843:                             ;   in Loop: Header=BB6_130 Depth=2
	s_or_b32 exec_lo, exec_lo, s10
                                        ; implicit-def: $vgpr0
                                        ; implicit-def: $vgpr1
.LBB6_1844:                             ;   in Loop: Header=BB6_130 Depth=2
	s_and_not1_saveexec_b32 s10, s25
	s_cbranch_execz .LBB6_1850
; %bb.1845:                             ;   in Loop: Header=BB6_130 Depth=2
	s_mov_b32 s25, exec_lo
                                        ; implicit-def: $vgpr23
	v_cmpx_ne_u64_e32 0, v[4:5]
	s_xor_b32 s25, exec_lo, s25
; %bb.1846:                             ;   in Loop: Header=BB6_130 Depth=2
	v_or_b32_e32 v23, 0x7f, v1
                                        ; implicit-def: $vgpr0
; %bb.1847:                             ;   in Loop: Header=BB6_130 Depth=2
	s_and_not1_saveexec_b32 s25, s25
; %bb.1848:                             ;   in Loop: Header=BB6_130 Depth=2
	v_cmp_lt_i32_e32 vcc_lo, -1, v0
	v_cndmask_b32_e32 v23, 0xfc, v108, vcc_lo
; %bb.1849:                             ;   in Loop: Header=BB6_130 Depth=2
	s_or_b32 exec_lo, exec_lo, s25
.LBB6_1850:                             ;   in Loop: Header=BB6_130 Depth=2
	s_delay_alu instid0(SALU_CYCLE_1)
	s_or_b32 exec_lo, exec_lo, s10
	v_dual_mov_b32 v1, 0 :: v_dual_mov_b32 v2, 0
	s_mov_b32 s10, exec_lo
	v_cmpx_lt_u32_e32 0xffffff, v24
	s_cbranch_execz .LBB6_1860
; %bb.1851:                             ;   in Loop: Header=BB6_130 Depth=2
	v_lshrrev_b32_e32 v0, 24, v24
	v_bfrev_b32_e32 v2, 1
	s_mov_b32 s25, exec_lo
	s_delay_alu instid0(VALU_DEP_2)
	v_cmpx_ne_u32_e32 0x80, v0
	s_cbranch_execz .LBB6_1859
; %bb.1852:                             ;   in Loop: Header=BB6_130 Depth=2
	v_and_b32_e32 v2, 0x7c000000, v24
	v_bfe_u32 v3, v24, 24, 2
	s_delay_alu instid0(VALU_DEP_2) | instskip(SKIP_1) | instid1(SALU_CYCLE_1)
	v_cmp_ne_u32_e32 vcc_lo, 0x7c000000, v2
                                        ; implicit-def: $vgpr2
	s_and_saveexec_b32 s26, vcc_lo
	s_xor_b32 s26, exec_lo, s26
	s_cbranch_execz .LBB6_1856
; %bb.1853:                             ;   in Loop: Header=BB6_130 Depth=2
	v_bfe_u32 v2, v24, 26, 5
	s_mov_b32 s27, exec_lo
	s_delay_alu instid0(VALU_DEP_1)
	v_cmpx_eq_u32_e32 0, v2
; %bb.1854:                             ;   in Loop: Header=BB6_130 Depth=2
	v_clz_i32_u32_e32 v2, v3
	s_delay_alu instid0(VALU_DEP_1) | instskip(NEXT) | instid1(VALU_DEP_1)
	v_min_u32_e32 v2, 32, v2
	v_subrev_nc_u32_e32 v3, 29, v2
	v_sub_nc_u32_e32 v2, 30, v2
	s_delay_alu instid0(VALU_DEP_2) | instskip(NEXT) | instid1(VALU_DEP_1)
	v_lshlrev_b64_e32 v[86:87], v3, v[0:1]
	v_and_b32_e32 v3, 3, v86
; %bb.1855:                             ;   in Loop: Header=BB6_130 Depth=2
	s_or_b32 exec_lo, exec_lo, s27
	v_and_b32_e32 v0, 0x80000000, v24
	s_delay_alu instid0(VALU_DEP_1) | instskip(NEXT) | instid1(VALU_DEP_1)
	v_lshl_add_u32 v0, v2, 23, v0
	v_lshl_or_b32 v0, v3, 21, v0
                                        ; implicit-def: $vgpr3
	s_delay_alu instid0(VALU_DEP_1)
	v_add_nc_u32_e32 v2, 0x38000000, v0
.LBB6_1856:                             ;   in Loop: Header=BB6_130 Depth=2
	s_and_not1_saveexec_b32 s26, s26
; %bb.1857:                             ;   in Loop: Header=BB6_130 Depth=2
	v_cmp_lt_i32_e32 vcc_lo, -1, v24
	v_cndmask_b32_e32 v0, 0xff800000, v109, vcc_lo
	v_cmp_eq_u32_e32 vcc_lo, 0, v3
	s_delay_alu instid0(VALU_DEP_2)
	v_cndmask_b32_e32 v2, 0x7f800001, v0, vcc_lo
; %bb.1858:                             ;   in Loop: Header=BB6_130 Depth=2
	s_or_b32 exec_lo, exec_lo, s26
.LBB6_1859:                             ;   in Loop: Header=BB6_130 Depth=2
	s_delay_alu instid0(SALU_CYCLE_1)
	s_or_b32 exec_lo, exec_lo, s25
.LBB6_1860:                             ;   in Loop: Header=BB6_130 Depth=2
	s_delay_alu instid0(SALU_CYCLE_1) | instskip(NEXT) | instid1(SALU_CYCLE_1)
	s_or_b32 exec_lo, exec_lo, s10
	s_mov_b32 s10, exec_lo
	v_cmpx_lt_u32_e32 0xffffff, v20
	s_cbranch_execz .LBB6_1870
; %bb.1861:                             ;   in Loop: Header=BB6_130 Depth=2
	v_lshrrev_b32_e32 v0, 24, v20
	v_bfrev_b32_e32 v1, 1
	s_mov_b32 s25, exec_lo
	s_delay_alu instid0(VALU_DEP_2)
	v_cmpx_ne_u32_e32 0x80, v0
	s_cbranch_execz .LBB6_1869
; %bb.1862:                             ;   in Loop: Header=BB6_130 Depth=2
	v_and_b32_e32 v1, 0x7c000000, v20
	v_bfe_u32 v3, v20, 24, 2
	s_delay_alu instid0(VALU_DEP_2) | instskip(SKIP_1) | instid1(SALU_CYCLE_1)
	v_cmp_ne_u32_e32 vcc_lo, 0x7c000000, v1
                                        ; implicit-def: $vgpr1
	s_and_saveexec_b32 s26, vcc_lo
	s_xor_b32 s26, exec_lo, s26
	s_cbranch_execz .LBB6_1866
; %bb.1863:                             ;   in Loop: Header=BB6_130 Depth=2
	v_bfe_u32 v1, v20, 26, 5
	s_mov_b32 s27, exec_lo
	s_delay_alu instid0(VALU_DEP_1)
	v_cmpx_eq_u32_e32 0, v1
; %bb.1864:                             ;   in Loop: Header=BB6_130 Depth=2
	v_clz_i32_u32_e32 v1, v3
	s_delay_alu instid0(VALU_DEP_1) | instskip(NEXT) | instid1(VALU_DEP_1)
	v_min_u32_e32 v3, 32, v1
	v_subrev_nc_u32_e32 v1, 29, v3
	s_delay_alu instid0(VALU_DEP_1) | instskip(NEXT) | instid1(VALU_DEP_1)
	v_lshlrev_b64_e32 v[0:1], v1, v[0:1]
	v_dual_sub_nc_u32 v1, 30, v3 :: v_dual_bitop2_b32 v3, 3, v0 bitop3:0x40
; %bb.1865:                             ;   in Loop: Header=BB6_130 Depth=2
	s_or_b32 exec_lo, exec_lo, s27
	v_and_b32_e32 v0, 0x80000000, v20
	s_delay_alu instid0(VALU_DEP_1) | instskip(NEXT) | instid1(VALU_DEP_1)
	v_lshl_add_u32 v0, v1, 23, v0
	v_lshl_or_b32 v0, v3, 21, v0
                                        ; implicit-def: $vgpr3
	s_delay_alu instid0(VALU_DEP_1)
	v_add_nc_u32_e32 v1, 0x38000000, v0
.LBB6_1866:                             ;   in Loop: Header=BB6_130 Depth=2
	s_and_not1_saveexec_b32 s26, s26
; %bb.1867:                             ;   in Loop: Header=BB6_130 Depth=2
	v_cmp_lt_i32_e32 vcc_lo, -1, v20
	v_cndmask_b32_e32 v0, 0xff800000, v109, vcc_lo
	v_cmp_eq_u32_e32 vcc_lo, 0, v3
	s_delay_alu instid0(VALU_DEP_2)
	v_cndmask_b32_e32 v1, 0x7f800001, v0, vcc_lo
; %bb.1868:                             ;   in Loop: Header=BB6_130 Depth=2
	s_or_b32 exec_lo, exec_lo, s26
.LBB6_1869:                             ;   in Loop: Header=BB6_130 Depth=2
	s_delay_alu instid0(SALU_CYCLE_1)
	s_or_b32 exec_lo, exec_lo, s25
.LBB6_1870:                             ;   in Loop: Header=BB6_130 Depth=2
	s_delay_alu instid0(SALU_CYCLE_1) | instskip(NEXT) | instid1(VALU_DEP_1)
	s_or_b32 exec_lo, exec_lo, s10
	v_dual_mul_f32 v0, v2, v1 :: v_dual_mov_b32 v3, v5
                                        ; implicit-def: $vgpr86
	s_mov_b32 s10, exec_lo
	s_delay_alu instid0(VALU_DEP_1) | instskip(SKIP_2) | instid1(VALU_DEP_3)
	v_and_b32_e32 v2, 0x7f800000, v0
	v_and_b32_e32 v4, 0x7fffff, v0
	v_lshrrev_b32_e32 v1, 24, v0
	v_cmpx_ne_u64_e32 0x7f800000, v[2:3]
	s_xor_b32 s25, exec_lo, s10
	s_cbranch_execz .LBB6_1884
; %bb.1871:                             ;   in Loop: Header=BB6_130 Depth=2
	v_and_b32_e32 v2, 0x7fffffff, v0
	v_mov_b32_e32 v3, v5
	v_and_b32_e32 v87, 0x80, v1
                                        ; implicit-def: $vgpr86
	s_mov_b32 s10, exec_lo
	s_delay_alu instid0(VALU_DEP_2)
	v_cmpx_gt_u64_e32 0x47600001, v[2:3]
	s_xor_b32 s26, exec_lo, s10
	s_cbranch_execz .LBB6_1881
; %bb.1872:                             ;   in Loop: Header=BB6_130 Depth=2
	v_mov_b32_e32 v86, 0
	s_mov_b32 s27, exec_lo
	v_cmpx_ne_u32_e32 0, v0
	s_cbranch_execz .LBB6_1880
; %bb.1873:                             ;   in Loop: Header=BB6_130 Depth=2
	v_bfe_u32 v86, v0, 23, 8
	v_or_b32_e32 v1, 0x800000, v4
	s_delay_alu instid0(VALU_DEP_2) | instskip(SKIP_2) | instid1(VALU_DEP_2)
	v_cmp_gt_u32_e64 s10, 0x72, v86
	v_sub_nc_u32_e32 v0, 0x71, v86
	v_cmp_eq_u32_e32 vcc_lo, 0, v86
	v_cndmask_b32_e64 v0, 0, v0, s10
	s_delay_alu instid0(VALU_DEP_1) | instskip(SKIP_1) | instid1(VALU_DEP_2)
	v_cndmask_b32_e64 v96, v0, 0x70, vcc_lo
	v_cndmask_b32_e32 v0, v1, v4, vcc_lo
	v_dual_mov_b32 v1, v5 :: v_dual_add_nc_u32 v2, 21, v96
	v_add_nc_u32_e32 v4, 20, v96
	s_delay_alu instid0(VALU_DEP_2) | instskip(NEXT) | instid1(VALU_DEP_2)
	v_lshlrev_b64_e64 v[2:3], v2, -1
	v_lshlrev_b64_e64 v[98:99], v4, 1
	s_delay_alu instid0(VALU_DEP_2) | instskip(SKIP_1) | instid1(VALU_DEP_4)
	v_bfi_b32 v2, v2, 0, v0
	v_lshrrev_b64 v[0:1], v96, v[0:1]
	v_bfi_b32 v3, v3, 0, 0
	s_delay_alu instid0(VALU_DEP_1) | instskip(NEXT) | instid1(VALU_DEP_3)
	v_cmp_eq_u64_e64 s10, v[2:3], v[98:99]
	v_mov_b64_e32 v[2:3], v[0:1]
	s_and_saveexec_b32 s28, s10
; %bb.1874:                             ;   in Loop: Header=BB6_130 Depth=2
	v_bfe_u32 v2, v0, 21, 1
	v_mov_b32_e32 v3, v5
	s_delay_alu instid0(VALU_DEP_1) | instskip(NEXT) | instid1(VALU_DEP_1)
	v_add_nc_u64_e32 v[2:3], v[0:1], v[2:3]
	v_add_nc_u64_e32 v[2:3], -1, v[2:3]
; %bb.1875:                             ;   in Loop: Header=BB6_130 Depth=2
	s_or_b32 exec_lo, exec_lo, s28
	v_add_nc_u32_e32 v1, 0xffffff81, v86
	v_lshrrev_b32_e32 v3, 23, v0
	s_mov_b32 s10, exec_lo
	s_delay_alu instid0(VALU_DEP_2) | instskip(NEXT) | instid1(VALU_DEP_1)
	v_cndmask_b32_e64 v1, v1, 0xffffff82, vcc_lo
	v_add3_u32 v86, v96, v1, v3
	v_and_b32_e32 v1, 0x1fffff, v2
                                        ; implicit-def: $vgpr2
	s_delay_alu instid0(VALU_DEP_1) | instskip(NEXT) | instid1(VALU_DEP_1)
	v_dual_add_nc_u32 v3, 14, v86 :: v_dual_add_nc_u32 v4, v1, v0
                                        ; implicit-def: $vgpr0_vgpr1
	v_cmpx_ne_u32_e32 0, v3
	s_xor_b32 s10, exec_lo, s10
; %bb.1876:                             ;   in Loop: Header=BB6_130 Depth=2
	s_delay_alu instid0(VALU_DEP_2) | instskip(SKIP_1) | instid1(VALU_DEP_1)
	v_cmp_lt_u64_e32 vcc_lo, 0xffffff, v[4:5]
	v_add_nc_u32_e32 v0, 15, v86
	v_cndmask_b32_e32 v2, v3, v0, vcc_lo
	v_cndmask_b32_e64 v0, 0, 1, vcc_lo
	s_delay_alu instid0(VALU_DEP_1)
	v_lshrrev_b64 v[0:1], v0, v[4:5]
; %bb.1877:                             ;   in Loop: Header=BB6_130 Depth=2
	s_and_not1_saveexec_b32 s10, s10
; %bb.1878:                             ;   in Loop: Header=BB6_130 Depth=2
	v_mov_b64_e32 v[0:1], v[4:5]
	v_bfe_u32 v2, v4, 23, 1
; %bb.1879:                             ;   in Loop: Header=BB6_130 Depth=2
	s_or_b32 exec_lo, exec_lo, s10
	s_delay_alu instid0(VALU_DEP_2) | instskip(NEXT) | instid1(VALU_DEP_2)
	v_lshrrev_b64 v[0:1], 21, v[0:1]
	v_cmp_gt_i32_e32 vcc_lo, 32, v2
	v_min_i32_e32 v3, 31, v2
	v_cmp_eq_u32_e64 s10, 0, v2
	s_delay_alu instid0(VALU_DEP_2) | instskip(SKIP_1) | instid1(VALU_DEP_2)
	v_dual_cndmask_b32 v1, 0, v1, vcc_lo :: v_dual_lshlrev_b32 v3, 2, v3
	v_cndmask_b32_e32 v0, 3, v0, vcc_lo
	v_and_b32_e32 v3, 0xfc, v3
	s_delay_alu instid0(VALU_DEP_2) | instskip(NEXT) | instid1(VALU_DEP_2)
	v_cmp_eq_u64_e32 vcc_lo, 0, v[0:1]
	v_and_or_b32 v0, v0, 3, v3
	s_and_b32 s10, s10, vcc_lo
	s_delay_alu instid0(VALU_DEP_1) | instid1(SALU_CYCLE_1)
	v_cndmask_b32_e64 v0, v0, 0, s10
	s_delay_alu instid0(VALU_DEP_1)
	v_or_b32_e32 v86, v0, v87
.LBB6_1880:                             ;   in Loop: Header=BB6_130 Depth=2
	s_or_b32 exec_lo, exec_lo, s27
                                        ; implicit-def: $vgpr87
.LBB6_1881:                             ;   in Loop: Header=BB6_130 Depth=2
	s_and_not1_saveexec_b32 s10, s26
; %bb.1882:                             ;   in Loop: Header=BB6_130 Depth=2
	v_or_b32_e32 v86, 0x7b, v87
; %bb.1883:                             ;   in Loop: Header=BB6_130 Depth=2
	s_or_b32 exec_lo, exec_lo, s10
                                        ; implicit-def: $vgpr0
                                        ; implicit-def: $vgpr1
.LBB6_1884:                             ;   in Loop: Header=BB6_130 Depth=2
	s_and_not1_saveexec_b32 s10, s25
	s_cbranch_execz .LBB6_1890
; %bb.1885:                             ;   in Loop: Header=BB6_130 Depth=2
	s_mov_b32 s25, exec_lo
                                        ; implicit-def: $vgpr86
	v_cmpx_ne_u64_e32 0, v[4:5]
	s_xor_b32 s25, exec_lo, s25
; %bb.1886:                             ;   in Loop: Header=BB6_130 Depth=2
	v_or_b32_e32 v86, 0x7f, v1
                                        ; implicit-def: $vgpr0
; %bb.1887:                             ;   in Loop: Header=BB6_130 Depth=2
	s_and_not1_saveexec_b32 s25, s25
; %bb.1888:                             ;   in Loop: Header=BB6_130 Depth=2
	v_cmp_lt_i32_e32 vcc_lo, -1, v0
	v_cndmask_b32_e32 v86, 0xfc, v108, vcc_lo
; %bb.1889:                             ;   in Loop: Header=BB6_130 Depth=2
	s_or_b32 exec_lo, exec_lo, s25
.LBB6_1890:                             ;   in Loop: Header=BB6_130 Depth=2
	s_delay_alu instid0(SALU_CYCLE_1) | instskip(SKIP_4) | instid1(VALU_DEP_3)
	s_or_b32 exec_lo, exec_lo, s10
	v_and_b32_e32 v2, 0xff, v25
	v_dual_mov_b32 v4, v25 :: v_dual_mov_b32 v1, 0
	v_mov_b32_e32 v0, 0
	s_mov_b32 s10, exec_lo
	v_cmpx_ne_u16_e32 0, v2
	s_cbranch_execz .LBB6_1900
; %bb.1891:                             ;   in Loop: Header=BB6_130 Depth=2
	v_bfrev_b32_e32 v0, 1
	s_mov_b32 s25, exec_lo
	v_cmpx_ne_u16_e32 0x80, v2
	s_cbranch_execz .LBB6_1899
; %bb.1892:                             ;   in Loop: Header=BB6_130 Depth=2
	v_and_b32_e32 v0, 0x7c, v25
	v_and_b32_e32 v2, 3, v25
	s_delay_alu instid0(VALU_DEP_2) | instskip(SKIP_1) | instid1(SALU_CYCLE_1)
	v_cmp_ne_u32_e32 vcc_lo, 0x7c, v0
                                        ; implicit-def: $vgpr0
	s_and_saveexec_b32 s26, vcc_lo
	s_xor_b32 s26, exec_lo, s26
	s_cbranch_execz .LBB6_1896
; %bb.1893:                             ;   in Loop: Header=BB6_130 Depth=2
	v_bfe_u32 v0, v25, 2, 5
	s_mov_b32 s27, exec_lo
	s_delay_alu instid0(VALU_DEP_1)
	v_cmpx_eq_u32_e32 0, v0
; %bb.1894:                             ;   in Loop: Header=BB6_130 Depth=2
	v_clz_i32_u32_e32 v0, v2
	s_delay_alu instid0(VALU_DEP_1) | instskip(NEXT) | instid1(VALU_DEP_1)
	v_min_u32_e32 v0, 32, v0
	v_subrev_nc_u32_e32 v2, 29, v0
	s_delay_alu instid0(VALU_DEP_1) | instskip(NEXT) | instid1(VALU_DEP_1)
	v_lshlrev_b64_e32 v[2:3], v2, v[4:5]
	v_dual_sub_nc_u32 v0, 30, v0 :: v_dual_bitop2_b32 v2, 3, v2 bitop3:0x40
; %bb.1895:                             ;   in Loop: Header=BB6_130 Depth=2
	s_or_b32 exec_lo, exec_lo, s27
	v_lshlrev_b32_e32 v3, 24, v25
	s_delay_alu instid0(VALU_DEP_1) | instskip(NEXT) | instid1(VALU_DEP_1)
	v_and_b32_e32 v3, 0x80000000, v3
	v_lshl_add_u32 v0, v0, 23, v3
	s_delay_alu instid0(VALU_DEP_1) | instskip(NEXT) | instid1(VALU_DEP_1)
	v_lshl_or_b32 v0, v2, 21, v0
                                        ; implicit-def: $vgpr2
	v_add_nc_u32_e32 v0, 0x38000000, v0
.LBB6_1896:                             ;   in Loop: Header=BB6_130 Depth=2
	s_and_not1_saveexec_b32 s26, s26
; %bb.1897:                             ;   in Loop: Header=BB6_130 Depth=2
	v_bfe_i32 v0, v25, 0, 8
	s_delay_alu instid0(VALU_DEP_1) | instskip(SKIP_2) | instid1(VALU_DEP_2)
	v_cmp_lt_i16_e32 vcc_lo, -1, v0
	v_cndmask_b32_e32 v0, 0xff800000, v109, vcc_lo
	v_cmp_eq_u32_e32 vcc_lo, 0, v2
	v_cndmask_b32_e32 v0, 0x7f800001, v0, vcc_lo
; %bb.1898:                             ;   in Loop: Header=BB6_130 Depth=2
	s_or_b32 exec_lo, exec_lo, s26
.LBB6_1899:                             ;   in Loop: Header=BB6_130 Depth=2
	s_delay_alu instid0(SALU_CYCLE_1)
	s_or_b32 exec_lo, exec_lo, s25
.LBB6_1900:                             ;   in Loop: Header=BB6_130 Depth=2
	s_delay_alu instid0(SALU_CYCLE_1) | instskip(SKIP_2) | instid1(VALU_DEP_1)
	s_or_b32 exec_lo, exec_lo, s10
	v_and_b32_e32 v2, 0xff, v21
	s_mov_b32 s10, exec_lo
	v_cmpx_ne_u16_e32 0, v2
	s_cbranch_execz .LBB6_1910
; %bb.1901:                             ;   in Loop: Header=BB6_130 Depth=2
	v_bfrev_b32_e32 v1, 1
	s_mov_b32 s25, exec_lo
	v_cmpx_ne_u16_e32 0x80, v2
	s_cbranch_execz .LBB6_1909
; %bb.1902:                             ;   in Loop: Header=BB6_130 Depth=2
	v_and_b32_e32 v1, 0x7c, v21
	v_and_b32_e32 v2, 3, v21
	s_delay_alu instid0(VALU_DEP_2) | instskip(SKIP_1) | instid1(SALU_CYCLE_1)
	v_cmp_ne_u32_e32 vcc_lo, 0x7c, v1
                                        ; implicit-def: $vgpr1
	s_and_saveexec_b32 s26, vcc_lo
	s_xor_b32 s26, exec_lo, s26
	s_cbranch_execz .LBB6_1906
; %bb.1903:                             ;   in Loop: Header=BB6_130 Depth=2
	v_bfe_u32 v1, v21, 2, 5
	s_mov_b32 s27, exec_lo
	s_delay_alu instid0(VALU_DEP_1)
	v_cmpx_eq_u32_e32 0, v1
; %bb.1904:                             ;   in Loop: Header=BB6_130 Depth=2
	v_clz_i32_u32_e32 v1, v2
	v_dual_mov_b32 v2, v21 :: v_dual_mov_b32 v3, v5
	s_delay_alu instid0(VALU_DEP_2) | instskip(NEXT) | instid1(VALU_DEP_1)
	v_min_u32_e32 v1, 32, v1
	v_subrev_nc_u32_e32 v87, 29, v1
	s_delay_alu instid0(VALU_DEP_1) | instskip(NEXT) | instid1(VALU_DEP_1)
	v_lshlrev_b64_e32 v[2:3], v87, v[2:3]
	v_dual_sub_nc_u32 v1, 30, v1 :: v_dual_bitop2_b32 v2, 3, v2 bitop3:0x40
; %bb.1905:                             ;   in Loop: Header=BB6_130 Depth=2
	s_or_b32 exec_lo, exec_lo, s27
	v_lshlrev_b32_e32 v3, 24, v21
	s_delay_alu instid0(VALU_DEP_1) | instskip(NEXT) | instid1(VALU_DEP_1)
	v_and_b32_e32 v3, 0x80000000, v3
	v_lshl_add_u32 v1, v1, 23, v3
	s_delay_alu instid0(VALU_DEP_1) | instskip(NEXT) | instid1(VALU_DEP_1)
	v_lshl_or_b32 v1, v2, 21, v1
                                        ; implicit-def: $vgpr2
	v_add_nc_u32_e32 v1, 0x38000000, v1
.LBB6_1906:                             ;   in Loop: Header=BB6_130 Depth=2
	s_and_not1_saveexec_b32 s26, s26
; %bb.1907:                             ;   in Loop: Header=BB6_130 Depth=2
	v_bfe_i32 v1, v21, 0, 8
	s_delay_alu instid0(VALU_DEP_1) | instskip(SKIP_2) | instid1(VALU_DEP_2)
	v_cmp_lt_i16_e32 vcc_lo, -1, v1
	v_cndmask_b32_e32 v1, 0xff800000, v109, vcc_lo
	v_cmp_eq_u32_e32 vcc_lo, 0, v2
	v_cndmask_b32_e32 v1, 0x7f800001, v1, vcc_lo
; %bb.1908:                             ;   in Loop: Header=BB6_130 Depth=2
	s_or_b32 exec_lo, exec_lo, s26
.LBB6_1909:                             ;   in Loop: Header=BB6_130 Depth=2
	s_delay_alu instid0(SALU_CYCLE_1)
	s_or_b32 exec_lo, exec_lo, s25
.LBB6_1910:                             ;   in Loop: Header=BB6_130 Depth=2
	s_delay_alu instid0(SALU_CYCLE_1) | instskip(NEXT) | instid1(VALU_DEP_1)
	s_or_b32 exec_lo, exec_lo, s10
	v_dual_mul_f32 v2, v0, v1 :: v_dual_mov_b32 v97, v5
	v_mov_b32_e32 v1, v5
                                        ; implicit-def: $vgpr87
	s_mov_b32 s10, exec_lo
	s_delay_alu instid0(VALU_DEP_2) | instskip(SKIP_2) | instid1(VALU_DEP_3)
	v_and_b32_e32 v96, 0x7f800000, v2
	v_and_b32_e32 v0, 0x7fffff, v2
	v_lshrrev_b32_e32 v3, 24, v2
	v_cmpx_ne_u64_e32 0x7f800000, v[96:97]
	s_xor_b32 s25, exec_lo, s10
	s_cbranch_execz .LBB6_1924
; %bb.1911:                             ;   in Loop: Header=BB6_130 Depth=2
	v_and_b32_e32 v96, 0x7fffffff, v2
	v_mov_b32_e32 v97, v5
                                        ; implicit-def: $vgpr87
	s_delay_alu instid0(VALU_DEP_1) | instskip(SKIP_2) | instid1(SALU_CYCLE_1)
	v_cmp_gt_u64_e32 vcc_lo, 0x47600001, v[96:97]
	v_and_b32_e32 v96, 0x80, v3
	s_and_saveexec_b32 s10, vcc_lo
	s_xor_b32 s26, exec_lo, s10
	s_cbranch_execz .LBB6_1921
; %bb.1912:                             ;   in Loop: Header=BB6_130 Depth=2
	v_mov_b32_e32 v87, 0
	s_mov_b32 s27, exec_lo
	v_cmpx_ne_u32_e32 0, v2
	s_cbranch_execz .LBB6_1920
; %bb.1913:                             ;   in Loop: Header=BB6_130 Depth=2
	v_bfe_u32 v87, v2, 23, 8
	v_or_b32_e32 v3, 0x800000, v0
	s_delay_alu instid0(VALU_DEP_2) | instskip(SKIP_2) | instid1(VALU_DEP_2)
	v_cmp_gt_u32_e64 s10, 0x72, v87
	v_sub_nc_u32_e32 v2, 0x71, v87
	v_cmp_eq_u32_e32 vcc_lo, 0, v87
	v_dual_cndmask_b32 v2, 0, v2, s10 :: v_dual_cndmask_b32 v0, v3, v0, vcc_lo
	s_delay_alu instid0(VALU_DEP_1) | instskip(NEXT) | instid1(VALU_DEP_1)
	v_cndmask_b32_e64 v97, v2, 0x70, vcc_lo
	v_dual_add_nc_u32 v2, 21, v97 :: v_dual_add_nc_u32 v98, 20, v97
	s_delay_alu instid0(VALU_DEP_1) | instskip(NEXT) | instid1(VALU_DEP_2)
	v_lshlrev_b64_e64 v[2:3], v2, -1
	v_lshlrev_b64_e64 v[98:99], v98, 1
	s_delay_alu instid0(VALU_DEP_2) | instskip(SKIP_1) | instid1(VALU_DEP_4)
	v_bfi_b32 v2, v2, 0, v0
	v_lshrrev_b64 v[0:1], v97, v[0:1]
	v_bfi_b32 v3, v3, 0, 0
	s_delay_alu instid0(VALU_DEP_1) | instskip(NEXT) | instid1(VALU_DEP_3)
	v_cmp_eq_u64_e64 s10, v[2:3], v[98:99]
	v_mov_b64_e32 v[2:3], v[0:1]
	s_and_saveexec_b32 s28, s10
; %bb.1914:                             ;   in Loop: Header=BB6_130 Depth=2
	v_bfe_u32 v2, v0, 21, 1
	v_mov_b32_e32 v3, v5
	s_delay_alu instid0(VALU_DEP_1) | instskip(NEXT) | instid1(VALU_DEP_1)
	v_add_nc_u64_e32 v[2:3], v[0:1], v[2:3]
	v_add_nc_u64_e32 v[2:3], -1, v[2:3]
; %bb.1915:                             ;   in Loop: Header=BB6_130 Depth=2
	s_or_b32 exec_lo, exec_lo, s28
	v_add_nc_u32_e32 v1, 0xffffff81, v87
	v_lshrrev_b32_e32 v3, 23, v0
	s_mov_b32 s10, exec_lo
	s_delay_alu instid0(VALU_DEP_2) | instskip(NEXT) | instid1(VALU_DEP_1)
	v_cndmask_b32_e64 v1, v1, 0xffffff82, vcc_lo
	v_add3_u32 v87, v97, v1, v3
	v_and_b32_e32 v1, 0x1fffff, v2
                                        ; implicit-def: $vgpr2
	s_delay_alu instid0(VALU_DEP_1) | instskip(SKIP_1) | instid1(VALU_DEP_2)
	v_dual_add_nc_u32 v3, 14, v87 :: v_dual_add_nc_u32 v0, v1, v0
	v_mov_b32_e32 v1, v5
	v_cmpx_ne_u32_e32 0, v3
	s_xor_b32 s10, exec_lo, s10
; %bb.1916:                             ;   in Loop: Header=BB6_130 Depth=2
	s_delay_alu instid0(VALU_DEP_2) | instskip(SKIP_1) | instid1(VALU_DEP_1)
	v_cmp_lt_u64_e32 vcc_lo, 0xffffff, v[0:1]
	v_add_nc_u32_e32 v2, 15, v87
	v_cndmask_b32_e32 v2, v3, v2, vcc_lo
	v_cndmask_b32_e64 v3, 0, 1, vcc_lo
	s_delay_alu instid0(VALU_DEP_1)
	v_lshrrev_b64 v[0:1], v3, v[0:1]
; %bb.1917:                             ;   in Loop: Header=BB6_130 Depth=2
	s_and_not1_saveexec_b32 s10, s10
; %bb.1918:                             ;   in Loop: Header=BB6_130 Depth=2
	s_delay_alu instid0(VALU_DEP_1)
	v_bfe_u32 v2, v0, 23, 1
; %bb.1919:                             ;   in Loop: Header=BB6_130 Depth=2
	s_or_b32 exec_lo, exec_lo, s10
	s_delay_alu instid0(VALU_DEP_2) | instskip(NEXT) | instid1(VALU_DEP_2)
	v_lshrrev_b64 v[0:1], 21, v[0:1]
	v_cmp_gt_i32_e32 vcc_lo, 32, v2
	v_min_i32_e32 v3, 31, v2
	v_cmp_eq_u32_e64 s10, 0, v2
	s_delay_alu instid0(VALU_DEP_2) | instskip(SKIP_1) | instid1(VALU_DEP_2)
	v_dual_cndmask_b32 v1, 0, v1, vcc_lo :: v_dual_lshlrev_b32 v3, 2, v3
	v_cndmask_b32_e32 v0, 3, v0, vcc_lo
	v_and_b32_e32 v3, 0xfc, v3
	s_delay_alu instid0(VALU_DEP_2) | instskip(NEXT) | instid1(VALU_DEP_2)
	v_cmp_eq_u64_e32 vcc_lo, 0, v[0:1]
	v_and_or_b32 v0, v0, 3, v3
	s_and_b32 s10, s10, vcc_lo
	s_delay_alu instid0(VALU_DEP_1) | instid1(SALU_CYCLE_1)
	v_cndmask_b32_e64 v0, v0, 0, s10
	s_delay_alu instid0(VALU_DEP_1)
	v_or_b32_e32 v87, v0, v96
.LBB6_1920:                             ;   in Loop: Header=BB6_130 Depth=2
	s_or_b32 exec_lo, exec_lo, s27
                                        ; implicit-def: $vgpr96
.LBB6_1921:                             ;   in Loop: Header=BB6_130 Depth=2
	s_and_not1_saveexec_b32 s10, s26
; %bb.1922:                             ;   in Loop: Header=BB6_130 Depth=2
	v_or_b32_e32 v87, 0x7b, v96
; %bb.1923:                             ;   in Loop: Header=BB6_130 Depth=2
	s_or_b32 exec_lo, exec_lo, s10
                                        ; implicit-def: $vgpr2
                                        ; implicit-def: $vgpr0_vgpr1
                                        ; implicit-def: $vgpr3
.LBB6_1924:                             ;   in Loop: Header=BB6_130 Depth=2
	s_and_not1_saveexec_b32 s10, s25
	s_cbranch_execz .LBB6_1930
; %bb.1925:                             ;   in Loop: Header=BB6_130 Depth=2
	s_mov_b32 s25, exec_lo
                                        ; implicit-def: $vgpr87
	v_cmpx_ne_u64_e32 0, v[0:1]
	s_xor_b32 s25, exec_lo, s25
; %bb.1926:                             ;   in Loop: Header=BB6_130 Depth=2
	v_or_b32_e32 v87, 0x7f, v3
                                        ; implicit-def: $vgpr2
; %bb.1927:                             ;   in Loop: Header=BB6_130 Depth=2
	s_and_not1_saveexec_b32 s25, s25
; %bb.1928:                             ;   in Loop: Header=BB6_130 Depth=2
	v_cmp_lt_i32_e32 vcc_lo, -1, v2
	v_cndmask_b32_e32 v87, 0xfc, v108, vcc_lo
; %bb.1929:                             ;   in Loop: Header=BB6_130 Depth=2
	s_or_b32 exec_lo, exec_lo, s25
.LBB6_1930:                             ;   in Loop: Header=BB6_130 Depth=2
	s_delay_alu instid0(SALU_CYCLE_1) | instskip(SKIP_3) | instid1(VALU_DEP_2)
	s_or_b32 exec_lo, exec_lo, s10
	v_lshrrev_b16 v0, 8, v4
	v_dual_mov_b32 v2, 0 :: v_dual_mov_b32 v3, 0
	s_mov_b32 s10, exec_lo
	v_cmpx_ne_u16_e32 0, v0
	s_cbranch_execz .LBB6_1940
; %bb.1931:                             ;   in Loop: Header=BB6_130 Depth=2
	v_bfrev_b32_e32 v3, 1
	s_mov_b32 s25, exec_lo
	v_cmpx_ne_u16_e32 0x80, v0
	s_cbranch_execz .LBB6_1939
; %bb.1932:                             ;   in Loop: Header=BB6_130 Depth=2
	v_and_b32_e32 v96, 0xffff, v0
	s_delay_alu instid0(VALU_DEP_1) | instskip(SKIP_1) | instid1(VALU_DEP_2)
	v_and_b32_e32 v3, 0x7c, v96
	v_and_b32_e32 v1, 3, v96
	v_cmp_ne_u32_e32 vcc_lo, 0x7c, v3
                                        ; implicit-def: $vgpr3
	s_and_saveexec_b32 s26, vcc_lo
	s_delay_alu instid0(SALU_CYCLE_1)
	s_xor_b32 s26, exec_lo, s26
	s_cbranch_execz .LBB6_1936
; %bb.1933:                             ;   in Loop: Header=BB6_130 Depth=2
	v_bfe_u32 v3, v96, 2, 5
	s_mov_b32 s27, exec_lo
	s_delay_alu instid0(VALU_DEP_1)
	v_cmpx_eq_u32_e32 0, v3
	s_cbranch_execz .LBB6_1935
; %bb.1934:                             ;   in Loop: Header=BB6_130 Depth=2
	v_clz_i32_u32_e32 v1, v1
	s_delay_alu instid0(VALU_DEP_1) | instskip(SKIP_1) | instid1(VALU_DEP_2)
	v_min_u32_e32 v3, 32, v1
	v_mov_b32_e32 v1, v5
	v_subrev_nc_u32_e32 v96, 29, v3
	v_sub_nc_u32_e32 v3, 30, v3
	s_delay_alu instid0(VALU_DEP_2) | instskip(NEXT) | instid1(VALU_DEP_1)
	v_lshlrev_b64_e32 v[0:1], v96, v[0:1]
	v_and_b32_e32 v1, 3, v0
.LBB6_1935:                             ;   in Loop: Header=BB6_130 Depth=2
	s_or_b32 exec_lo, exec_lo, s27
	v_lshlrev_b32_e32 v0, 16, v4
	s_delay_alu instid0(VALU_DEP_1) | instskip(NEXT) | instid1(VALU_DEP_1)
	v_and_b32_e32 v0, 0x80000000, v0
	v_lshl_add_u32 v0, v3, 23, v0
	s_delay_alu instid0(VALU_DEP_1) | instskip(NEXT) | instid1(VALU_DEP_1)
	v_lshl_or_b32 v0, v1, 21, v0
                                        ; implicit-def: $vgpr1
	v_add_nc_u32_e32 v3, 0x38000000, v0
.LBB6_1936:                             ;   in Loop: Header=BB6_130 Depth=2
	s_and_not1_saveexec_b32 s26, s26
; %bb.1937:                             ;   in Loop: Header=BB6_130 Depth=2
	v_cmp_lt_i16_e32 vcc_lo, -1, v4
	v_cndmask_b32_e32 v0, 0xff800000, v109, vcc_lo
	v_cmp_eq_u32_e32 vcc_lo, 0, v1
	s_delay_alu instid0(VALU_DEP_2)
	v_cndmask_b32_e32 v3, 0x7f800001, v0, vcc_lo
; %bb.1938:                             ;   in Loop: Header=BB6_130 Depth=2
	s_or_b32 exec_lo, exec_lo, s26
.LBB6_1939:                             ;   in Loop: Header=BB6_130 Depth=2
	s_delay_alu instid0(SALU_CYCLE_1)
	s_or_b32 exec_lo, exec_lo, s25
.LBB6_1940:                             ;   in Loop: Header=BB6_130 Depth=2
	s_delay_alu instid0(SALU_CYCLE_1) | instskip(SKIP_2) | instid1(VALU_DEP_1)
	s_or_b32 exec_lo, exec_lo, s10
	v_lshrrev_b16 v0, 8, v21
	s_mov_b32 s10, exec_lo
	v_cmpx_ne_u16_e32 0, v0
	s_cbranch_execz .LBB6_1950
; %bb.1941:                             ;   in Loop: Header=BB6_130 Depth=2
	v_bfrev_b32_e32 v2, 1
	s_mov_b32 s25, exec_lo
	v_cmpx_ne_u16_e32 0x80, v0
	s_cbranch_execz .LBB6_1949
; %bb.1942:                             ;   in Loop: Header=BB6_130 Depth=2
	v_and_b32_e32 v4, 0xffff, v0
	s_delay_alu instid0(VALU_DEP_1) | instskip(SKIP_1) | instid1(VALU_DEP_2)
	v_and_b32_e32 v2, 0x7c, v4
	v_and_b32_e32 v1, 3, v4
	v_cmp_ne_u32_e32 vcc_lo, 0x7c, v2
                                        ; implicit-def: $vgpr2
	s_and_saveexec_b32 s26, vcc_lo
	s_delay_alu instid0(SALU_CYCLE_1)
	s_xor_b32 s26, exec_lo, s26
	s_cbranch_execz .LBB6_1946
; %bb.1943:                             ;   in Loop: Header=BB6_130 Depth=2
	v_bfe_u32 v2, v4, 2, 5
	s_mov_b32 s27, exec_lo
	s_delay_alu instid0(VALU_DEP_1)
	v_cmpx_eq_u32_e32 0, v2
	s_cbranch_execz .LBB6_1945
; %bb.1944:                             ;   in Loop: Header=BB6_130 Depth=2
	v_clz_i32_u32_e32 v1, v1
	s_delay_alu instid0(VALU_DEP_1) | instskip(SKIP_1) | instid1(VALU_DEP_2)
	v_min_u32_e32 v2, 32, v1
	v_mov_b32_e32 v1, v5
	v_subrev_nc_u32_e32 v4, 29, v2
	v_sub_nc_u32_e32 v2, 30, v2
	s_delay_alu instid0(VALU_DEP_2) | instskip(NEXT) | instid1(VALU_DEP_1)
	v_lshlrev_b64_e32 v[0:1], v4, v[0:1]
	v_and_b32_e32 v1, 3, v0
.LBB6_1945:                             ;   in Loop: Header=BB6_130 Depth=2
	s_or_b32 exec_lo, exec_lo, s27
	v_lshlrev_b32_e32 v0, 16, v21
	s_delay_alu instid0(VALU_DEP_1) | instskip(NEXT) | instid1(VALU_DEP_1)
	v_and_b32_e32 v0, 0x80000000, v0
	v_lshl_add_u32 v0, v2, 23, v0
	s_delay_alu instid0(VALU_DEP_1) | instskip(NEXT) | instid1(VALU_DEP_1)
	v_lshl_or_b32 v0, v1, 21, v0
                                        ; implicit-def: $vgpr1
	v_add_nc_u32_e32 v2, 0x38000000, v0
.LBB6_1946:                             ;   in Loop: Header=BB6_130 Depth=2
	s_and_not1_saveexec_b32 s26, s26
; %bb.1947:                             ;   in Loop: Header=BB6_130 Depth=2
	v_cmp_lt_i16_e32 vcc_lo, -1, v21
	v_cndmask_b32_e32 v0, 0xff800000, v109, vcc_lo
	v_cmp_eq_u32_e32 vcc_lo, 0, v1
	s_delay_alu instid0(VALU_DEP_2)
	v_cndmask_b32_e32 v2, 0x7f800001, v0, vcc_lo
; %bb.1948:                             ;   in Loop: Header=BB6_130 Depth=2
	s_or_b32 exec_lo, exec_lo, s26
.LBB6_1949:                             ;   in Loop: Header=BB6_130 Depth=2
	s_delay_alu instid0(SALU_CYCLE_1)
	s_or_b32 exec_lo, exec_lo, s25
.LBB6_1950:                             ;   in Loop: Header=BB6_130 Depth=2
	s_delay_alu instid0(SALU_CYCLE_1) | instskip(NEXT) | instid1(VALU_DEP_1)
	s_or_b32 exec_lo, exec_lo, s10
	v_dual_mul_f32 v0, v3, v2 :: v_dual_mov_b32 v3, v5
                                        ; implicit-def: $vgpr96
	s_mov_b32 s10, exec_lo
	s_delay_alu instid0(VALU_DEP_1) | instskip(SKIP_2) | instid1(VALU_DEP_3)
	v_and_b32_e32 v2, 0x7f800000, v0
	v_and_b32_e32 v4, 0x7fffff, v0
	v_lshrrev_b32_e32 v1, 24, v0
	v_cmpx_ne_u64_e32 0x7f800000, v[2:3]
	s_xor_b32 s25, exec_lo, s10
	s_cbranch_execz .LBB6_1964
; %bb.1951:                             ;   in Loop: Header=BB6_130 Depth=2
	v_and_b32_e32 v2, 0x7fffffff, v0
	v_mov_b32_e32 v3, v5
	v_and_b32_e32 v97, 0x80, v1
                                        ; implicit-def: $vgpr96
	s_mov_b32 s10, exec_lo
	s_delay_alu instid0(VALU_DEP_2)
	v_cmpx_gt_u64_e32 0x47600001, v[2:3]
	s_xor_b32 s26, exec_lo, s10
	s_cbranch_execz .LBB6_1961
; %bb.1952:                             ;   in Loop: Header=BB6_130 Depth=2
	v_mov_b32_e32 v96, 0
	s_mov_b32 s27, exec_lo
	v_cmpx_ne_u32_e32 0, v0
	s_cbranch_execz .LBB6_1960
; %bb.1953:                             ;   in Loop: Header=BB6_130 Depth=2
	v_bfe_u32 v96, v0, 23, 8
	v_or_b32_e32 v1, 0x800000, v4
	s_delay_alu instid0(VALU_DEP_2) | instskip(SKIP_2) | instid1(VALU_DEP_2)
	v_cmp_gt_u32_e64 s10, 0x72, v96
	v_sub_nc_u32_e32 v0, 0x71, v96
	v_cmp_eq_u32_e32 vcc_lo, 0, v96
	v_cndmask_b32_e64 v0, 0, v0, s10
	s_delay_alu instid0(VALU_DEP_1) | instskip(SKIP_1) | instid1(VALU_DEP_2)
	v_cndmask_b32_e64 v98, v0, 0x70, vcc_lo
	v_cndmask_b32_e32 v0, v1, v4, vcc_lo
	v_dual_mov_b32 v1, v5 :: v_dual_add_nc_u32 v2, 21, v98
	v_add_nc_u32_e32 v4, 20, v98
	s_delay_alu instid0(VALU_DEP_2) | instskip(NEXT) | instid1(VALU_DEP_2)
	v_lshlrev_b64_e64 v[2:3], v2, -1
	v_lshlrev_b64_e64 v[100:101], v4, 1
	s_delay_alu instid0(VALU_DEP_2) | instskip(SKIP_1) | instid1(VALU_DEP_4)
	v_bfi_b32 v2, v2, 0, v0
	v_lshrrev_b64 v[0:1], v98, v[0:1]
	v_bfi_b32 v3, v3, 0, 0
	s_delay_alu instid0(VALU_DEP_1) | instskip(NEXT) | instid1(VALU_DEP_3)
	v_cmp_eq_u64_e64 s10, v[2:3], v[100:101]
	v_mov_b64_e32 v[2:3], v[0:1]
	s_and_saveexec_b32 s28, s10
; %bb.1954:                             ;   in Loop: Header=BB6_130 Depth=2
	v_bfe_u32 v2, v0, 21, 1
	v_mov_b32_e32 v3, v5
	s_delay_alu instid0(VALU_DEP_1) | instskip(NEXT) | instid1(VALU_DEP_1)
	v_add_nc_u64_e32 v[2:3], v[0:1], v[2:3]
	v_add_nc_u64_e32 v[2:3], -1, v[2:3]
; %bb.1955:                             ;   in Loop: Header=BB6_130 Depth=2
	s_or_b32 exec_lo, exec_lo, s28
	v_add_nc_u32_e32 v1, 0xffffff81, v96
	v_lshrrev_b32_e32 v3, 23, v0
	s_mov_b32 s10, exec_lo
	s_delay_alu instid0(VALU_DEP_2) | instskip(NEXT) | instid1(VALU_DEP_1)
	v_cndmask_b32_e64 v1, v1, 0xffffff82, vcc_lo
	v_add3_u32 v96, v98, v1, v3
	v_and_b32_e32 v1, 0x1fffff, v2
                                        ; implicit-def: $vgpr2
	s_delay_alu instid0(VALU_DEP_2) | instskip(NEXT) | instid1(VALU_DEP_2)
	v_add_nc_u32_e32 v3, 14, v96
	v_add_nc_u32_e32 v4, v1, v0
                                        ; implicit-def: $vgpr0_vgpr1
	s_delay_alu instid0(VALU_DEP_2)
	v_cmpx_ne_u32_e32 0, v3
	s_xor_b32 s10, exec_lo, s10
; %bb.1956:                             ;   in Loop: Header=BB6_130 Depth=2
	s_delay_alu instid0(VALU_DEP_2) | instskip(SKIP_1) | instid1(VALU_DEP_1)
	v_cmp_lt_u64_e32 vcc_lo, 0xffffff, v[4:5]
	v_add_nc_u32_e32 v0, 15, v96
	v_cndmask_b32_e32 v2, v3, v0, vcc_lo
	v_cndmask_b32_e64 v0, 0, 1, vcc_lo
	s_delay_alu instid0(VALU_DEP_1)
	v_lshrrev_b64 v[0:1], v0, v[4:5]
; %bb.1957:                             ;   in Loop: Header=BB6_130 Depth=2
	s_and_not1_saveexec_b32 s10, s10
; %bb.1958:                             ;   in Loop: Header=BB6_130 Depth=2
	v_mov_b64_e32 v[0:1], v[4:5]
	v_bfe_u32 v2, v4, 23, 1
; %bb.1959:                             ;   in Loop: Header=BB6_130 Depth=2
	s_or_b32 exec_lo, exec_lo, s10
	s_delay_alu instid0(VALU_DEP_2) | instskip(NEXT) | instid1(VALU_DEP_2)
	v_lshrrev_b64 v[0:1], 21, v[0:1]
	v_cmp_gt_i32_e32 vcc_lo, 32, v2
	v_min_i32_e32 v3, 31, v2
	v_cmp_eq_u32_e64 s10, 0, v2
	s_delay_alu instid0(VALU_DEP_2) | instskip(SKIP_1) | instid1(VALU_DEP_2)
	v_dual_cndmask_b32 v1, 0, v1, vcc_lo :: v_dual_lshlrev_b32 v3, 2, v3
	v_cndmask_b32_e32 v0, 3, v0, vcc_lo
	v_and_b32_e32 v3, 0xfc, v3
	s_delay_alu instid0(VALU_DEP_2) | instskip(NEXT) | instid1(VALU_DEP_2)
	v_cmp_eq_u64_e32 vcc_lo, 0, v[0:1]
	v_and_or_b32 v0, v0, 3, v3
	s_and_b32 s10, s10, vcc_lo
	s_delay_alu instid0(VALU_DEP_1) | instid1(SALU_CYCLE_1)
	v_cndmask_b32_e64 v0, v0, 0, s10
	s_delay_alu instid0(VALU_DEP_1)
	v_or_b32_e32 v96, v0, v97
.LBB6_1960:                             ;   in Loop: Header=BB6_130 Depth=2
	s_or_b32 exec_lo, exec_lo, s27
                                        ; implicit-def: $vgpr97
.LBB6_1961:                             ;   in Loop: Header=BB6_130 Depth=2
	s_and_not1_saveexec_b32 s10, s26
; %bb.1962:                             ;   in Loop: Header=BB6_130 Depth=2
	v_or_b32_e32 v96, 0x7b, v97
; %bb.1963:                             ;   in Loop: Header=BB6_130 Depth=2
	s_or_b32 exec_lo, exec_lo, s10
                                        ; implicit-def: $vgpr0
                                        ; implicit-def: $vgpr1
.LBB6_1964:                             ;   in Loop: Header=BB6_130 Depth=2
	s_and_not1_saveexec_b32 s10, s25
	s_cbranch_execz .LBB6_1970
; %bb.1965:                             ;   in Loop: Header=BB6_130 Depth=2
	s_mov_b32 s25, exec_lo
                                        ; implicit-def: $vgpr96
	v_cmpx_ne_u64_e32 0, v[4:5]
	s_xor_b32 s25, exec_lo, s25
; %bb.1966:                             ;   in Loop: Header=BB6_130 Depth=2
	v_or_b32_e32 v96, 0x7f, v1
                                        ; implicit-def: $vgpr0
; %bb.1967:                             ;   in Loop: Header=BB6_130 Depth=2
	s_and_not1_saveexec_b32 s25, s25
; %bb.1968:                             ;   in Loop: Header=BB6_130 Depth=2
	v_cmp_lt_i32_e32 vcc_lo, -1, v0
	v_cndmask_b32_e32 v96, 0xfc, v108, vcc_lo
; %bb.1969:                             ;   in Loop: Header=BB6_130 Depth=2
	s_or_b32 exec_lo, exec_lo, s25
.LBB6_1970:                             ;   in Loop: Header=BB6_130 Depth=2
	s_delay_alu instid0(SALU_CYCLE_1) | instskip(SKIP_3) | instid1(VALU_DEP_2)
	s_or_b32 exec_lo, exec_lo, s10
	v_dual_mov_b32 v1, 0 :: v_dual_lshrrev_b32 v0, 16, v25
	v_mov_b32_e32 v2, 0
	s_mov_b32 s25, exec_lo
	v_and_b32_e32 v3, 0xff, v0
	s_delay_alu instid0(VALU_DEP_1)
	v_cmpx_ne_u16_e32 0, v3
	s_cbranch_execz .LBB6_1980
; %bb.1971:                             ;   in Loop: Header=BB6_130 Depth=2
	v_bfrev_b32_e32 v2, 1
	s_mov_b32 s26, exec_lo
	v_cmpx_ne_u16_e32 0x80, v3
	s_cbranch_execz .LBB6_1979
; %bb.1972:                             ;   in Loop: Header=BB6_130 Depth=2
	v_and_b32_e32 v2, 0x7c0000, v25
	v_bfe_u32 v3, v25, 16, 2
	s_delay_alu instid0(VALU_DEP_2) | instskip(SKIP_1) | instid1(SALU_CYCLE_1)
	v_cmp_ne_u32_e32 vcc_lo, 0x7c0000, v2
                                        ; implicit-def: $vgpr2
	s_and_saveexec_b32 s10, vcc_lo
	s_xor_b32 s10, exec_lo, s10
	s_cbranch_execz .LBB6_1976
; %bb.1973:                             ;   in Loop: Header=BB6_130 Depth=2
	v_bfe_u32 v2, v25, 18, 5
	s_mov_b32 s27, exec_lo
	s_delay_alu instid0(VALU_DEP_1)
	v_cmpx_eq_u32_e32 0, v2
; %bb.1974:                             ;   in Loop: Header=BB6_130 Depth=2
	v_clz_i32_u32_e32 v2, v3
	s_delay_alu instid0(VALU_DEP_1) | instskip(NEXT) | instid1(VALU_DEP_1)
	v_min_u32_e32 v2, 32, v2
	v_subrev_nc_u32_e32 v3, 29, v2
	v_sub_nc_u32_e32 v2, 30, v2
	s_delay_alu instid0(VALU_DEP_2) | instskip(NEXT) | instid1(VALU_DEP_1)
	v_lshlrev_b64_e32 v[98:99], v3, v[0:1]
	v_and_b32_e32 v3, 3, v98
; %bb.1975:                             ;   in Loop: Header=BB6_130 Depth=2
	s_or_b32 exec_lo, exec_lo, s27
	v_lshlrev_b32_e32 v0, 24, v0
	s_delay_alu instid0(VALU_DEP_1) | instskip(NEXT) | instid1(VALU_DEP_1)
	v_and_b32_e32 v0, 0x80000000, v0
	v_lshl_add_u32 v0, v2, 23, v0
	s_delay_alu instid0(VALU_DEP_1) | instskip(NEXT) | instid1(VALU_DEP_1)
	v_lshl_or_b32 v0, v3, 21, v0
                                        ; implicit-def: $vgpr3
	v_add_nc_u32_e32 v2, 0x38000000, v0
                                        ; implicit-def: $vgpr0
.LBB6_1976:                             ;   in Loop: Header=BB6_130 Depth=2
	s_and_not1_saveexec_b32 s27, s10
; %bb.1977:                             ;   in Loop: Header=BB6_130 Depth=2
	v_bfe_i32 v0, v0, 0, 8
	v_cmp_eq_u32_e32 vcc_lo, 0, v3
	s_delay_alu instid0(VALU_DEP_2) | instskip(NEXT) | instid1(VALU_DEP_1)
	v_cmp_lt_i16_e64 s10, -1, v0
	v_cndmask_b32_e64 v0, 0xff800000, v109, s10
	s_delay_alu instid0(VALU_DEP_1)
	v_cndmask_b32_e32 v2, 0x7f800001, v0, vcc_lo
; %bb.1978:                             ;   in Loop: Header=BB6_130 Depth=2
	s_or_b32 exec_lo, exec_lo, s27
.LBB6_1979:                             ;   in Loop: Header=BB6_130 Depth=2
	s_delay_alu instid0(SALU_CYCLE_1)
	s_or_b32 exec_lo, exec_lo, s26
.LBB6_1980:                             ;   in Loop: Header=BB6_130 Depth=2
	s_delay_alu instid0(SALU_CYCLE_1) | instskip(SKIP_2) | instid1(VALU_DEP_1)
	s_or_b32 exec_lo, exec_lo, s25
	v_lshrrev_b32_e32 v0, 16, v21
	s_mov_b32 s25, exec_lo
	v_and_b32_e32 v3, 0xff, v0
	s_delay_alu instid0(VALU_DEP_1)
	v_cmpx_ne_u16_e32 0, v3
	s_cbranch_execz .LBB6_1990
; %bb.1981:                             ;   in Loop: Header=BB6_130 Depth=2
	v_bfrev_b32_e32 v1, 1
	s_mov_b32 s26, exec_lo
	v_cmpx_ne_u16_e32 0x80, v3
	s_cbranch_execz .LBB6_1989
; %bb.1982:                             ;   in Loop: Header=BB6_130 Depth=2
	v_and_b32_e32 v1, 0x7c0000, v21
	v_bfe_u32 v3, v21, 16, 2
	s_delay_alu instid0(VALU_DEP_2) | instskip(SKIP_1) | instid1(SALU_CYCLE_1)
	v_cmp_ne_u32_e32 vcc_lo, 0x7c0000, v1
                                        ; implicit-def: $vgpr1
	s_and_saveexec_b32 s10, vcc_lo
	s_xor_b32 s10, exec_lo, s10
	s_cbranch_execz .LBB6_1986
; %bb.1983:                             ;   in Loop: Header=BB6_130 Depth=2
	v_bfe_u32 v1, v21, 18, 5
	s_mov_b32 s27, exec_lo
	s_delay_alu instid0(VALU_DEP_1)
	v_cmpx_eq_u32_e32 0, v1
; %bb.1984:                             ;   in Loop: Header=BB6_130 Depth=2
	v_clz_i32_u32_e32 v1, v3
	s_delay_alu instid0(VALU_DEP_1) | instskip(NEXT) | instid1(VALU_DEP_1)
	v_min_u32_e32 v1, 32, v1
	v_subrev_nc_u32_e32 v3, 29, v1
	s_delay_alu instid0(VALU_DEP_1) | instskip(NEXT) | instid1(VALU_DEP_1)
	v_lshlrev_b64_e32 v[98:99], v3, v[0:1]
	v_dual_sub_nc_u32 v1, 30, v1 :: v_dual_bitop2_b32 v3, 3, v98 bitop3:0x40
; %bb.1985:                             ;   in Loop: Header=BB6_130 Depth=2
	s_or_b32 exec_lo, exec_lo, s27
	v_lshlrev_b32_e32 v0, 24, v0
	s_delay_alu instid0(VALU_DEP_1) | instskip(NEXT) | instid1(VALU_DEP_1)
	v_and_b32_e32 v0, 0x80000000, v0
	v_lshl_add_u32 v0, v1, 23, v0
	s_delay_alu instid0(VALU_DEP_1) | instskip(NEXT) | instid1(VALU_DEP_1)
	v_lshl_or_b32 v0, v3, 21, v0
                                        ; implicit-def: $vgpr3
	v_add_nc_u32_e32 v1, 0x38000000, v0
                                        ; implicit-def: $vgpr0
.LBB6_1986:                             ;   in Loop: Header=BB6_130 Depth=2
	s_and_not1_saveexec_b32 s27, s10
; %bb.1987:                             ;   in Loop: Header=BB6_130 Depth=2
	v_bfe_i32 v0, v0, 0, 8
	v_cmp_eq_u32_e32 vcc_lo, 0, v3
	s_delay_alu instid0(VALU_DEP_2) | instskip(NEXT) | instid1(VALU_DEP_1)
	v_cmp_lt_i16_e64 s10, -1, v0
	v_cndmask_b32_e64 v0, 0xff800000, v109, s10
	s_delay_alu instid0(VALU_DEP_1)
	v_cndmask_b32_e32 v1, 0x7f800001, v0, vcc_lo
; %bb.1988:                             ;   in Loop: Header=BB6_130 Depth=2
	s_or_b32 exec_lo, exec_lo, s27
.LBB6_1989:                             ;   in Loop: Header=BB6_130 Depth=2
	s_delay_alu instid0(SALU_CYCLE_1)
	s_or_b32 exec_lo, exec_lo, s26
.LBB6_1990:                             ;   in Loop: Header=BB6_130 Depth=2
	s_delay_alu instid0(SALU_CYCLE_1) | instskip(NEXT) | instid1(VALU_DEP_1)
	s_or_b32 exec_lo, exec_lo, s25
	v_dual_mul_f32 v0, v2, v1 :: v_dual_mov_b32 v3, v5
                                        ; implicit-def: $vgpr97
	s_mov_b32 s10, exec_lo
	s_delay_alu instid0(VALU_DEP_1) | instskip(SKIP_2) | instid1(VALU_DEP_3)
	v_and_b32_e32 v2, 0x7f800000, v0
	v_and_b32_e32 v4, 0x7fffff, v0
	v_lshrrev_b32_e32 v1, 24, v0
	v_cmpx_ne_u64_e32 0x7f800000, v[2:3]
	s_xor_b32 s25, exec_lo, s10
	s_cbranch_execz .LBB6_2004
; %bb.1991:                             ;   in Loop: Header=BB6_130 Depth=2
	v_and_b32_e32 v2, 0x7fffffff, v0
	v_mov_b32_e32 v3, v5
	v_and_b32_e32 v98, 0x80, v1
                                        ; implicit-def: $vgpr97
	s_mov_b32 s10, exec_lo
	s_delay_alu instid0(VALU_DEP_2)
	v_cmpx_gt_u64_e32 0x47600001, v[2:3]
	s_xor_b32 s26, exec_lo, s10
	s_cbranch_execz .LBB6_2001
; %bb.1992:                             ;   in Loop: Header=BB6_130 Depth=2
	v_mov_b32_e32 v97, 0
	s_mov_b32 s27, exec_lo
	v_cmpx_ne_u32_e32 0, v0
	s_cbranch_execz .LBB6_2000
; %bb.1993:                             ;   in Loop: Header=BB6_130 Depth=2
	v_bfe_u32 v97, v0, 23, 8
	v_or_b32_e32 v1, 0x800000, v4
	s_delay_alu instid0(VALU_DEP_2) | instskip(SKIP_2) | instid1(VALU_DEP_2)
	v_cmp_gt_u32_e64 s10, 0x72, v97
	v_sub_nc_u32_e32 v0, 0x71, v97
	v_cmp_eq_u32_e32 vcc_lo, 0, v97
	v_cndmask_b32_e64 v0, 0, v0, s10
	s_delay_alu instid0(VALU_DEP_1) | instskip(SKIP_1) | instid1(VALU_DEP_2)
	v_cndmask_b32_e64 v99, v0, 0x70, vcc_lo
	v_cndmask_b32_e32 v0, v1, v4, vcc_lo
	v_dual_mov_b32 v1, v5 :: v_dual_add_nc_u32 v2, 21, v99
	v_add_nc_u32_e32 v4, 20, v99
	s_delay_alu instid0(VALU_DEP_2) | instskip(NEXT) | instid1(VALU_DEP_2)
	v_lshlrev_b64_e64 v[2:3], v2, -1
	v_lshlrev_b64_e64 v[100:101], v4, 1
	s_delay_alu instid0(VALU_DEP_2) | instskip(SKIP_1) | instid1(VALU_DEP_4)
	v_bfi_b32 v2, v2, 0, v0
	v_lshrrev_b64 v[0:1], v99, v[0:1]
	v_bfi_b32 v3, v3, 0, 0
	s_delay_alu instid0(VALU_DEP_1) | instskip(NEXT) | instid1(VALU_DEP_3)
	v_cmp_eq_u64_e64 s10, v[2:3], v[100:101]
	v_mov_b64_e32 v[2:3], v[0:1]
	s_and_saveexec_b32 s28, s10
; %bb.1994:                             ;   in Loop: Header=BB6_130 Depth=2
	v_bfe_u32 v2, v0, 21, 1
	v_mov_b32_e32 v3, v5
	s_delay_alu instid0(VALU_DEP_1) | instskip(NEXT) | instid1(VALU_DEP_1)
	v_add_nc_u64_e32 v[2:3], v[0:1], v[2:3]
	v_add_nc_u64_e32 v[2:3], -1, v[2:3]
; %bb.1995:                             ;   in Loop: Header=BB6_130 Depth=2
	s_or_b32 exec_lo, exec_lo, s28
	v_add_nc_u32_e32 v1, 0xffffff81, v97
	v_lshrrev_b32_e32 v3, 23, v0
	s_mov_b32 s10, exec_lo
	s_delay_alu instid0(VALU_DEP_2) | instskip(NEXT) | instid1(VALU_DEP_1)
	v_cndmask_b32_e64 v1, v1, 0xffffff82, vcc_lo
	v_add3_u32 v97, v99, v1, v3
	v_and_b32_e32 v1, 0x1fffff, v2
                                        ; implicit-def: $vgpr2
	s_delay_alu instid0(VALU_DEP_1) | instskip(NEXT) | instid1(VALU_DEP_1)
	v_dual_add_nc_u32 v3, 14, v97 :: v_dual_add_nc_u32 v4, v1, v0
                                        ; implicit-def: $vgpr0_vgpr1
	v_cmpx_ne_u32_e32 0, v3
	s_xor_b32 s10, exec_lo, s10
; %bb.1996:                             ;   in Loop: Header=BB6_130 Depth=2
	s_delay_alu instid0(VALU_DEP_2) | instskip(SKIP_1) | instid1(VALU_DEP_1)
	v_cmp_lt_u64_e32 vcc_lo, 0xffffff, v[4:5]
	v_add_nc_u32_e32 v0, 15, v97
	v_cndmask_b32_e32 v2, v3, v0, vcc_lo
	v_cndmask_b32_e64 v0, 0, 1, vcc_lo
	s_delay_alu instid0(VALU_DEP_1)
	v_lshrrev_b64 v[0:1], v0, v[4:5]
; %bb.1997:                             ;   in Loop: Header=BB6_130 Depth=2
	s_and_not1_saveexec_b32 s10, s10
; %bb.1998:                             ;   in Loop: Header=BB6_130 Depth=2
	v_mov_b64_e32 v[0:1], v[4:5]
	v_bfe_u32 v2, v4, 23, 1
; %bb.1999:                             ;   in Loop: Header=BB6_130 Depth=2
	s_or_b32 exec_lo, exec_lo, s10
	s_delay_alu instid0(VALU_DEP_2) | instskip(NEXT) | instid1(VALU_DEP_2)
	v_lshrrev_b64 v[0:1], 21, v[0:1]
	v_cmp_gt_i32_e32 vcc_lo, 32, v2
	v_min_i32_e32 v3, 31, v2
	v_cmp_eq_u32_e64 s10, 0, v2
	s_delay_alu instid0(VALU_DEP_2) | instskip(SKIP_1) | instid1(VALU_DEP_2)
	v_dual_cndmask_b32 v1, 0, v1, vcc_lo :: v_dual_lshlrev_b32 v3, 2, v3
	v_cndmask_b32_e32 v0, 3, v0, vcc_lo
	v_and_b32_e32 v3, 0xfc, v3
	s_delay_alu instid0(VALU_DEP_2) | instskip(NEXT) | instid1(VALU_DEP_2)
	v_cmp_eq_u64_e32 vcc_lo, 0, v[0:1]
	v_and_or_b32 v0, v0, 3, v3
	s_and_b32 s10, s10, vcc_lo
	s_delay_alu instid0(VALU_DEP_1) | instid1(SALU_CYCLE_1)
	v_cndmask_b32_e64 v0, v0, 0, s10
	s_delay_alu instid0(VALU_DEP_1)
	v_or_b32_e32 v97, v0, v98
.LBB6_2000:                             ;   in Loop: Header=BB6_130 Depth=2
	s_or_b32 exec_lo, exec_lo, s27
                                        ; implicit-def: $vgpr98
.LBB6_2001:                             ;   in Loop: Header=BB6_130 Depth=2
	s_and_not1_saveexec_b32 s10, s26
; %bb.2002:                             ;   in Loop: Header=BB6_130 Depth=2
	v_or_b32_e32 v97, 0x7b, v98
; %bb.2003:                             ;   in Loop: Header=BB6_130 Depth=2
	s_or_b32 exec_lo, exec_lo, s10
                                        ; implicit-def: $vgpr0
                                        ; implicit-def: $vgpr1
.LBB6_2004:                             ;   in Loop: Header=BB6_130 Depth=2
	s_and_not1_saveexec_b32 s10, s25
	s_cbranch_execz .LBB6_2010
; %bb.2005:                             ;   in Loop: Header=BB6_130 Depth=2
	s_mov_b32 s25, exec_lo
                                        ; implicit-def: $vgpr97
	v_cmpx_ne_u64_e32 0, v[4:5]
	s_xor_b32 s25, exec_lo, s25
; %bb.2006:                             ;   in Loop: Header=BB6_130 Depth=2
	v_or_b32_e32 v97, 0x7f, v1
                                        ; implicit-def: $vgpr0
; %bb.2007:                             ;   in Loop: Header=BB6_130 Depth=2
	s_and_not1_saveexec_b32 s25, s25
; %bb.2008:                             ;   in Loop: Header=BB6_130 Depth=2
	v_cmp_lt_i32_e32 vcc_lo, -1, v0
	v_cndmask_b32_e32 v97, 0xfc, v108, vcc_lo
; %bb.2009:                             ;   in Loop: Header=BB6_130 Depth=2
	s_or_b32 exec_lo, exec_lo, s25
.LBB6_2010:                             ;   in Loop: Header=BB6_130 Depth=2
	s_delay_alu instid0(SALU_CYCLE_1)
	s_or_b32 exec_lo, exec_lo, s10
	v_dual_mov_b32 v1, 0 :: v_dual_mov_b32 v2, 0
	s_mov_b32 s25, exec_lo
	v_cmpx_lt_u64_e64 s[12:13], v[24:25]
	s_cbranch_execz .LBB6_2020
; %bb.2011:                             ;   in Loop: Header=BB6_130 Depth=2
	v_lshrrev_b32_e32 v0, 24, v25
	v_bfrev_b32_e32 v2, 1
	s_mov_b32 s26, exec_lo
	s_delay_alu instid0(VALU_DEP_2)
	v_cmpx_ne_u32_e32 0x80, v0
	s_cbranch_execz .LBB6_2019
; %bb.2012:                             ;   in Loop: Header=BB6_130 Depth=2
	v_and_b32_e32 v2, 0x7c000000, v25
	v_bfe_u32 v3, v25, 24, 2
	s_delay_alu instid0(VALU_DEP_2) | instskip(SKIP_1) | instid1(SALU_CYCLE_1)
	v_cmp_ne_u32_e32 vcc_lo, 0x7c000000, v2
                                        ; implicit-def: $vgpr2
	s_and_saveexec_b32 s10, vcc_lo
	s_xor_b32 s10, exec_lo, s10
	s_cbranch_execz .LBB6_2016
; %bb.2013:                             ;   in Loop: Header=BB6_130 Depth=2
	v_bfe_u32 v2, v25, 26, 5
	s_mov_b32 s27, exec_lo
	s_delay_alu instid0(VALU_DEP_1)
	v_cmpx_eq_u32_e32 0, v2
; %bb.2014:                             ;   in Loop: Header=BB6_130 Depth=2
	v_clz_i32_u32_e32 v2, v3
	s_delay_alu instid0(VALU_DEP_1) | instskip(NEXT) | instid1(VALU_DEP_1)
	v_min_u32_e32 v2, 32, v2
	v_subrev_nc_u32_e32 v3, 29, v2
	v_sub_nc_u32_e32 v2, 30, v2
	s_delay_alu instid0(VALU_DEP_2) | instskip(NEXT) | instid1(VALU_DEP_1)
	v_lshlrev_b64_e32 v[98:99], v3, v[0:1]
	v_and_b32_e32 v3, 3, v98
; %bb.2015:                             ;   in Loop: Header=BB6_130 Depth=2
	s_or_b32 exec_lo, exec_lo, s27
	v_and_b32_e32 v0, 0x80000000, v25
                                        ; implicit-def: $vgpr24_vgpr25
	s_delay_alu instid0(VALU_DEP_1) | instskip(NEXT) | instid1(VALU_DEP_1)
	v_lshl_add_u32 v0, v2, 23, v0
	v_lshl_or_b32 v0, v3, 21, v0
                                        ; implicit-def: $vgpr3
	s_delay_alu instid0(VALU_DEP_1)
	v_add_nc_u32_e32 v2, 0x38000000, v0
.LBB6_2016:                             ;   in Loop: Header=BB6_130 Depth=2
	s_and_not1_saveexec_b32 s27, s10
; %bb.2017:                             ;   in Loop: Header=BB6_130 Depth=2
	v_cmp_lt_i64_e64 s10, -1, v[24:25]
	v_cmp_eq_u32_e32 vcc_lo, 0, v3
	s_delay_alu instid0(VALU_DEP_2) | instskip(NEXT) | instid1(VALU_DEP_1)
	v_cndmask_b32_e64 v0, 0xff800000, v109, s10
	v_cndmask_b32_e32 v2, 0x7f800001, v0, vcc_lo
; %bb.2018:                             ;   in Loop: Header=BB6_130 Depth=2
	s_or_b32 exec_lo, exec_lo, s27
.LBB6_2019:                             ;   in Loop: Header=BB6_130 Depth=2
	s_delay_alu instid0(SALU_CYCLE_1)
	s_or_b32 exec_lo, exec_lo, s26
.LBB6_2020:                             ;   in Loop: Header=BB6_130 Depth=2
	s_delay_alu instid0(SALU_CYCLE_1) | instskip(NEXT) | instid1(SALU_CYCLE_1)
	s_or_b32 exec_lo, exec_lo, s25
	s_mov_b32 s10, exec_lo
	v_cmpx_lt_u64_e64 s[12:13], v[20:21]
	s_cbranch_execz .LBB6_2030
; %bb.2021:                             ;   in Loop: Header=BB6_130 Depth=2
	v_lshrrev_b32_e32 v0, 24, v21
	v_bfrev_b32_e32 v1, 1
	s_mov_b32 s25, exec_lo
	s_delay_alu instid0(VALU_DEP_2)
	v_cmpx_ne_u32_e32 0x80, v0
	s_cbranch_execz .LBB6_2029
; %bb.2022:                             ;   in Loop: Header=BB6_130 Depth=2
	v_and_b32_e32 v1, 0x7c000000, v21
	v_bfe_u32 v3, v21, 24, 2
	s_delay_alu instid0(VALU_DEP_2) | instskip(SKIP_1) | instid1(SALU_CYCLE_1)
	v_cmp_ne_u32_e32 vcc_lo, 0x7c000000, v1
                                        ; implicit-def: $vgpr1
	s_and_saveexec_b32 s26, vcc_lo
	s_xor_b32 s26, exec_lo, s26
	s_cbranch_execz .LBB6_2026
; %bb.2023:                             ;   in Loop: Header=BB6_130 Depth=2
	v_bfe_u32 v1, v21, 26, 5
	s_mov_b32 s27, exec_lo
	s_delay_alu instid0(VALU_DEP_1)
	v_cmpx_eq_u32_e32 0, v1
; %bb.2024:                             ;   in Loop: Header=BB6_130 Depth=2
	v_clz_i32_u32_e32 v1, v3
	s_delay_alu instid0(VALU_DEP_1) | instskip(NEXT) | instid1(VALU_DEP_1)
	v_min_u32_e32 v3, 32, v1
	v_subrev_nc_u32_e32 v1, 29, v3
	s_delay_alu instid0(VALU_DEP_1) | instskip(NEXT) | instid1(VALU_DEP_1)
	v_lshlrev_b64_e32 v[0:1], v1, v[0:1]
	v_dual_sub_nc_u32 v1, 30, v3 :: v_dual_bitop2_b32 v3, 3, v0 bitop3:0x40
; %bb.2025:                             ;   in Loop: Header=BB6_130 Depth=2
	s_or_b32 exec_lo, exec_lo, s27
	v_and_b32_e32 v0, 0x80000000, v21
                                        ; implicit-def: $vgpr20_vgpr21
	s_delay_alu instid0(VALU_DEP_1) | instskip(NEXT) | instid1(VALU_DEP_1)
	v_lshl_add_u32 v0, v1, 23, v0
	v_lshl_or_b32 v0, v3, 21, v0
                                        ; implicit-def: $vgpr3
	s_delay_alu instid0(VALU_DEP_1)
	v_add_nc_u32_e32 v1, 0x38000000, v0
.LBB6_2026:                             ;   in Loop: Header=BB6_130 Depth=2
	s_and_not1_saveexec_b32 s26, s26
; %bb.2027:                             ;   in Loop: Header=BB6_130 Depth=2
	v_cmp_lt_i64_e32 vcc_lo, -1, v[20:21]
	v_cndmask_b32_e32 v0, 0xff800000, v109, vcc_lo
	v_cmp_eq_u32_e32 vcc_lo, 0, v3
	s_delay_alu instid0(VALU_DEP_2)
	v_cndmask_b32_e32 v1, 0x7f800001, v0, vcc_lo
; %bb.2028:                             ;   in Loop: Header=BB6_130 Depth=2
	s_or_b32 exec_lo, exec_lo, s26
.LBB6_2029:                             ;   in Loop: Header=BB6_130 Depth=2
	s_delay_alu instid0(SALU_CYCLE_1)
	s_or_b32 exec_lo, exec_lo, s25
.LBB6_2030:                             ;   in Loop: Header=BB6_130 Depth=2
	s_delay_alu instid0(SALU_CYCLE_1) | instskip(NEXT) | instid1(VALU_DEP_1)
	s_or_b32 exec_lo, exec_lo, s10
	v_dual_mul_f32 v0, v2, v1 :: v_dual_mov_b32 v3, v5
                                        ; implicit-def: $vgpr20
	s_mov_b32 s10, exec_lo
	s_delay_alu instid0(VALU_DEP_1) | instskip(SKIP_2) | instid1(VALU_DEP_3)
	v_and_b32_e32 v2, 0x7f800000, v0
	v_and_b32_e32 v4, 0x7fffff, v0
	v_lshrrev_b32_e32 v1, 24, v0
	v_cmpx_ne_u64_e32 0x7f800000, v[2:3]
	s_xor_b32 s25, exec_lo, s10
	s_cbranch_execz .LBB6_2044
; %bb.2031:                             ;   in Loop: Header=BB6_130 Depth=2
	v_and_b32_e32 v2, 0x7fffffff, v0
	v_mov_b32_e32 v3, v5
	v_and_b32_e32 v21, 0x80, v1
                                        ; implicit-def: $vgpr20
	s_mov_b32 s10, exec_lo
	s_delay_alu instid0(VALU_DEP_2)
	v_cmpx_gt_u64_e32 0x47600001, v[2:3]
	s_xor_b32 s26, exec_lo, s10
	s_cbranch_execz .LBB6_2041
; %bb.2032:                             ;   in Loop: Header=BB6_130 Depth=2
	v_mov_b32_e32 v20, 0
	s_mov_b32 s27, exec_lo
	v_cmpx_ne_u32_e32 0, v0
	s_cbranch_execz .LBB6_2040
; %bb.2033:                             ;   in Loop: Header=BB6_130 Depth=2
	v_bfe_u32 v20, v0, 23, 8
	v_or_b32_e32 v1, 0x800000, v4
	s_delay_alu instid0(VALU_DEP_2) | instskip(SKIP_2) | instid1(VALU_DEP_2)
	v_cmp_gt_u32_e64 s10, 0x72, v20
	v_sub_nc_u32_e32 v0, 0x71, v20
	v_cmp_eq_u32_e32 vcc_lo, 0, v20
	v_cndmask_b32_e64 v0, 0, v0, s10
	s_delay_alu instid0(VALU_DEP_1) | instskip(SKIP_1) | instid1(VALU_DEP_2)
	v_cndmask_b32_e64 v24, v0, 0x70, vcc_lo
	v_cndmask_b32_e32 v0, v1, v4, vcc_lo
	v_dual_mov_b32 v1, v5 :: v_dual_add_nc_u32 v2, 21, v24
	v_add_nc_u32_e32 v4, 20, v24
	s_delay_alu instid0(VALU_DEP_2) | instskip(NEXT) | instid1(VALU_DEP_2)
	v_lshlrev_b64_e64 v[2:3], v2, -1
	v_lshlrev_b64_e64 v[98:99], v4, 1
	s_delay_alu instid0(VALU_DEP_2) | instskip(SKIP_1) | instid1(VALU_DEP_4)
	v_bfi_b32 v2, v2, 0, v0
	v_lshrrev_b64 v[0:1], v24, v[0:1]
	v_bfi_b32 v3, v3, 0, 0
	s_delay_alu instid0(VALU_DEP_1) | instskip(NEXT) | instid1(VALU_DEP_3)
	v_cmp_eq_u64_e64 s10, v[2:3], v[98:99]
	v_mov_b64_e32 v[2:3], v[0:1]
	s_and_saveexec_b32 s28, s10
; %bb.2034:                             ;   in Loop: Header=BB6_130 Depth=2
	v_bfe_u32 v2, v0, 21, 1
	v_mov_b32_e32 v3, v5
	s_delay_alu instid0(VALU_DEP_1) | instskip(NEXT) | instid1(VALU_DEP_1)
	v_add_nc_u64_e32 v[2:3], v[0:1], v[2:3]
	v_add_nc_u64_e32 v[2:3], -1, v[2:3]
; %bb.2035:                             ;   in Loop: Header=BB6_130 Depth=2
	s_or_b32 exec_lo, exec_lo, s28
	v_add_nc_u32_e32 v1, 0xffffff81, v20
	v_lshrrev_b32_e32 v3, 23, v0
	s_mov_b32 s10, exec_lo
	s_delay_alu instid0(VALU_DEP_2) | instskip(NEXT) | instid1(VALU_DEP_1)
	v_cndmask_b32_e64 v1, v1, 0xffffff82, vcc_lo
	v_add3_u32 v20, v24, v1, v3
	v_and_b32_e32 v1, 0x1fffff, v2
                                        ; implicit-def: $vgpr2
	s_delay_alu instid0(VALU_DEP_2) | instskip(NEXT) | instid1(VALU_DEP_2)
	v_add_nc_u32_e32 v3, 14, v20
	v_add_nc_u32_e32 v4, v1, v0
                                        ; implicit-def: $vgpr0_vgpr1
	s_delay_alu instid0(VALU_DEP_2)
	v_cmpx_ne_u32_e32 0, v3
	s_xor_b32 s10, exec_lo, s10
; %bb.2036:                             ;   in Loop: Header=BB6_130 Depth=2
	s_delay_alu instid0(VALU_DEP_2) | instskip(SKIP_1) | instid1(VALU_DEP_1)
	v_cmp_lt_u64_e32 vcc_lo, 0xffffff, v[4:5]
	v_add_nc_u32_e32 v0, 15, v20
	v_cndmask_b32_e32 v2, v3, v0, vcc_lo
	v_cndmask_b32_e64 v0, 0, 1, vcc_lo
	s_delay_alu instid0(VALU_DEP_1)
	v_lshrrev_b64 v[0:1], v0, v[4:5]
; %bb.2037:                             ;   in Loop: Header=BB6_130 Depth=2
	s_and_not1_saveexec_b32 s10, s10
; %bb.2038:                             ;   in Loop: Header=BB6_130 Depth=2
	v_mov_b64_e32 v[0:1], v[4:5]
	v_bfe_u32 v2, v4, 23, 1
; %bb.2039:                             ;   in Loop: Header=BB6_130 Depth=2
	s_or_b32 exec_lo, exec_lo, s10
	s_delay_alu instid0(VALU_DEP_2) | instskip(NEXT) | instid1(VALU_DEP_2)
	v_lshrrev_b64 v[0:1], 21, v[0:1]
	v_cmp_gt_i32_e32 vcc_lo, 32, v2
	v_min_i32_e32 v3, 31, v2
	v_cmp_eq_u32_e64 s10, 0, v2
	s_delay_alu instid0(VALU_DEP_2) | instskip(SKIP_1) | instid1(VALU_DEP_2)
	v_dual_cndmask_b32 v1, 0, v1, vcc_lo :: v_dual_lshlrev_b32 v3, 2, v3
	v_cndmask_b32_e32 v0, 3, v0, vcc_lo
	v_and_b32_e32 v3, 0xfc, v3
	s_delay_alu instid0(VALU_DEP_2) | instskip(NEXT) | instid1(VALU_DEP_2)
	v_cmp_eq_u64_e32 vcc_lo, 0, v[0:1]
	v_and_or_b32 v0, v0, 3, v3
	s_and_b32 s10, s10, vcc_lo
	s_delay_alu instid0(VALU_DEP_1) | instid1(SALU_CYCLE_1)
	v_cndmask_b32_e64 v0, v0, 0, s10
	s_delay_alu instid0(VALU_DEP_1)
	v_or_b32_e32 v20, v0, v21
.LBB6_2040:                             ;   in Loop: Header=BB6_130 Depth=2
	s_or_b32 exec_lo, exec_lo, s27
                                        ; implicit-def: $vgpr21
.LBB6_2041:                             ;   in Loop: Header=BB6_130 Depth=2
	s_and_not1_saveexec_b32 s10, s26
; %bb.2042:                             ;   in Loop: Header=BB6_130 Depth=2
	v_or_b32_e32 v20, 0x7b, v21
; %bb.2043:                             ;   in Loop: Header=BB6_130 Depth=2
	s_or_b32 exec_lo, exec_lo, s10
                                        ; implicit-def: $vgpr0
                                        ; implicit-def: $vgpr1
.LBB6_2044:                             ;   in Loop: Header=BB6_130 Depth=2
	s_and_not1_saveexec_b32 s10, s25
	s_cbranch_execz .LBB6_2050
; %bb.2045:                             ;   in Loop: Header=BB6_130 Depth=2
	s_mov_b32 s25, exec_lo
                                        ; implicit-def: $vgpr20
	v_cmpx_ne_u64_e32 0, v[4:5]
	s_xor_b32 s25, exec_lo, s25
; %bb.2046:                             ;   in Loop: Header=BB6_130 Depth=2
	v_or_b32_e32 v20, 0x7f, v1
                                        ; implicit-def: $vgpr0
; %bb.2047:                             ;   in Loop: Header=BB6_130 Depth=2
	s_and_not1_saveexec_b32 s25, s25
; %bb.2048:                             ;   in Loop: Header=BB6_130 Depth=2
	v_cmp_lt_i32_e32 vcc_lo, -1, v0
	v_cndmask_b32_e32 v20, 0xfc, v108, vcc_lo
; %bb.2049:                             ;   in Loop: Header=BB6_130 Depth=2
	s_or_b32 exec_lo, exec_lo, s25
.LBB6_2050:                             ;   in Loop: Header=BB6_130 Depth=2
	s_delay_alu instid0(SALU_CYCLE_1) | instskip(SKIP_2) | instid1(VALU_DEP_2)
	s_or_b32 exec_lo, exec_lo, s10
	v_and_b32_e32 v1, 0xff, v14
	v_mov_b32_e32 v0, 0
	v_cmp_ne_u16_e32 vcc_lo, 0, v1
	v_mov_b32_e32 v1, 0
	s_and_saveexec_b32 s10, vcc_lo
	s_cbranch_execz .LBB6_2060
; %bb.2051:                             ;   in Loop: Header=BB6_130 Depth=2
	v_bfe_i32 v3, v14, 0, 8
	v_bfrev_b32_e32 v1, 1
	s_mov_b32 s25, exec_lo
	s_delay_alu instid0(VALU_DEP_2)
	v_cmpx_ne_u16_e32 0xff80, v3
	s_cbranch_execz .LBB6_2059
; %bb.2052:                             ;   in Loop: Header=BB6_130 Depth=2
	v_and_b32_e32 v1, 0x7c, v14
	v_and_b32_e32 v2, 3, v14
	s_delay_alu instid0(VALU_DEP_2) | instskip(SKIP_1) | instid1(SALU_CYCLE_1)
	v_cmp_ne_u32_e32 vcc_lo, 0x7c, v1
                                        ; implicit-def: $vgpr1
	s_and_saveexec_b32 s26, vcc_lo
	s_xor_b32 s26, exec_lo, s26
	s_cbranch_execz .LBB6_2056
; %bb.2053:                             ;   in Loop: Header=BB6_130 Depth=2
	v_bfe_u32 v1, v14, 2, 5
	s_mov_b32 s27, exec_lo
	s_delay_alu instid0(VALU_DEP_1)
	v_cmpx_eq_u32_e32 0, v1
; %bb.2054:                             ;   in Loop: Header=BB6_130 Depth=2
	v_clz_i32_u32_e32 v1, v2
	s_delay_alu instid0(VALU_DEP_1) | instskip(NEXT) | instid1(VALU_DEP_1)
	v_min_u32_e32 v1, 32, v1
	v_subrev_nc_u32_e32 v2, 29, v1
	s_delay_alu instid0(VALU_DEP_1) | instskip(NEXT) | instid1(VALU_DEP_1)
	v_lshlrev_b64_e32 v[2:3], v2, v[14:15]
	v_dual_sub_nc_u32 v1, 30, v1 :: v_dual_bitop2_b32 v2, 3, v2 bitop3:0x40
; %bb.2055:                             ;   in Loop: Header=BB6_130 Depth=2
	s_or_b32 exec_lo, exec_lo, s27
	v_lshlrev_b32_e32 v3, 24, v14
	s_delay_alu instid0(VALU_DEP_1) | instskip(NEXT) | instid1(VALU_DEP_1)
	v_and_b32_e32 v3, 0x80000000, v3
	v_lshl_add_u32 v1, v1, 23, v3
                                        ; implicit-def: $vgpr3
	s_delay_alu instid0(VALU_DEP_1) | instskip(NEXT) | instid1(VALU_DEP_1)
	v_lshl_or_b32 v1, v2, 21, v1
                                        ; implicit-def: $vgpr2
	v_add_nc_u32_e32 v1, 0x38000000, v1
.LBB6_2056:                             ;   in Loop: Header=BB6_130 Depth=2
	s_and_not1_saveexec_b32 s26, s26
; %bb.2057:                             ;   in Loop: Header=BB6_130 Depth=2
	v_cmp_lt_i16_e32 vcc_lo, -1, v3
	v_cndmask_b32_e32 v1, 0xff800000, v109, vcc_lo
	v_cmp_eq_u32_e32 vcc_lo, 0, v2
	s_delay_alu instid0(VALU_DEP_2)
	v_cndmask_b32_e32 v1, 0x7f800001, v1, vcc_lo
; %bb.2058:                             ;   in Loop: Header=BB6_130 Depth=2
	s_or_b32 exec_lo, exec_lo, s26
.LBB6_2059:                             ;   in Loop: Header=BB6_130 Depth=2
	s_delay_alu instid0(SALU_CYCLE_1)
	s_or_b32 exec_lo, exec_lo, s25
.LBB6_2060:                             ;   in Loop: Header=BB6_130 Depth=2
	s_delay_alu instid0(SALU_CYCLE_1) | instskip(SKIP_3) | instid1(VALU_DEP_1)
	s_or_b32 exec_lo, exec_lo, s10
	s_wait_loadcnt 0x0
	v_and_b32_e32 v2, 0xff, v10
	s_mov_b32 s10, exec_lo
	v_cmpx_ne_u16_e32 0, v2
	s_cbranch_execz .LBB6_2070
; %bb.2061:                             ;   in Loop: Header=BB6_130 Depth=2
	v_bfe_i32 v3, v10, 0, 8
	v_bfrev_b32_e32 v0, 1
	s_mov_b32 s25, exec_lo
	s_delay_alu instid0(VALU_DEP_2)
	v_cmpx_ne_u16_e32 0xff80, v3
	s_cbranch_execz .LBB6_2069
; %bb.2062:                             ;   in Loop: Header=BB6_130 Depth=2
	v_and_b32_e32 v0, 0x7c, v10
	v_and_b32_e32 v2, 3, v10
	s_delay_alu instid0(VALU_DEP_2) | instskip(SKIP_1) | instid1(SALU_CYCLE_1)
	v_cmp_ne_u32_e32 vcc_lo, 0x7c, v0
                                        ; implicit-def: $vgpr0
	s_and_saveexec_b32 s26, vcc_lo
	s_xor_b32 s26, exec_lo, s26
	s_cbranch_execz .LBB6_2066
; %bb.2063:                             ;   in Loop: Header=BB6_130 Depth=2
	v_bfe_u32 v0, v10, 2, 5
	s_mov_b32 s27, exec_lo
	s_delay_alu instid0(VALU_DEP_1)
	v_cmpx_eq_u32_e32 0, v0
; %bb.2064:                             ;   in Loop: Header=BB6_130 Depth=2
	v_clz_i32_u32_e32 v0, v2
	s_delay_alu instid0(VALU_DEP_1) | instskip(NEXT) | instid1(VALU_DEP_1)
	v_min_u32_e32 v0, 32, v0
	v_subrev_nc_u32_e32 v2, 29, v0
	s_delay_alu instid0(VALU_DEP_1) | instskip(NEXT) | instid1(VALU_DEP_1)
	v_lshlrev_b64_e32 v[2:3], v2, v[10:11]
	v_dual_sub_nc_u32 v0, 30, v0 :: v_dual_bitop2_b32 v2, 3, v2 bitop3:0x40
; %bb.2065:                             ;   in Loop: Header=BB6_130 Depth=2
	s_or_b32 exec_lo, exec_lo, s27
	v_lshlrev_b32_e32 v3, 24, v10
	s_delay_alu instid0(VALU_DEP_1) | instskip(NEXT) | instid1(VALU_DEP_1)
	v_and_b32_e32 v3, 0x80000000, v3
	v_lshl_add_u32 v0, v0, 23, v3
                                        ; implicit-def: $vgpr3
	s_delay_alu instid0(VALU_DEP_1) | instskip(NEXT) | instid1(VALU_DEP_1)
	v_lshl_or_b32 v0, v2, 21, v0
                                        ; implicit-def: $vgpr2
	v_add_nc_u32_e32 v0, 0x38000000, v0
.LBB6_2066:                             ;   in Loop: Header=BB6_130 Depth=2
	s_and_not1_saveexec_b32 s26, s26
; %bb.2067:                             ;   in Loop: Header=BB6_130 Depth=2
	v_cmp_lt_i16_e32 vcc_lo, -1, v3
	v_cndmask_b32_e32 v0, 0xff800000, v109, vcc_lo
	v_cmp_eq_u32_e32 vcc_lo, 0, v2
	s_delay_alu instid0(VALU_DEP_2)
	v_cndmask_b32_e32 v0, 0x7f800001, v0, vcc_lo
; %bb.2068:                             ;   in Loop: Header=BB6_130 Depth=2
	s_or_b32 exec_lo, exec_lo, s26
.LBB6_2069:                             ;   in Loop: Header=BB6_130 Depth=2
	s_delay_alu instid0(SALU_CYCLE_1)
	s_or_b32 exec_lo, exec_lo, s25
.LBB6_2070:                             ;   in Loop: Header=BB6_130 Depth=2
	s_delay_alu instid0(SALU_CYCLE_1) | instskip(NEXT) | instid1(VALU_DEP_1)
	s_or_b32 exec_lo, exec_lo, s10
	v_mul_f32_e32 v0, v1, v0
	v_mov_b32_e32 v3, v5
                                        ; implicit-def: $vgpr21
	s_mov_b32 s10, exec_lo
	s_delay_alu instid0(VALU_DEP_2) | instskip(SKIP_2) | instid1(VALU_DEP_3)
	v_and_b32_e32 v2, 0x7f800000, v0
	v_and_b32_e32 v4, 0x7fffff, v0
	v_lshrrev_b32_e32 v1, 24, v0
	v_cmpx_ne_u64_e32 0x7f800000, v[2:3]
	s_xor_b32 s25, exec_lo, s10
	s_cbranch_execz .LBB6_2084
; %bb.2071:                             ;   in Loop: Header=BB6_130 Depth=2
	v_and_b32_e32 v2, 0x7fffffff, v0
	v_mov_b32_e32 v3, v5
	v_and_b32_e32 v24, 0x80, v1
                                        ; implicit-def: $vgpr21
	s_mov_b32 s10, exec_lo
	s_delay_alu instid0(VALU_DEP_2)
	v_cmpx_gt_u64_e32 0x47600001, v[2:3]
	s_xor_b32 s26, exec_lo, s10
	s_cbranch_execz .LBB6_2081
; %bb.2072:                             ;   in Loop: Header=BB6_130 Depth=2
	v_mov_b32_e32 v21, 0
	s_mov_b32 s27, exec_lo
	v_cmpx_ne_u32_e32 0, v0
	s_cbranch_execz .LBB6_2080
; %bb.2073:                             ;   in Loop: Header=BB6_130 Depth=2
	v_bfe_u32 v21, v0, 23, 8
	v_or_b32_e32 v1, 0x800000, v4
	s_delay_alu instid0(VALU_DEP_2) | instskip(SKIP_2) | instid1(VALU_DEP_2)
	v_cmp_gt_u32_e64 s10, 0x72, v21
	v_sub_nc_u32_e32 v0, 0x71, v21
	v_cmp_eq_u32_e32 vcc_lo, 0, v21
	v_cndmask_b32_e64 v0, 0, v0, s10
	s_delay_alu instid0(VALU_DEP_1) | instskip(SKIP_1) | instid1(VALU_DEP_2)
	v_cndmask_b32_e64 v25, v0, 0x70, vcc_lo
	v_cndmask_b32_e32 v0, v1, v4, vcc_lo
	v_dual_mov_b32 v1, v5 :: v_dual_add_nc_u32 v2, 21, v25
	v_add_nc_u32_e32 v4, 20, v25
	s_delay_alu instid0(VALU_DEP_2) | instskip(NEXT) | instid1(VALU_DEP_2)
	v_lshlrev_b64_e64 v[2:3], v2, -1
	v_lshlrev_b64_e64 v[98:99], v4, 1
	s_delay_alu instid0(VALU_DEP_2) | instskip(SKIP_1) | instid1(VALU_DEP_4)
	v_bfi_b32 v2, v2, 0, v0
	v_lshrrev_b64 v[0:1], v25, v[0:1]
	v_bfi_b32 v3, v3, 0, 0
	s_delay_alu instid0(VALU_DEP_1) | instskip(NEXT) | instid1(VALU_DEP_3)
	v_cmp_eq_u64_e64 s10, v[2:3], v[98:99]
	v_mov_b64_e32 v[2:3], v[0:1]
	s_and_saveexec_b32 s28, s10
; %bb.2074:                             ;   in Loop: Header=BB6_130 Depth=2
	v_bfe_u32 v2, v0, 21, 1
	v_mov_b32_e32 v3, v5
	s_delay_alu instid0(VALU_DEP_1) | instskip(NEXT) | instid1(VALU_DEP_1)
	v_add_nc_u64_e32 v[2:3], v[0:1], v[2:3]
	v_add_nc_u64_e32 v[2:3], -1, v[2:3]
; %bb.2075:                             ;   in Loop: Header=BB6_130 Depth=2
	s_or_b32 exec_lo, exec_lo, s28
	v_add_nc_u32_e32 v1, 0xffffff81, v21
	v_lshrrev_b32_e32 v3, 23, v0
	s_mov_b32 s10, exec_lo
	s_delay_alu instid0(VALU_DEP_2) | instskip(NEXT) | instid1(VALU_DEP_1)
	v_cndmask_b32_e64 v1, v1, 0xffffff82, vcc_lo
	v_add3_u32 v21, v25, v1, v3
	v_and_b32_e32 v1, 0x1fffff, v2
                                        ; implicit-def: $vgpr2
	s_delay_alu instid0(VALU_DEP_1) | instskip(NEXT) | instid1(VALU_DEP_1)
	v_dual_add_nc_u32 v3, 14, v21 :: v_dual_add_nc_u32 v4, v1, v0
                                        ; implicit-def: $vgpr0_vgpr1
	v_cmpx_ne_u32_e32 0, v3
	s_xor_b32 s10, exec_lo, s10
; %bb.2076:                             ;   in Loop: Header=BB6_130 Depth=2
	s_delay_alu instid0(VALU_DEP_2) | instskip(SKIP_1) | instid1(VALU_DEP_1)
	v_cmp_lt_u64_e32 vcc_lo, 0xffffff, v[4:5]
	v_add_nc_u32_e32 v0, 15, v21
	v_cndmask_b32_e32 v2, v3, v0, vcc_lo
	v_cndmask_b32_e64 v0, 0, 1, vcc_lo
	s_delay_alu instid0(VALU_DEP_1)
	v_lshrrev_b64 v[0:1], v0, v[4:5]
; %bb.2077:                             ;   in Loop: Header=BB6_130 Depth=2
	s_and_not1_saveexec_b32 s10, s10
; %bb.2078:                             ;   in Loop: Header=BB6_130 Depth=2
	v_mov_b64_e32 v[0:1], v[4:5]
	v_bfe_u32 v2, v4, 23, 1
; %bb.2079:                             ;   in Loop: Header=BB6_130 Depth=2
	s_or_b32 exec_lo, exec_lo, s10
	s_delay_alu instid0(VALU_DEP_2) | instskip(NEXT) | instid1(VALU_DEP_2)
	v_lshrrev_b64 v[0:1], 21, v[0:1]
	v_cmp_gt_i32_e32 vcc_lo, 32, v2
	v_min_i32_e32 v3, 31, v2
	v_cmp_eq_u32_e64 s10, 0, v2
	s_delay_alu instid0(VALU_DEP_2) | instskip(SKIP_1) | instid1(VALU_DEP_2)
	v_dual_cndmask_b32 v1, 0, v1, vcc_lo :: v_dual_lshlrev_b32 v3, 2, v3
	v_cndmask_b32_e32 v0, 3, v0, vcc_lo
	v_and_b32_e32 v3, 0xfc, v3
	s_delay_alu instid0(VALU_DEP_2) | instskip(NEXT) | instid1(VALU_DEP_2)
	v_cmp_eq_u64_e32 vcc_lo, 0, v[0:1]
	v_and_or_b32 v0, v0, 3, v3
	s_and_b32 s10, s10, vcc_lo
	s_delay_alu instid0(VALU_DEP_1) | instid1(SALU_CYCLE_1)
	v_cndmask_b32_e64 v0, v0, 0, s10
	s_delay_alu instid0(VALU_DEP_1)
	v_or_b32_e32 v21, v0, v24
.LBB6_2080:                             ;   in Loop: Header=BB6_130 Depth=2
	s_or_b32 exec_lo, exec_lo, s27
                                        ; implicit-def: $vgpr24
.LBB6_2081:                             ;   in Loop: Header=BB6_130 Depth=2
	s_and_not1_saveexec_b32 s10, s26
; %bb.2082:                             ;   in Loop: Header=BB6_130 Depth=2
	v_or_b32_e32 v21, 0x7b, v24
; %bb.2083:                             ;   in Loop: Header=BB6_130 Depth=2
	s_or_b32 exec_lo, exec_lo, s10
                                        ; implicit-def: $vgpr0
                                        ; implicit-def: $vgpr1
.LBB6_2084:                             ;   in Loop: Header=BB6_130 Depth=2
	s_and_not1_saveexec_b32 s10, s25
	s_cbranch_execz .LBB6_2090
; %bb.2085:                             ;   in Loop: Header=BB6_130 Depth=2
	s_mov_b32 s25, exec_lo
                                        ; implicit-def: $vgpr21
	v_cmpx_ne_u64_e32 0, v[4:5]
	s_xor_b32 s25, exec_lo, s25
; %bb.2086:                             ;   in Loop: Header=BB6_130 Depth=2
	v_or_b32_e32 v21, 0x7f, v1
                                        ; implicit-def: $vgpr0
; %bb.2087:                             ;   in Loop: Header=BB6_130 Depth=2
	s_and_not1_saveexec_b32 s25, s25
; %bb.2088:                             ;   in Loop: Header=BB6_130 Depth=2
	v_cmp_lt_i32_e32 vcc_lo, -1, v0
	v_cndmask_b32_e32 v21, 0xfc, v108, vcc_lo
; %bb.2089:                             ;   in Loop: Header=BB6_130 Depth=2
	s_or_b32 exec_lo, exec_lo, s25
.LBB6_2090:                             ;   in Loop: Header=BB6_130 Depth=2
	s_delay_alu instid0(SALU_CYCLE_1) | instskip(SKIP_3) | instid1(VALU_DEP_2)
	s_or_b32 exec_lo, exec_lo, s10
	v_lshrrev_b16 v0, 8, v14
	v_dual_mov_b32 v2, 0 :: v_dual_mov_b32 v3, 0
	s_mov_b32 s10, exec_lo
	v_cmpx_ne_u16_e32 0, v0
	s_cbranch_execz .LBB6_2100
; %bb.2091:                             ;   in Loop: Header=BB6_130 Depth=2
	v_bfrev_b32_e32 v3, 1
	s_mov_b32 s25, exec_lo
	v_cmpx_ne_u16_e32 0x80, v0
	s_cbranch_execz .LBB6_2099
; %bb.2092:                             ;   in Loop: Header=BB6_130 Depth=2
	v_and_b32_e32 v4, 0xffff, v0
	s_delay_alu instid0(VALU_DEP_1) | instskip(SKIP_1) | instid1(VALU_DEP_2)
	v_and_b32_e32 v3, 0x7c, v4
	v_and_b32_e32 v1, 3, v4
	v_cmp_ne_u32_e32 vcc_lo, 0x7c, v3
                                        ; implicit-def: $vgpr3
	s_and_saveexec_b32 s26, vcc_lo
	s_delay_alu instid0(SALU_CYCLE_1)
	s_xor_b32 s26, exec_lo, s26
	s_cbranch_execz .LBB6_2096
; %bb.2093:                             ;   in Loop: Header=BB6_130 Depth=2
	v_bfe_u32 v3, v4, 2, 5
	s_mov_b32 s27, exec_lo
	s_delay_alu instid0(VALU_DEP_1)
	v_cmpx_eq_u32_e32 0, v3
	s_cbranch_execz .LBB6_2095
; %bb.2094:                             ;   in Loop: Header=BB6_130 Depth=2
	v_clz_i32_u32_e32 v1, v1
	s_delay_alu instid0(VALU_DEP_1) | instskip(SKIP_1) | instid1(VALU_DEP_2)
	v_min_u32_e32 v3, 32, v1
	v_mov_b32_e32 v1, v5
	v_subrev_nc_u32_e32 v4, 29, v3
	v_sub_nc_u32_e32 v3, 30, v3
	s_delay_alu instid0(VALU_DEP_2) | instskip(NEXT) | instid1(VALU_DEP_1)
	v_lshlrev_b64_e32 v[0:1], v4, v[0:1]
	v_and_b32_e32 v1, 3, v0
.LBB6_2095:                             ;   in Loop: Header=BB6_130 Depth=2
	s_or_b32 exec_lo, exec_lo, s27
	v_lshlrev_b32_e32 v0, 16, v14
	s_delay_alu instid0(VALU_DEP_1) | instskip(NEXT) | instid1(VALU_DEP_1)
	v_and_b32_e32 v0, 0x80000000, v0
	v_lshl_add_u32 v0, v3, 23, v0
	s_delay_alu instid0(VALU_DEP_1) | instskip(NEXT) | instid1(VALU_DEP_1)
	v_lshl_or_b32 v0, v1, 21, v0
                                        ; implicit-def: $vgpr1
	v_add_nc_u32_e32 v3, 0x38000000, v0
.LBB6_2096:                             ;   in Loop: Header=BB6_130 Depth=2
	s_and_not1_saveexec_b32 s26, s26
; %bb.2097:                             ;   in Loop: Header=BB6_130 Depth=2
	v_cmp_lt_i16_e32 vcc_lo, -1, v14
	v_cndmask_b32_e32 v0, 0xff800000, v109, vcc_lo
	v_cmp_eq_u32_e32 vcc_lo, 0, v1
	s_delay_alu instid0(VALU_DEP_2)
	v_cndmask_b32_e32 v3, 0x7f800001, v0, vcc_lo
; %bb.2098:                             ;   in Loop: Header=BB6_130 Depth=2
	s_or_b32 exec_lo, exec_lo, s26
.LBB6_2099:                             ;   in Loop: Header=BB6_130 Depth=2
	s_delay_alu instid0(SALU_CYCLE_1)
	s_or_b32 exec_lo, exec_lo, s25
.LBB6_2100:                             ;   in Loop: Header=BB6_130 Depth=2
	s_delay_alu instid0(SALU_CYCLE_1) | instskip(SKIP_2) | instid1(VALU_DEP_1)
	s_or_b32 exec_lo, exec_lo, s10
	v_lshrrev_b16 v0, 8, v10
	s_mov_b32 s10, exec_lo
	v_cmpx_ne_u16_e32 0, v0
	s_cbranch_execz .LBB6_2110
; %bb.2101:                             ;   in Loop: Header=BB6_130 Depth=2
	v_bfrev_b32_e32 v2, 1
	s_mov_b32 s25, exec_lo
	v_cmpx_ne_u16_e32 0x80, v0
	s_cbranch_execz .LBB6_2109
; %bb.2102:                             ;   in Loop: Header=BB6_130 Depth=2
	v_and_b32_e32 v4, 0xffff, v0
	s_delay_alu instid0(VALU_DEP_1) | instskip(SKIP_1) | instid1(VALU_DEP_2)
	v_and_b32_e32 v2, 0x7c, v4
	v_and_b32_e32 v1, 3, v4
	v_cmp_ne_u32_e32 vcc_lo, 0x7c, v2
                                        ; implicit-def: $vgpr2
	s_and_saveexec_b32 s26, vcc_lo
	s_delay_alu instid0(SALU_CYCLE_1)
	s_xor_b32 s26, exec_lo, s26
	s_cbranch_execz .LBB6_2106
; %bb.2103:                             ;   in Loop: Header=BB6_130 Depth=2
	v_bfe_u32 v2, v4, 2, 5
	s_mov_b32 s27, exec_lo
	s_delay_alu instid0(VALU_DEP_1)
	v_cmpx_eq_u32_e32 0, v2
	s_cbranch_execz .LBB6_2105
; %bb.2104:                             ;   in Loop: Header=BB6_130 Depth=2
	v_clz_i32_u32_e32 v1, v1
	s_delay_alu instid0(VALU_DEP_1) | instskip(SKIP_1) | instid1(VALU_DEP_2)
	v_min_u32_e32 v2, 32, v1
	v_mov_b32_e32 v1, v5
	v_subrev_nc_u32_e32 v4, 29, v2
	v_sub_nc_u32_e32 v2, 30, v2
	s_delay_alu instid0(VALU_DEP_2) | instskip(NEXT) | instid1(VALU_DEP_1)
	v_lshlrev_b64_e32 v[0:1], v4, v[0:1]
	v_and_b32_e32 v1, 3, v0
.LBB6_2105:                             ;   in Loop: Header=BB6_130 Depth=2
	s_or_b32 exec_lo, exec_lo, s27
	v_lshlrev_b32_e32 v0, 16, v10
	s_delay_alu instid0(VALU_DEP_1) | instskip(NEXT) | instid1(VALU_DEP_1)
	v_and_b32_e32 v0, 0x80000000, v0
	v_lshl_add_u32 v0, v2, 23, v0
	s_delay_alu instid0(VALU_DEP_1) | instskip(NEXT) | instid1(VALU_DEP_1)
	v_lshl_or_b32 v0, v1, 21, v0
                                        ; implicit-def: $vgpr1
	v_add_nc_u32_e32 v2, 0x38000000, v0
.LBB6_2106:                             ;   in Loop: Header=BB6_130 Depth=2
	s_and_not1_saveexec_b32 s26, s26
; %bb.2107:                             ;   in Loop: Header=BB6_130 Depth=2
	v_cmp_lt_i16_e32 vcc_lo, -1, v10
	v_cndmask_b32_e32 v0, 0xff800000, v109, vcc_lo
	v_cmp_eq_u32_e32 vcc_lo, 0, v1
	s_delay_alu instid0(VALU_DEP_2)
	v_cndmask_b32_e32 v2, 0x7f800001, v0, vcc_lo
; %bb.2108:                             ;   in Loop: Header=BB6_130 Depth=2
	s_or_b32 exec_lo, exec_lo, s26
.LBB6_2109:                             ;   in Loop: Header=BB6_130 Depth=2
	s_delay_alu instid0(SALU_CYCLE_1)
	s_or_b32 exec_lo, exec_lo, s25
.LBB6_2110:                             ;   in Loop: Header=BB6_130 Depth=2
	s_delay_alu instid0(SALU_CYCLE_1) | instskip(NEXT) | instid1(VALU_DEP_1)
	s_or_b32 exec_lo, exec_lo, s10
	v_dual_mul_f32 v0, v3, v2 :: v_dual_mov_b32 v3, v5
                                        ; implicit-def: $vgpr24
	s_mov_b32 s10, exec_lo
	s_delay_alu instid0(VALU_DEP_1) | instskip(SKIP_2) | instid1(VALU_DEP_3)
	v_and_b32_e32 v2, 0x7f800000, v0
	v_and_b32_e32 v4, 0x7fffff, v0
	v_lshrrev_b32_e32 v1, 24, v0
	v_cmpx_ne_u64_e32 0x7f800000, v[2:3]
	s_xor_b32 s25, exec_lo, s10
	s_cbranch_execz .LBB6_2124
; %bb.2111:                             ;   in Loop: Header=BB6_130 Depth=2
	v_and_b32_e32 v2, 0x7fffffff, v0
	v_mov_b32_e32 v3, v5
	v_and_b32_e32 v25, 0x80, v1
                                        ; implicit-def: $vgpr24
	s_mov_b32 s10, exec_lo
	s_delay_alu instid0(VALU_DEP_2)
	v_cmpx_gt_u64_e32 0x47600001, v[2:3]
	s_xor_b32 s26, exec_lo, s10
	s_cbranch_execz .LBB6_2121
; %bb.2112:                             ;   in Loop: Header=BB6_130 Depth=2
	v_mov_b32_e32 v24, 0
	s_mov_b32 s27, exec_lo
	v_cmpx_ne_u32_e32 0, v0
	s_cbranch_execz .LBB6_2120
; %bb.2113:                             ;   in Loop: Header=BB6_130 Depth=2
	v_bfe_u32 v24, v0, 23, 8
	v_or_b32_e32 v1, 0x800000, v4
	s_delay_alu instid0(VALU_DEP_2) | instskip(SKIP_2) | instid1(VALU_DEP_2)
	v_cmp_gt_u32_e64 s10, 0x72, v24
	v_sub_nc_u32_e32 v0, 0x71, v24
	v_cmp_eq_u32_e32 vcc_lo, 0, v24
	v_cndmask_b32_e64 v0, 0, v0, s10
	s_delay_alu instid0(VALU_DEP_1) | instskip(SKIP_1) | instid1(VALU_DEP_2)
	v_cndmask_b32_e64 v98, v0, 0x70, vcc_lo
	v_cndmask_b32_e32 v0, v1, v4, vcc_lo
	v_dual_mov_b32 v1, v5 :: v_dual_add_nc_u32 v2, 21, v98
	v_add_nc_u32_e32 v4, 20, v98
	s_delay_alu instid0(VALU_DEP_2) | instskip(NEXT) | instid1(VALU_DEP_2)
	v_lshlrev_b64_e64 v[2:3], v2, -1
	v_lshlrev_b64_e64 v[100:101], v4, 1
	s_delay_alu instid0(VALU_DEP_2) | instskip(SKIP_1) | instid1(VALU_DEP_4)
	v_bfi_b32 v2, v2, 0, v0
	v_lshrrev_b64 v[0:1], v98, v[0:1]
	v_bfi_b32 v3, v3, 0, 0
	s_delay_alu instid0(VALU_DEP_1) | instskip(NEXT) | instid1(VALU_DEP_3)
	v_cmp_eq_u64_e64 s10, v[2:3], v[100:101]
	v_mov_b64_e32 v[2:3], v[0:1]
	s_and_saveexec_b32 s28, s10
; %bb.2114:                             ;   in Loop: Header=BB6_130 Depth=2
	v_bfe_u32 v2, v0, 21, 1
	v_mov_b32_e32 v3, v5
	s_delay_alu instid0(VALU_DEP_1) | instskip(NEXT) | instid1(VALU_DEP_1)
	v_add_nc_u64_e32 v[2:3], v[0:1], v[2:3]
	v_add_nc_u64_e32 v[2:3], -1, v[2:3]
; %bb.2115:                             ;   in Loop: Header=BB6_130 Depth=2
	s_or_b32 exec_lo, exec_lo, s28
	v_add_nc_u32_e32 v1, 0xffffff81, v24
	v_lshrrev_b32_e32 v3, 23, v0
	s_mov_b32 s10, exec_lo
	s_delay_alu instid0(VALU_DEP_2) | instskip(NEXT) | instid1(VALU_DEP_1)
	v_cndmask_b32_e64 v1, v1, 0xffffff82, vcc_lo
	v_add3_u32 v24, v98, v1, v3
	v_and_b32_e32 v1, 0x1fffff, v2
                                        ; implicit-def: $vgpr2
	s_delay_alu instid0(VALU_DEP_2) | instskip(NEXT) | instid1(VALU_DEP_2)
	v_add_nc_u32_e32 v3, 14, v24
	v_add_nc_u32_e32 v4, v1, v0
                                        ; implicit-def: $vgpr0_vgpr1
	s_delay_alu instid0(VALU_DEP_2)
	v_cmpx_ne_u32_e32 0, v3
	s_xor_b32 s10, exec_lo, s10
; %bb.2116:                             ;   in Loop: Header=BB6_130 Depth=2
	s_delay_alu instid0(VALU_DEP_2) | instskip(SKIP_1) | instid1(VALU_DEP_1)
	v_cmp_lt_u64_e32 vcc_lo, 0xffffff, v[4:5]
	v_add_nc_u32_e32 v0, 15, v24
	v_cndmask_b32_e32 v2, v3, v0, vcc_lo
	v_cndmask_b32_e64 v0, 0, 1, vcc_lo
	s_delay_alu instid0(VALU_DEP_1)
	v_lshrrev_b64 v[0:1], v0, v[4:5]
; %bb.2117:                             ;   in Loop: Header=BB6_130 Depth=2
	s_and_not1_saveexec_b32 s10, s10
; %bb.2118:                             ;   in Loop: Header=BB6_130 Depth=2
	v_mov_b64_e32 v[0:1], v[4:5]
	v_bfe_u32 v2, v4, 23, 1
; %bb.2119:                             ;   in Loop: Header=BB6_130 Depth=2
	s_or_b32 exec_lo, exec_lo, s10
	s_delay_alu instid0(VALU_DEP_2) | instskip(NEXT) | instid1(VALU_DEP_2)
	v_lshrrev_b64 v[0:1], 21, v[0:1]
	v_cmp_gt_i32_e32 vcc_lo, 32, v2
	v_min_i32_e32 v3, 31, v2
	v_cmp_eq_u32_e64 s10, 0, v2
	s_delay_alu instid0(VALU_DEP_2) | instskip(SKIP_1) | instid1(VALU_DEP_2)
	v_dual_cndmask_b32 v1, 0, v1, vcc_lo :: v_dual_lshlrev_b32 v3, 2, v3
	v_cndmask_b32_e32 v0, 3, v0, vcc_lo
	v_and_b32_e32 v3, 0xfc, v3
	s_delay_alu instid0(VALU_DEP_2) | instskip(NEXT) | instid1(VALU_DEP_2)
	v_cmp_eq_u64_e32 vcc_lo, 0, v[0:1]
	v_and_or_b32 v0, v0, 3, v3
	s_and_b32 s10, s10, vcc_lo
	s_delay_alu instid0(VALU_DEP_1) | instid1(SALU_CYCLE_1)
	v_cndmask_b32_e64 v0, v0, 0, s10
	s_delay_alu instid0(VALU_DEP_1)
	v_or_b32_e32 v24, v0, v25
.LBB6_2120:                             ;   in Loop: Header=BB6_130 Depth=2
	s_or_b32 exec_lo, exec_lo, s27
                                        ; implicit-def: $vgpr25
.LBB6_2121:                             ;   in Loop: Header=BB6_130 Depth=2
	s_and_not1_saveexec_b32 s10, s26
; %bb.2122:                             ;   in Loop: Header=BB6_130 Depth=2
	v_or_b32_e32 v24, 0x7b, v25
; %bb.2123:                             ;   in Loop: Header=BB6_130 Depth=2
	s_or_b32 exec_lo, exec_lo, s10
                                        ; implicit-def: $vgpr0
                                        ; implicit-def: $vgpr1
.LBB6_2124:                             ;   in Loop: Header=BB6_130 Depth=2
	s_and_not1_saveexec_b32 s10, s25
	s_cbranch_execz .LBB6_2130
; %bb.2125:                             ;   in Loop: Header=BB6_130 Depth=2
	s_mov_b32 s25, exec_lo
                                        ; implicit-def: $vgpr24
	v_cmpx_ne_u64_e32 0, v[4:5]
	s_xor_b32 s25, exec_lo, s25
; %bb.2126:                             ;   in Loop: Header=BB6_130 Depth=2
	v_or_b32_e32 v24, 0x7f, v1
                                        ; implicit-def: $vgpr0
; %bb.2127:                             ;   in Loop: Header=BB6_130 Depth=2
	s_and_not1_saveexec_b32 s25, s25
; %bb.2128:                             ;   in Loop: Header=BB6_130 Depth=2
	v_cmp_lt_i32_e32 vcc_lo, -1, v0
	v_cndmask_b32_e32 v24, 0xfc, v108, vcc_lo
; %bb.2129:                             ;   in Loop: Header=BB6_130 Depth=2
	s_or_b32 exec_lo, exec_lo, s25
.LBB6_2130:                             ;   in Loop: Header=BB6_130 Depth=2
	s_delay_alu instid0(SALU_CYCLE_1) | instskip(SKIP_3) | instid1(VALU_DEP_2)
	s_or_b32 exec_lo, exec_lo, s10
	v_dual_mov_b32 v1, 0 :: v_dual_lshrrev_b32 v0, 16, v14
	v_mov_b32_e32 v2, 0
	s_mov_b32 s25, exec_lo
	v_and_b32_e32 v3, 0xff, v0
	s_delay_alu instid0(VALU_DEP_1)
	v_cmpx_ne_u16_e32 0, v3
	s_cbranch_execz .LBB6_2140
; %bb.2131:                             ;   in Loop: Header=BB6_130 Depth=2
	v_bfrev_b32_e32 v2, 1
	s_mov_b32 s26, exec_lo
	v_cmpx_ne_u16_e32 0x80, v3
	s_cbranch_execz .LBB6_2139
; %bb.2132:                             ;   in Loop: Header=BB6_130 Depth=2
	v_and_b32_e32 v2, 0x7c0000, v14
	v_bfe_u32 v3, v14, 16, 2
	s_delay_alu instid0(VALU_DEP_2) | instskip(SKIP_1) | instid1(SALU_CYCLE_1)
	v_cmp_ne_u32_e32 vcc_lo, 0x7c0000, v2
                                        ; implicit-def: $vgpr2
	s_and_saveexec_b32 s10, vcc_lo
	s_xor_b32 s10, exec_lo, s10
	s_cbranch_execz .LBB6_2136
; %bb.2133:                             ;   in Loop: Header=BB6_130 Depth=2
	v_bfe_u32 v2, v14, 18, 5
	s_mov_b32 s27, exec_lo
	s_delay_alu instid0(VALU_DEP_1)
	v_cmpx_eq_u32_e32 0, v2
; %bb.2134:                             ;   in Loop: Header=BB6_130 Depth=2
	v_clz_i32_u32_e32 v2, v3
	s_delay_alu instid0(VALU_DEP_1) | instskip(NEXT) | instid1(VALU_DEP_1)
	v_min_u32_e32 v2, 32, v2
	v_subrev_nc_u32_e32 v3, 29, v2
	v_sub_nc_u32_e32 v2, 30, v2
	s_delay_alu instid0(VALU_DEP_2) | instskip(NEXT) | instid1(VALU_DEP_1)
	v_lshlrev_b64_e32 v[98:99], v3, v[0:1]
	v_and_b32_e32 v3, 3, v98
; %bb.2135:                             ;   in Loop: Header=BB6_130 Depth=2
	s_or_b32 exec_lo, exec_lo, s27
	v_lshlrev_b32_e32 v0, 24, v0
	s_delay_alu instid0(VALU_DEP_1) | instskip(NEXT) | instid1(VALU_DEP_1)
	v_and_b32_e32 v0, 0x80000000, v0
	v_lshl_add_u32 v0, v2, 23, v0
	s_delay_alu instid0(VALU_DEP_1) | instskip(NEXT) | instid1(VALU_DEP_1)
	v_lshl_or_b32 v0, v3, 21, v0
                                        ; implicit-def: $vgpr3
	v_add_nc_u32_e32 v2, 0x38000000, v0
                                        ; implicit-def: $vgpr0
.LBB6_2136:                             ;   in Loop: Header=BB6_130 Depth=2
	s_and_not1_saveexec_b32 s27, s10
; %bb.2137:                             ;   in Loop: Header=BB6_130 Depth=2
	v_bfe_i32 v0, v0, 0, 8
	v_cmp_eq_u32_e32 vcc_lo, 0, v3
	s_delay_alu instid0(VALU_DEP_2) | instskip(NEXT) | instid1(VALU_DEP_1)
	v_cmp_lt_i16_e64 s10, -1, v0
	v_cndmask_b32_e64 v0, 0xff800000, v109, s10
	s_delay_alu instid0(VALU_DEP_1)
	v_cndmask_b32_e32 v2, 0x7f800001, v0, vcc_lo
; %bb.2138:                             ;   in Loop: Header=BB6_130 Depth=2
	s_or_b32 exec_lo, exec_lo, s27
.LBB6_2139:                             ;   in Loop: Header=BB6_130 Depth=2
	s_delay_alu instid0(SALU_CYCLE_1)
	s_or_b32 exec_lo, exec_lo, s26
.LBB6_2140:                             ;   in Loop: Header=BB6_130 Depth=2
	s_delay_alu instid0(SALU_CYCLE_1) | instskip(SKIP_2) | instid1(VALU_DEP_1)
	s_or_b32 exec_lo, exec_lo, s25
	v_lshrrev_b32_e32 v0, 16, v10
	s_mov_b32 s25, exec_lo
	v_and_b32_e32 v3, 0xff, v0
	s_delay_alu instid0(VALU_DEP_1)
	v_cmpx_ne_u16_e32 0, v3
	s_cbranch_execz .LBB6_2150
; %bb.2141:                             ;   in Loop: Header=BB6_130 Depth=2
	v_bfrev_b32_e32 v1, 1
	s_mov_b32 s26, exec_lo
	v_cmpx_ne_u16_e32 0x80, v3
	s_cbranch_execz .LBB6_2149
; %bb.2142:                             ;   in Loop: Header=BB6_130 Depth=2
	v_and_b32_e32 v1, 0x7c0000, v10
	v_bfe_u32 v3, v10, 16, 2
	s_delay_alu instid0(VALU_DEP_2) | instskip(SKIP_1) | instid1(SALU_CYCLE_1)
	v_cmp_ne_u32_e32 vcc_lo, 0x7c0000, v1
                                        ; implicit-def: $vgpr1
	s_and_saveexec_b32 s10, vcc_lo
	s_xor_b32 s10, exec_lo, s10
	s_cbranch_execz .LBB6_2146
; %bb.2143:                             ;   in Loop: Header=BB6_130 Depth=2
	v_bfe_u32 v1, v10, 18, 5
	s_mov_b32 s27, exec_lo
	s_delay_alu instid0(VALU_DEP_1)
	v_cmpx_eq_u32_e32 0, v1
; %bb.2144:                             ;   in Loop: Header=BB6_130 Depth=2
	v_clz_i32_u32_e32 v1, v3
	s_delay_alu instid0(VALU_DEP_1) | instskip(NEXT) | instid1(VALU_DEP_1)
	v_min_u32_e32 v1, 32, v1
	v_subrev_nc_u32_e32 v3, 29, v1
	s_delay_alu instid0(VALU_DEP_1) | instskip(NEXT) | instid1(VALU_DEP_1)
	v_lshlrev_b64_e32 v[98:99], v3, v[0:1]
	v_dual_sub_nc_u32 v1, 30, v1 :: v_dual_bitop2_b32 v3, 3, v98 bitop3:0x40
; %bb.2145:                             ;   in Loop: Header=BB6_130 Depth=2
	s_or_b32 exec_lo, exec_lo, s27
	v_lshlrev_b32_e32 v0, 24, v0
	s_delay_alu instid0(VALU_DEP_1) | instskip(NEXT) | instid1(VALU_DEP_1)
	v_and_b32_e32 v0, 0x80000000, v0
	v_lshl_add_u32 v0, v1, 23, v0
	s_delay_alu instid0(VALU_DEP_1) | instskip(NEXT) | instid1(VALU_DEP_1)
	v_lshl_or_b32 v0, v3, 21, v0
                                        ; implicit-def: $vgpr3
	v_add_nc_u32_e32 v1, 0x38000000, v0
                                        ; implicit-def: $vgpr0
.LBB6_2146:                             ;   in Loop: Header=BB6_130 Depth=2
	s_and_not1_saveexec_b32 s27, s10
; %bb.2147:                             ;   in Loop: Header=BB6_130 Depth=2
	v_bfe_i32 v0, v0, 0, 8
	v_cmp_eq_u32_e32 vcc_lo, 0, v3
	s_delay_alu instid0(VALU_DEP_2) | instskip(NEXT) | instid1(VALU_DEP_1)
	v_cmp_lt_i16_e64 s10, -1, v0
	v_cndmask_b32_e64 v0, 0xff800000, v109, s10
	s_delay_alu instid0(VALU_DEP_1)
	v_cndmask_b32_e32 v1, 0x7f800001, v0, vcc_lo
; %bb.2148:                             ;   in Loop: Header=BB6_130 Depth=2
	s_or_b32 exec_lo, exec_lo, s27
.LBB6_2149:                             ;   in Loop: Header=BB6_130 Depth=2
	s_delay_alu instid0(SALU_CYCLE_1)
	s_or_b32 exec_lo, exec_lo, s26
.LBB6_2150:                             ;   in Loop: Header=BB6_130 Depth=2
	s_delay_alu instid0(SALU_CYCLE_1) | instskip(NEXT) | instid1(VALU_DEP_1)
	s_or_b32 exec_lo, exec_lo, s25
	v_dual_mul_f32 v0, v2, v1 :: v_dual_mov_b32 v3, v5
                                        ; implicit-def: $vgpr25
	s_mov_b32 s10, exec_lo
	s_delay_alu instid0(VALU_DEP_1) | instskip(SKIP_2) | instid1(VALU_DEP_3)
	v_and_b32_e32 v2, 0x7f800000, v0
	v_and_b32_e32 v4, 0x7fffff, v0
	v_lshrrev_b32_e32 v1, 24, v0
	v_cmpx_ne_u64_e32 0x7f800000, v[2:3]
	s_xor_b32 s25, exec_lo, s10
	s_cbranch_execz .LBB6_2164
; %bb.2151:                             ;   in Loop: Header=BB6_130 Depth=2
	v_and_b32_e32 v2, 0x7fffffff, v0
	v_mov_b32_e32 v3, v5
	v_and_b32_e32 v98, 0x80, v1
                                        ; implicit-def: $vgpr25
	s_mov_b32 s10, exec_lo
	s_delay_alu instid0(VALU_DEP_2)
	v_cmpx_gt_u64_e32 0x47600001, v[2:3]
	s_xor_b32 s26, exec_lo, s10
	s_cbranch_execz .LBB6_2161
; %bb.2152:                             ;   in Loop: Header=BB6_130 Depth=2
	v_mov_b32_e32 v25, 0
	s_mov_b32 s27, exec_lo
	v_cmpx_ne_u32_e32 0, v0
	s_cbranch_execz .LBB6_2160
; %bb.2153:                             ;   in Loop: Header=BB6_130 Depth=2
	v_bfe_u32 v25, v0, 23, 8
	v_or_b32_e32 v1, 0x800000, v4
	s_delay_alu instid0(VALU_DEP_2) | instskip(SKIP_2) | instid1(VALU_DEP_2)
	v_cmp_gt_u32_e64 s10, 0x72, v25
	v_sub_nc_u32_e32 v0, 0x71, v25
	v_cmp_eq_u32_e32 vcc_lo, 0, v25
	v_cndmask_b32_e64 v0, 0, v0, s10
	s_delay_alu instid0(VALU_DEP_1) | instskip(SKIP_1) | instid1(VALU_DEP_2)
	v_cndmask_b32_e64 v99, v0, 0x70, vcc_lo
	v_cndmask_b32_e32 v0, v1, v4, vcc_lo
	v_dual_mov_b32 v1, v5 :: v_dual_add_nc_u32 v2, 21, v99
	v_add_nc_u32_e32 v4, 20, v99
	s_delay_alu instid0(VALU_DEP_2) | instskip(NEXT) | instid1(VALU_DEP_2)
	v_lshlrev_b64_e64 v[2:3], v2, -1
	v_lshlrev_b64_e64 v[100:101], v4, 1
	s_delay_alu instid0(VALU_DEP_2) | instskip(SKIP_1) | instid1(VALU_DEP_4)
	v_bfi_b32 v2, v2, 0, v0
	v_lshrrev_b64 v[0:1], v99, v[0:1]
	v_bfi_b32 v3, v3, 0, 0
	s_delay_alu instid0(VALU_DEP_1) | instskip(NEXT) | instid1(VALU_DEP_3)
	v_cmp_eq_u64_e64 s10, v[2:3], v[100:101]
	v_mov_b64_e32 v[2:3], v[0:1]
	s_and_saveexec_b32 s28, s10
; %bb.2154:                             ;   in Loop: Header=BB6_130 Depth=2
	v_bfe_u32 v2, v0, 21, 1
	v_mov_b32_e32 v3, v5
	s_delay_alu instid0(VALU_DEP_1) | instskip(NEXT) | instid1(VALU_DEP_1)
	v_add_nc_u64_e32 v[2:3], v[0:1], v[2:3]
	v_add_nc_u64_e32 v[2:3], -1, v[2:3]
; %bb.2155:                             ;   in Loop: Header=BB6_130 Depth=2
	s_or_b32 exec_lo, exec_lo, s28
	v_add_nc_u32_e32 v1, 0xffffff81, v25
	v_lshrrev_b32_e32 v3, 23, v0
	s_mov_b32 s10, exec_lo
	s_delay_alu instid0(VALU_DEP_2) | instskip(NEXT) | instid1(VALU_DEP_1)
	v_cndmask_b32_e64 v1, v1, 0xffffff82, vcc_lo
	v_add3_u32 v25, v99, v1, v3
	v_and_b32_e32 v1, 0x1fffff, v2
                                        ; implicit-def: $vgpr2
	s_delay_alu instid0(VALU_DEP_1) | instskip(NEXT) | instid1(VALU_DEP_1)
	v_dual_add_nc_u32 v3, 14, v25 :: v_dual_add_nc_u32 v4, v1, v0
                                        ; implicit-def: $vgpr0_vgpr1
	v_cmpx_ne_u32_e32 0, v3
	s_xor_b32 s10, exec_lo, s10
; %bb.2156:                             ;   in Loop: Header=BB6_130 Depth=2
	s_delay_alu instid0(VALU_DEP_2) | instskip(SKIP_1) | instid1(VALU_DEP_1)
	v_cmp_lt_u64_e32 vcc_lo, 0xffffff, v[4:5]
	v_add_nc_u32_e32 v0, 15, v25
	v_cndmask_b32_e32 v2, v3, v0, vcc_lo
	v_cndmask_b32_e64 v0, 0, 1, vcc_lo
	s_delay_alu instid0(VALU_DEP_1)
	v_lshrrev_b64 v[0:1], v0, v[4:5]
; %bb.2157:                             ;   in Loop: Header=BB6_130 Depth=2
	s_and_not1_saveexec_b32 s10, s10
; %bb.2158:                             ;   in Loop: Header=BB6_130 Depth=2
	v_mov_b64_e32 v[0:1], v[4:5]
	v_bfe_u32 v2, v4, 23, 1
; %bb.2159:                             ;   in Loop: Header=BB6_130 Depth=2
	s_or_b32 exec_lo, exec_lo, s10
	s_delay_alu instid0(VALU_DEP_2) | instskip(NEXT) | instid1(VALU_DEP_2)
	v_lshrrev_b64 v[0:1], 21, v[0:1]
	v_cmp_gt_i32_e32 vcc_lo, 32, v2
	v_min_i32_e32 v3, 31, v2
	v_cmp_eq_u32_e64 s10, 0, v2
	s_delay_alu instid0(VALU_DEP_2) | instskip(SKIP_1) | instid1(VALU_DEP_2)
	v_dual_cndmask_b32 v1, 0, v1, vcc_lo :: v_dual_lshlrev_b32 v3, 2, v3
	v_cndmask_b32_e32 v0, 3, v0, vcc_lo
	v_and_b32_e32 v3, 0xfc, v3
	s_delay_alu instid0(VALU_DEP_2) | instskip(NEXT) | instid1(VALU_DEP_2)
	v_cmp_eq_u64_e32 vcc_lo, 0, v[0:1]
	v_and_or_b32 v0, v0, 3, v3
	s_and_b32 s10, s10, vcc_lo
	s_delay_alu instid0(VALU_DEP_1) | instid1(SALU_CYCLE_1)
	v_cndmask_b32_e64 v0, v0, 0, s10
	s_delay_alu instid0(VALU_DEP_1)
	v_or_b32_e32 v25, v0, v98
.LBB6_2160:                             ;   in Loop: Header=BB6_130 Depth=2
	s_or_b32 exec_lo, exec_lo, s27
                                        ; implicit-def: $vgpr98
.LBB6_2161:                             ;   in Loop: Header=BB6_130 Depth=2
	s_and_not1_saveexec_b32 s10, s26
; %bb.2162:                             ;   in Loop: Header=BB6_130 Depth=2
	v_or_b32_e32 v25, 0x7b, v98
; %bb.2163:                             ;   in Loop: Header=BB6_130 Depth=2
	s_or_b32 exec_lo, exec_lo, s10
                                        ; implicit-def: $vgpr0
                                        ; implicit-def: $vgpr1
.LBB6_2164:                             ;   in Loop: Header=BB6_130 Depth=2
	s_and_not1_saveexec_b32 s10, s25
	s_cbranch_execz .LBB6_2170
; %bb.2165:                             ;   in Loop: Header=BB6_130 Depth=2
	s_mov_b32 s25, exec_lo
                                        ; implicit-def: $vgpr25
	v_cmpx_ne_u64_e32 0, v[4:5]
	s_xor_b32 s25, exec_lo, s25
; %bb.2166:                             ;   in Loop: Header=BB6_130 Depth=2
	v_or_b32_e32 v25, 0x7f, v1
                                        ; implicit-def: $vgpr0
; %bb.2167:                             ;   in Loop: Header=BB6_130 Depth=2
	s_and_not1_saveexec_b32 s25, s25
; %bb.2168:                             ;   in Loop: Header=BB6_130 Depth=2
	v_cmp_lt_i32_e32 vcc_lo, -1, v0
	v_cndmask_b32_e32 v25, 0xfc, v108, vcc_lo
; %bb.2169:                             ;   in Loop: Header=BB6_130 Depth=2
	s_or_b32 exec_lo, exec_lo, s25
.LBB6_2170:                             ;   in Loop: Header=BB6_130 Depth=2
	s_delay_alu instid0(SALU_CYCLE_1)
	s_or_b32 exec_lo, exec_lo, s10
	v_dual_mov_b32 v1, 0 :: v_dual_mov_b32 v2, 0
	s_mov_b32 s25, exec_lo
	v_cmpx_lt_u32_e32 0xffffff, v14
	s_cbranch_execz .LBB6_2180
; %bb.2171:                             ;   in Loop: Header=BB6_130 Depth=2
	v_lshrrev_b32_e32 v0, 24, v14
	v_bfrev_b32_e32 v2, 1
	s_mov_b32 s26, exec_lo
	s_delay_alu instid0(VALU_DEP_2)
	v_cmpx_ne_u32_e32 0x80, v0
	s_cbranch_execz .LBB6_2179
; %bb.2172:                             ;   in Loop: Header=BB6_130 Depth=2
	v_and_b32_e32 v2, 0x7c000000, v14
	v_bfe_u32 v3, v14, 24, 2
	s_delay_alu instid0(VALU_DEP_2) | instskip(SKIP_1) | instid1(SALU_CYCLE_1)
	v_cmp_ne_u32_e32 vcc_lo, 0x7c000000, v2
                                        ; implicit-def: $vgpr2
	s_and_saveexec_b32 s10, vcc_lo
	s_xor_b32 s10, exec_lo, s10
	s_cbranch_execz .LBB6_2176
; %bb.2173:                             ;   in Loop: Header=BB6_130 Depth=2
	v_bfe_u32 v2, v14, 26, 5
	s_mov_b32 s27, exec_lo
	s_delay_alu instid0(VALU_DEP_1)
	v_cmpx_eq_u32_e32 0, v2
; %bb.2174:                             ;   in Loop: Header=BB6_130 Depth=2
	v_clz_i32_u32_e32 v2, v3
	s_delay_alu instid0(VALU_DEP_1) | instskip(NEXT) | instid1(VALU_DEP_1)
	v_min_u32_e32 v2, 32, v2
	v_subrev_nc_u32_e32 v3, 29, v2
	v_sub_nc_u32_e32 v2, 30, v2
	s_delay_alu instid0(VALU_DEP_2) | instskip(NEXT) | instid1(VALU_DEP_1)
	v_lshlrev_b64_e32 v[98:99], v3, v[0:1]
	v_and_b32_e32 v3, 3, v98
; %bb.2175:                             ;   in Loop: Header=BB6_130 Depth=2
	s_or_b32 exec_lo, exec_lo, s27
	v_and_b32_e32 v0, 0x80000000, v14
	s_delay_alu instid0(VALU_DEP_1) | instskip(NEXT) | instid1(VALU_DEP_1)
	v_lshl_add_u32 v0, v2, 23, v0
	v_lshl_or_b32 v0, v3, 21, v0
                                        ; implicit-def: $vgpr3
	s_delay_alu instid0(VALU_DEP_1)
	v_add_nc_u32_e32 v2, 0x38000000, v0
.LBB6_2176:                             ;   in Loop: Header=BB6_130 Depth=2
	s_and_not1_saveexec_b32 s27, s10
; %bb.2177:                             ;   in Loop: Header=BB6_130 Depth=2
	v_cmp_lt_i32_e64 s10, -1, v14
	v_cmp_eq_u32_e32 vcc_lo, 0, v3
	s_delay_alu instid0(VALU_DEP_2) | instskip(NEXT) | instid1(VALU_DEP_1)
	v_cndmask_b32_e64 v0, 0xff800000, v109, s10
	v_cndmask_b32_e32 v2, 0x7f800001, v0, vcc_lo
; %bb.2178:                             ;   in Loop: Header=BB6_130 Depth=2
	s_or_b32 exec_lo, exec_lo, s27
.LBB6_2179:                             ;   in Loop: Header=BB6_130 Depth=2
	s_delay_alu instid0(SALU_CYCLE_1)
	s_or_b32 exec_lo, exec_lo, s26
.LBB6_2180:                             ;   in Loop: Header=BB6_130 Depth=2
	s_delay_alu instid0(SALU_CYCLE_1) | instskip(NEXT) | instid1(SALU_CYCLE_1)
	s_or_b32 exec_lo, exec_lo, s25
	s_mov_b32 s25, exec_lo
	v_cmpx_lt_u32_e32 0xffffff, v10
	s_cbranch_execz .LBB6_2190
; %bb.2181:                             ;   in Loop: Header=BB6_130 Depth=2
	v_lshrrev_b32_e32 v0, 24, v10
	v_bfrev_b32_e32 v1, 1
	s_mov_b32 s26, exec_lo
	s_delay_alu instid0(VALU_DEP_2)
	v_cmpx_ne_u32_e32 0x80, v0
	s_cbranch_execz .LBB6_2189
; %bb.2182:                             ;   in Loop: Header=BB6_130 Depth=2
	v_and_b32_e32 v1, 0x7c000000, v10
	v_bfe_u32 v3, v10, 24, 2
	s_delay_alu instid0(VALU_DEP_2) | instskip(SKIP_1) | instid1(SALU_CYCLE_1)
	v_cmp_ne_u32_e32 vcc_lo, 0x7c000000, v1
                                        ; implicit-def: $vgpr1
	s_and_saveexec_b32 s10, vcc_lo
	s_xor_b32 s10, exec_lo, s10
	s_cbranch_execz .LBB6_2186
; %bb.2183:                             ;   in Loop: Header=BB6_130 Depth=2
	v_bfe_u32 v1, v10, 26, 5
	s_mov_b32 s27, exec_lo
	s_delay_alu instid0(VALU_DEP_1)
	v_cmpx_eq_u32_e32 0, v1
; %bb.2184:                             ;   in Loop: Header=BB6_130 Depth=2
	v_clz_i32_u32_e32 v1, v3
	s_delay_alu instid0(VALU_DEP_1) | instskip(NEXT) | instid1(VALU_DEP_1)
	v_min_u32_e32 v3, 32, v1
	v_subrev_nc_u32_e32 v1, 29, v3
	s_delay_alu instid0(VALU_DEP_1) | instskip(NEXT) | instid1(VALU_DEP_1)
	v_lshlrev_b64_e32 v[0:1], v1, v[0:1]
	v_dual_sub_nc_u32 v1, 30, v3 :: v_dual_bitop2_b32 v3, 3, v0 bitop3:0x40
; %bb.2185:                             ;   in Loop: Header=BB6_130 Depth=2
	s_or_b32 exec_lo, exec_lo, s27
	v_and_b32_e32 v0, 0x80000000, v10
	s_delay_alu instid0(VALU_DEP_1) | instskip(NEXT) | instid1(VALU_DEP_1)
	v_lshl_add_u32 v0, v1, 23, v0
	v_lshl_or_b32 v0, v3, 21, v0
                                        ; implicit-def: $vgpr3
	s_delay_alu instid0(VALU_DEP_1)
	v_add_nc_u32_e32 v1, 0x38000000, v0
.LBB6_2186:                             ;   in Loop: Header=BB6_130 Depth=2
	s_and_not1_saveexec_b32 s27, s10
; %bb.2187:                             ;   in Loop: Header=BB6_130 Depth=2
	v_cmp_lt_i32_e64 s10, -1, v10
	v_cmp_eq_u32_e32 vcc_lo, 0, v3
	s_delay_alu instid0(VALU_DEP_2) | instskip(NEXT) | instid1(VALU_DEP_1)
	v_cndmask_b32_e64 v0, 0xff800000, v109, s10
	v_cndmask_b32_e32 v1, 0x7f800001, v0, vcc_lo
; %bb.2188:                             ;   in Loop: Header=BB6_130 Depth=2
	s_or_b32 exec_lo, exec_lo, s27
.LBB6_2189:                             ;   in Loop: Header=BB6_130 Depth=2
	s_delay_alu instid0(SALU_CYCLE_1)
	s_or_b32 exec_lo, exec_lo, s26
.LBB6_2190:                             ;   in Loop: Header=BB6_130 Depth=2
	s_delay_alu instid0(SALU_CYCLE_1) | instskip(NEXT) | instid1(VALU_DEP_1)
	s_or_b32 exec_lo, exec_lo, s25
	v_dual_mul_f32 v0, v2, v1 :: v_dual_mov_b32 v3, v5
                                        ; implicit-def: $vgpr98
	s_mov_b32 s10, exec_lo
	s_delay_alu instid0(VALU_DEP_1) | instskip(SKIP_2) | instid1(VALU_DEP_3)
	v_and_b32_e32 v2, 0x7f800000, v0
	v_and_b32_e32 v4, 0x7fffff, v0
	v_lshrrev_b32_e32 v1, 24, v0
	v_cmpx_ne_u64_e32 0x7f800000, v[2:3]
	s_xor_b32 s25, exec_lo, s10
	s_cbranch_execz .LBB6_2204
; %bb.2191:                             ;   in Loop: Header=BB6_130 Depth=2
	v_and_b32_e32 v2, 0x7fffffff, v0
	v_mov_b32_e32 v3, v5
	v_and_b32_e32 v99, 0x80, v1
                                        ; implicit-def: $vgpr98
	s_mov_b32 s10, exec_lo
	s_delay_alu instid0(VALU_DEP_2)
	v_cmpx_gt_u64_e32 0x47600001, v[2:3]
	s_xor_b32 s26, exec_lo, s10
	s_cbranch_execz .LBB6_2201
; %bb.2192:                             ;   in Loop: Header=BB6_130 Depth=2
	v_mov_b32_e32 v98, 0
	s_mov_b32 s27, exec_lo
	v_cmpx_ne_u32_e32 0, v0
	s_cbranch_execz .LBB6_2200
; %bb.2193:                             ;   in Loop: Header=BB6_130 Depth=2
	v_bfe_u32 v98, v0, 23, 8
	v_or_b32_e32 v1, 0x800000, v4
	s_delay_alu instid0(VALU_DEP_2) | instskip(SKIP_2) | instid1(VALU_DEP_2)
	v_cmp_gt_u32_e64 s10, 0x72, v98
	v_sub_nc_u32_e32 v0, 0x71, v98
	v_cmp_eq_u32_e32 vcc_lo, 0, v98
	v_cndmask_b32_e64 v0, 0, v0, s10
	s_delay_alu instid0(VALU_DEP_1) | instskip(SKIP_1) | instid1(VALU_DEP_2)
	v_cndmask_b32_e64 v100, v0, 0x70, vcc_lo
	v_cndmask_b32_e32 v0, v1, v4, vcc_lo
	v_dual_mov_b32 v1, v5 :: v_dual_add_nc_u32 v2, 21, v100
	v_add_nc_u32_e32 v4, 20, v100
	s_delay_alu instid0(VALU_DEP_2) | instskip(NEXT) | instid1(VALU_DEP_2)
	v_lshlrev_b64_e64 v[2:3], v2, -1
	v_lshlrev_b64_e64 v[102:103], v4, 1
	s_delay_alu instid0(VALU_DEP_2) | instskip(SKIP_1) | instid1(VALU_DEP_4)
	v_bfi_b32 v2, v2, 0, v0
	v_lshrrev_b64 v[0:1], v100, v[0:1]
	v_bfi_b32 v3, v3, 0, 0
	s_delay_alu instid0(VALU_DEP_1) | instskip(NEXT) | instid1(VALU_DEP_3)
	v_cmp_eq_u64_e64 s10, v[2:3], v[102:103]
	v_mov_b64_e32 v[2:3], v[0:1]
	s_and_saveexec_b32 s28, s10
; %bb.2194:                             ;   in Loop: Header=BB6_130 Depth=2
	v_bfe_u32 v2, v0, 21, 1
	v_mov_b32_e32 v3, v5
	s_delay_alu instid0(VALU_DEP_1) | instskip(NEXT) | instid1(VALU_DEP_1)
	v_add_nc_u64_e32 v[2:3], v[0:1], v[2:3]
	v_add_nc_u64_e32 v[2:3], -1, v[2:3]
; %bb.2195:                             ;   in Loop: Header=BB6_130 Depth=2
	s_or_b32 exec_lo, exec_lo, s28
	v_add_nc_u32_e32 v1, 0xffffff81, v98
	v_lshrrev_b32_e32 v3, 23, v0
	s_mov_b32 s10, exec_lo
	s_delay_alu instid0(VALU_DEP_2) | instskip(NEXT) | instid1(VALU_DEP_1)
	v_cndmask_b32_e64 v1, v1, 0xffffff82, vcc_lo
	v_add3_u32 v98, v100, v1, v3
	v_and_b32_e32 v1, 0x1fffff, v2
                                        ; implicit-def: $vgpr2
	s_delay_alu instid0(VALU_DEP_1) | instskip(NEXT) | instid1(VALU_DEP_1)
	v_dual_add_nc_u32 v3, 14, v98 :: v_dual_add_nc_u32 v4, v1, v0
                                        ; implicit-def: $vgpr0_vgpr1
	v_cmpx_ne_u32_e32 0, v3
	s_xor_b32 s10, exec_lo, s10
; %bb.2196:                             ;   in Loop: Header=BB6_130 Depth=2
	s_delay_alu instid0(VALU_DEP_2) | instskip(SKIP_1) | instid1(VALU_DEP_1)
	v_cmp_lt_u64_e32 vcc_lo, 0xffffff, v[4:5]
	v_add_nc_u32_e32 v0, 15, v98
	v_cndmask_b32_e32 v2, v3, v0, vcc_lo
	v_cndmask_b32_e64 v0, 0, 1, vcc_lo
	s_delay_alu instid0(VALU_DEP_1)
	v_lshrrev_b64 v[0:1], v0, v[4:5]
; %bb.2197:                             ;   in Loop: Header=BB6_130 Depth=2
	s_and_not1_saveexec_b32 s10, s10
; %bb.2198:                             ;   in Loop: Header=BB6_130 Depth=2
	v_mov_b64_e32 v[0:1], v[4:5]
	v_bfe_u32 v2, v4, 23, 1
; %bb.2199:                             ;   in Loop: Header=BB6_130 Depth=2
	s_or_b32 exec_lo, exec_lo, s10
	s_delay_alu instid0(VALU_DEP_2) | instskip(NEXT) | instid1(VALU_DEP_2)
	v_lshrrev_b64 v[0:1], 21, v[0:1]
	v_cmp_gt_i32_e32 vcc_lo, 32, v2
	v_min_i32_e32 v3, 31, v2
	v_cmp_eq_u32_e64 s10, 0, v2
	s_delay_alu instid0(VALU_DEP_2) | instskip(SKIP_1) | instid1(VALU_DEP_2)
	v_dual_cndmask_b32 v1, 0, v1, vcc_lo :: v_dual_lshlrev_b32 v3, 2, v3
	v_cndmask_b32_e32 v0, 3, v0, vcc_lo
	v_and_b32_e32 v3, 0xfc, v3
	s_delay_alu instid0(VALU_DEP_2) | instskip(NEXT) | instid1(VALU_DEP_2)
	v_cmp_eq_u64_e32 vcc_lo, 0, v[0:1]
	v_and_or_b32 v0, v0, 3, v3
	s_and_b32 s10, s10, vcc_lo
	s_delay_alu instid0(VALU_DEP_1) | instid1(SALU_CYCLE_1)
	v_cndmask_b32_e64 v0, v0, 0, s10
	s_delay_alu instid0(VALU_DEP_1)
	v_or_b32_e32 v98, v0, v99
.LBB6_2200:                             ;   in Loop: Header=BB6_130 Depth=2
	s_or_b32 exec_lo, exec_lo, s27
                                        ; implicit-def: $vgpr99
.LBB6_2201:                             ;   in Loop: Header=BB6_130 Depth=2
	s_and_not1_saveexec_b32 s10, s26
; %bb.2202:                             ;   in Loop: Header=BB6_130 Depth=2
	v_or_b32_e32 v98, 0x7b, v99
; %bb.2203:                             ;   in Loop: Header=BB6_130 Depth=2
	s_or_b32 exec_lo, exec_lo, s10
                                        ; implicit-def: $vgpr0
                                        ; implicit-def: $vgpr1
.LBB6_2204:                             ;   in Loop: Header=BB6_130 Depth=2
	s_and_not1_saveexec_b32 s10, s25
	s_cbranch_execz .LBB6_2210
; %bb.2205:                             ;   in Loop: Header=BB6_130 Depth=2
	s_mov_b32 s25, exec_lo
                                        ; implicit-def: $vgpr98
	v_cmpx_ne_u64_e32 0, v[4:5]
	s_xor_b32 s25, exec_lo, s25
; %bb.2206:                             ;   in Loop: Header=BB6_130 Depth=2
	v_or_b32_e32 v98, 0x7f, v1
                                        ; implicit-def: $vgpr0
; %bb.2207:                             ;   in Loop: Header=BB6_130 Depth=2
	s_and_not1_saveexec_b32 s25, s25
; %bb.2208:                             ;   in Loop: Header=BB6_130 Depth=2
	v_cmp_lt_i32_e32 vcc_lo, -1, v0
	v_cndmask_b32_e32 v98, 0xfc, v108, vcc_lo
; %bb.2209:                             ;   in Loop: Header=BB6_130 Depth=2
	s_or_b32 exec_lo, exec_lo, s25
.LBB6_2210:                             ;   in Loop: Header=BB6_130 Depth=2
	s_delay_alu instid0(SALU_CYCLE_1) | instskip(SKIP_4) | instid1(VALU_DEP_3)
	s_or_b32 exec_lo, exec_lo, s10
	v_and_b32_e32 v2, 0xff, v15
	v_dual_mov_b32 v4, v15 :: v_dual_mov_b32 v1, 0
	v_mov_b32_e32 v0, 0
	s_mov_b32 s25, exec_lo
	v_cmpx_ne_u16_e32 0, v2
	s_cbranch_execz .LBB6_2220
; %bb.2211:                             ;   in Loop: Header=BB6_130 Depth=2
	v_bfrev_b32_e32 v0, 1
	s_mov_b32 s26, exec_lo
	v_cmpx_ne_u16_e32 0x80, v2
	s_cbranch_execz .LBB6_2219
; %bb.2212:                             ;   in Loop: Header=BB6_130 Depth=2
	v_and_b32_e32 v0, 0x7c, v15
	v_and_b32_e32 v2, 3, v15
	s_delay_alu instid0(VALU_DEP_2) | instskip(SKIP_1) | instid1(SALU_CYCLE_1)
	v_cmp_ne_u32_e32 vcc_lo, 0x7c, v0
                                        ; implicit-def: $vgpr0
	s_and_saveexec_b32 s10, vcc_lo
	s_xor_b32 s10, exec_lo, s10
	s_cbranch_execz .LBB6_2216
; %bb.2213:                             ;   in Loop: Header=BB6_130 Depth=2
	v_bfe_u32 v0, v15, 2, 5
	s_mov_b32 s27, exec_lo
	s_delay_alu instid0(VALU_DEP_1)
	v_cmpx_eq_u32_e32 0, v0
; %bb.2214:                             ;   in Loop: Header=BB6_130 Depth=2
	v_clz_i32_u32_e32 v0, v2
	s_delay_alu instid0(VALU_DEP_1) | instskip(NEXT) | instid1(VALU_DEP_1)
	v_min_u32_e32 v0, 32, v0
	v_subrev_nc_u32_e32 v2, 29, v0
	s_delay_alu instid0(VALU_DEP_1) | instskip(NEXT) | instid1(VALU_DEP_1)
	v_lshlrev_b64_e32 v[2:3], v2, v[4:5]
	v_dual_sub_nc_u32 v0, 30, v0 :: v_dual_bitop2_b32 v2, 3, v2 bitop3:0x40
; %bb.2215:                             ;   in Loop: Header=BB6_130 Depth=2
	s_or_b32 exec_lo, exec_lo, s27
	v_lshlrev_b32_e32 v3, 24, v15
	s_delay_alu instid0(VALU_DEP_1) | instskip(NEXT) | instid1(VALU_DEP_1)
	v_and_b32_e32 v3, 0x80000000, v3
	v_lshl_add_u32 v0, v0, 23, v3
	s_delay_alu instid0(VALU_DEP_1) | instskip(NEXT) | instid1(VALU_DEP_1)
	v_lshl_or_b32 v0, v2, 21, v0
                                        ; implicit-def: $vgpr2
	v_add_nc_u32_e32 v0, 0x38000000, v0
.LBB6_2216:                             ;   in Loop: Header=BB6_130 Depth=2
	s_and_not1_saveexec_b32 s27, s10
; %bb.2217:                             ;   in Loop: Header=BB6_130 Depth=2
	v_bfe_i32 v0, v15, 0, 8
	v_cmp_eq_u32_e32 vcc_lo, 0, v2
	s_delay_alu instid0(VALU_DEP_2) | instskip(NEXT) | instid1(VALU_DEP_1)
	v_cmp_lt_i16_e64 s10, -1, v0
	v_cndmask_b32_e64 v0, 0xff800000, v109, s10
	s_delay_alu instid0(VALU_DEP_1)
	v_cndmask_b32_e32 v0, 0x7f800001, v0, vcc_lo
; %bb.2218:                             ;   in Loop: Header=BB6_130 Depth=2
	s_or_b32 exec_lo, exec_lo, s27
.LBB6_2219:                             ;   in Loop: Header=BB6_130 Depth=2
	s_delay_alu instid0(SALU_CYCLE_1)
	s_or_b32 exec_lo, exec_lo, s26
.LBB6_2220:                             ;   in Loop: Header=BB6_130 Depth=2
	s_delay_alu instid0(SALU_CYCLE_1) | instskip(SKIP_2) | instid1(VALU_DEP_1)
	s_or_b32 exec_lo, exec_lo, s25
	v_and_b32_e32 v2, 0xff, v11
	s_mov_b32 s25, exec_lo
	v_cmpx_ne_u16_e32 0, v2
	s_cbranch_execz .LBB6_2230
; %bb.2221:                             ;   in Loop: Header=BB6_130 Depth=2
	v_bfrev_b32_e32 v1, 1
	s_mov_b32 s26, exec_lo
	v_cmpx_ne_u16_e32 0x80, v2
	s_cbranch_execz .LBB6_2229
; %bb.2222:                             ;   in Loop: Header=BB6_130 Depth=2
	v_and_b32_e32 v1, 0x7c, v11
	v_and_b32_e32 v2, 3, v11
	s_delay_alu instid0(VALU_DEP_2) | instskip(SKIP_1) | instid1(SALU_CYCLE_1)
	v_cmp_ne_u32_e32 vcc_lo, 0x7c, v1
                                        ; implicit-def: $vgpr1
	s_and_saveexec_b32 s10, vcc_lo
	s_xor_b32 s10, exec_lo, s10
	s_cbranch_execz .LBB6_2226
; %bb.2223:                             ;   in Loop: Header=BB6_130 Depth=2
	v_bfe_u32 v1, v11, 2, 5
	s_mov_b32 s27, exec_lo
	s_delay_alu instid0(VALU_DEP_1)
	v_cmpx_eq_u32_e32 0, v1
; %bb.2224:                             ;   in Loop: Header=BB6_130 Depth=2
	v_clz_i32_u32_e32 v1, v2
	v_dual_mov_b32 v2, v11 :: v_dual_mov_b32 v3, v5
	s_delay_alu instid0(VALU_DEP_2) | instskip(NEXT) | instid1(VALU_DEP_1)
	v_min_u32_e32 v1, 32, v1
	v_subrev_nc_u32_e32 v99, 29, v1
	s_delay_alu instid0(VALU_DEP_1) | instskip(NEXT) | instid1(VALU_DEP_1)
	v_lshlrev_b64_e32 v[2:3], v99, v[2:3]
	v_dual_sub_nc_u32 v1, 30, v1 :: v_dual_bitop2_b32 v2, 3, v2 bitop3:0x40
; %bb.2225:                             ;   in Loop: Header=BB6_130 Depth=2
	s_or_b32 exec_lo, exec_lo, s27
	v_lshlrev_b32_e32 v3, 24, v11
	s_delay_alu instid0(VALU_DEP_1) | instskip(NEXT) | instid1(VALU_DEP_1)
	v_and_b32_e32 v3, 0x80000000, v3
	v_lshl_add_u32 v1, v1, 23, v3
	s_delay_alu instid0(VALU_DEP_1) | instskip(NEXT) | instid1(VALU_DEP_1)
	v_lshl_or_b32 v1, v2, 21, v1
                                        ; implicit-def: $vgpr2
	v_add_nc_u32_e32 v1, 0x38000000, v1
.LBB6_2226:                             ;   in Loop: Header=BB6_130 Depth=2
	s_and_not1_saveexec_b32 s27, s10
; %bb.2227:                             ;   in Loop: Header=BB6_130 Depth=2
	v_bfe_i32 v1, v11, 0, 8
	v_cmp_eq_u32_e32 vcc_lo, 0, v2
	s_delay_alu instid0(VALU_DEP_2) | instskip(NEXT) | instid1(VALU_DEP_1)
	v_cmp_lt_i16_e64 s10, -1, v1
	v_cndmask_b32_e64 v1, 0xff800000, v109, s10
	s_delay_alu instid0(VALU_DEP_1)
	v_cndmask_b32_e32 v1, 0x7f800001, v1, vcc_lo
; %bb.2228:                             ;   in Loop: Header=BB6_130 Depth=2
	s_or_b32 exec_lo, exec_lo, s27
.LBB6_2229:                             ;   in Loop: Header=BB6_130 Depth=2
	s_delay_alu instid0(SALU_CYCLE_1)
	s_or_b32 exec_lo, exec_lo, s26
.LBB6_2230:                             ;   in Loop: Header=BB6_130 Depth=2
	s_delay_alu instid0(SALU_CYCLE_1) | instskip(NEXT) | instid1(VALU_DEP_1)
	s_or_b32 exec_lo, exec_lo, s25
	v_dual_mul_f32 v2, v0, v1 :: v_dual_mov_b32 v101, v5
	v_mov_b32_e32 v1, v5
                                        ; implicit-def: $vgpr99
	s_mov_b32 s10, exec_lo
	s_delay_alu instid0(VALU_DEP_2) | instskip(SKIP_2) | instid1(VALU_DEP_3)
	v_and_b32_e32 v100, 0x7f800000, v2
	v_and_b32_e32 v0, 0x7fffff, v2
	v_lshrrev_b32_e32 v3, 24, v2
	v_cmpx_ne_u64_e32 0x7f800000, v[100:101]
	s_xor_b32 s25, exec_lo, s10
	s_cbranch_execz .LBB6_2244
; %bb.2231:                             ;   in Loop: Header=BB6_130 Depth=2
	v_and_b32_e32 v100, 0x7fffffff, v2
	v_mov_b32_e32 v101, v5
                                        ; implicit-def: $vgpr99
	s_delay_alu instid0(VALU_DEP_1) | instskip(SKIP_2) | instid1(SALU_CYCLE_1)
	v_cmp_gt_u64_e32 vcc_lo, 0x47600001, v[100:101]
	v_and_b32_e32 v100, 0x80, v3
	s_and_saveexec_b32 s10, vcc_lo
	s_xor_b32 s26, exec_lo, s10
	s_cbranch_execz .LBB6_2241
; %bb.2232:                             ;   in Loop: Header=BB6_130 Depth=2
	v_mov_b32_e32 v99, 0
	s_mov_b32 s27, exec_lo
	v_cmpx_ne_u32_e32 0, v2
	s_cbranch_execz .LBB6_2240
; %bb.2233:                             ;   in Loop: Header=BB6_130 Depth=2
	v_bfe_u32 v99, v2, 23, 8
	v_or_b32_e32 v3, 0x800000, v0
	s_delay_alu instid0(VALU_DEP_2) | instskip(SKIP_2) | instid1(VALU_DEP_2)
	v_cmp_gt_u32_e64 s10, 0x72, v99
	v_sub_nc_u32_e32 v2, 0x71, v99
	v_cmp_eq_u32_e32 vcc_lo, 0, v99
	v_dual_cndmask_b32 v2, 0, v2, s10 :: v_dual_cndmask_b32 v0, v3, v0, vcc_lo
	s_delay_alu instid0(VALU_DEP_1) | instskip(NEXT) | instid1(VALU_DEP_1)
	v_cndmask_b32_e64 v101, v2, 0x70, vcc_lo
	v_dual_add_nc_u32 v2, 21, v101 :: v_dual_add_nc_u32 v102, 20, v101
	s_delay_alu instid0(VALU_DEP_1) | instskip(NEXT) | instid1(VALU_DEP_2)
	v_lshlrev_b64_e64 v[2:3], v2, -1
	v_lshlrev_b64_e64 v[102:103], v102, 1
	s_delay_alu instid0(VALU_DEP_2) | instskip(SKIP_1) | instid1(VALU_DEP_4)
	v_bfi_b32 v2, v2, 0, v0
	v_lshrrev_b64 v[0:1], v101, v[0:1]
	v_bfi_b32 v3, v3, 0, 0
	s_delay_alu instid0(VALU_DEP_1) | instskip(NEXT) | instid1(VALU_DEP_3)
	v_cmp_eq_u64_e64 s10, v[2:3], v[102:103]
	v_mov_b64_e32 v[2:3], v[0:1]
	s_and_saveexec_b32 s28, s10
; %bb.2234:                             ;   in Loop: Header=BB6_130 Depth=2
	v_bfe_u32 v2, v0, 21, 1
	v_mov_b32_e32 v3, v5
	s_delay_alu instid0(VALU_DEP_1) | instskip(NEXT) | instid1(VALU_DEP_1)
	v_add_nc_u64_e32 v[2:3], v[0:1], v[2:3]
	v_add_nc_u64_e32 v[2:3], -1, v[2:3]
; %bb.2235:                             ;   in Loop: Header=BB6_130 Depth=2
	s_or_b32 exec_lo, exec_lo, s28
	v_add_nc_u32_e32 v1, 0xffffff81, v99
	v_lshrrev_b32_e32 v3, 23, v0
	s_mov_b32 s10, exec_lo
	s_delay_alu instid0(VALU_DEP_2) | instskip(NEXT) | instid1(VALU_DEP_1)
	v_cndmask_b32_e64 v1, v1, 0xffffff82, vcc_lo
	v_add3_u32 v99, v101, v1, v3
	v_and_b32_e32 v1, 0x1fffff, v2
                                        ; implicit-def: $vgpr2
	s_delay_alu instid0(VALU_DEP_1) | instskip(SKIP_1) | instid1(VALU_DEP_2)
	v_dual_add_nc_u32 v3, 14, v99 :: v_dual_add_nc_u32 v0, v1, v0
	v_mov_b32_e32 v1, v5
	v_cmpx_ne_u32_e32 0, v3
	s_xor_b32 s10, exec_lo, s10
; %bb.2236:                             ;   in Loop: Header=BB6_130 Depth=2
	s_delay_alu instid0(VALU_DEP_2) | instskip(SKIP_1) | instid1(VALU_DEP_1)
	v_cmp_lt_u64_e32 vcc_lo, 0xffffff, v[0:1]
	v_add_nc_u32_e32 v2, 15, v99
	v_cndmask_b32_e32 v2, v3, v2, vcc_lo
	v_cndmask_b32_e64 v3, 0, 1, vcc_lo
	s_delay_alu instid0(VALU_DEP_1)
	v_lshrrev_b64 v[0:1], v3, v[0:1]
; %bb.2237:                             ;   in Loop: Header=BB6_130 Depth=2
	s_and_not1_saveexec_b32 s10, s10
; %bb.2238:                             ;   in Loop: Header=BB6_130 Depth=2
	s_delay_alu instid0(VALU_DEP_1)
	v_bfe_u32 v2, v0, 23, 1
; %bb.2239:                             ;   in Loop: Header=BB6_130 Depth=2
	s_or_b32 exec_lo, exec_lo, s10
	s_delay_alu instid0(VALU_DEP_2) | instskip(NEXT) | instid1(VALU_DEP_2)
	v_lshrrev_b64 v[0:1], 21, v[0:1]
	v_cmp_gt_i32_e32 vcc_lo, 32, v2
	v_min_i32_e32 v3, 31, v2
	v_cmp_eq_u32_e64 s10, 0, v2
	s_delay_alu instid0(VALU_DEP_2) | instskip(SKIP_1) | instid1(VALU_DEP_2)
	v_dual_cndmask_b32 v1, 0, v1, vcc_lo :: v_dual_lshlrev_b32 v3, 2, v3
	v_cndmask_b32_e32 v0, 3, v0, vcc_lo
	v_and_b32_e32 v3, 0xfc, v3
	s_delay_alu instid0(VALU_DEP_2) | instskip(NEXT) | instid1(VALU_DEP_2)
	v_cmp_eq_u64_e32 vcc_lo, 0, v[0:1]
	v_and_or_b32 v0, v0, 3, v3
	s_and_b32 s10, s10, vcc_lo
	s_delay_alu instid0(VALU_DEP_1) | instid1(SALU_CYCLE_1)
	v_cndmask_b32_e64 v0, v0, 0, s10
	s_delay_alu instid0(VALU_DEP_1)
	v_or_b32_e32 v99, v0, v100
.LBB6_2240:                             ;   in Loop: Header=BB6_130 Depth=2
	s_or_b32 exec_lo, exec_lo, s27
                                        ; implicit-def: $vgpr100
.LBB6_2241:                             ;   in Loop: Header=BB6_130 Depth=2
	s_and_not1_saveexec_b32 s10, s26
; %bb.2242:                             ;   in Loop: Header=BB6_130 Depth=2
	v_or_b32_e32 v99, 0x7b, v100
; %bb.2243:                             ;   in Loop: Header=BB6_130 Depth=2
	s_or_b32 exec_lo, exec_lo, s10
                                        ; implicit-def: $vgpr2
                                        ; implicit-def: $vgpr0_vgpr1
                                        ; implicit-def: $vgpr3
.LBB6_2244:                             ;   in Loop: Header=BB6_130 Depth=2
	s_and_not1_saveexec_b32 s10, s25
	s_cbranch_execz .LBB6_2250
; %bb.2245:                             ;   in Loop: Header=BB6_130 Depth=2
	s_mov_b32 s25, exec_lo
                                        ; implicit-def: $vgpr99
	v_cmpx_ne_u64_e32 0, v[0:1]
	s_xor_b32 s25, exec_lo, s25
; %bb.2246:                             ;   in Loop: Header=BB6_130 Depth=2
	v_or_b32_e32 v99, 0x7f, v3
                                        ; implicit-def: $vgpr2
; %bb.2247:                             ;   in Loop: Header=BB6_130 Depth=2
	s_and_not1_saveexec_b32 s25, s25
; %bb.2248:                             ;   in Loop: Header=BB6_130 Depth=2
	v_cmp_lt_i32_e32 vcc_lo, -1, v2
	v_cndmask_b32_e32 v99, 0xfc, v108, vcc_lo
; %bb.2249:                             ;   in Loop: Header=BB6_130 Depth=2
	s_or_b32 exec_lo, exec_lo, s25
.LBB6_2250:                             ;   in Loop: Header=BB6_130 Depth=2
	s_delay_alu instid0(SALU_CYCLE_1) | instskip(SKIP_3) | instid1(VALU_DEP_2)
	s_or_b32 exec_lo, exec_lo, s10
	v_lshrrev_b16 v0, 8, v4
	v_dual_mov_b32 v2, 0 :: v_dual_mov_b32 v3, 0
	s_mov_b32 s25, exec_lo
	v_cmpx_ne_u16_e32 0, v0
	s_cbranch_execz .LBB6_2260
; %bb.2251:                             ;   in Loop: Header=BB6_130 Depth=2
	v_bfrev_b32_e32 v3, 1
	s_mov_b32 s26, exec_lo
	v_cmpx_ne_u16_e32 0x80, v0
	s_cbranch_execz .LBB6_2259
; %bb.2252:                             ;   in Loop: Header=BB6_130 Depth=2
	v_and_b32_e32 v100, 0xffff, v0
	s_delay_alu instid0(VALU_DEP_1) | instskip(SKIP_1) | instid1(VALU_DEP_2)
	v_and_b32_e32 v3, 0x7c, v100
	v_and_b32_e32 v1, 3, v100
	v_cmp_ne_u32_e32 vcc_lo, 0x7c, v3
                                        ; implicit-def: $vgpr3
	s_and_saveexec_b32 s10, vcc_lo
	s_delay_alu instid0(SALU_CYCLE_1)
	s_xor_b32 s10, exec_lo, s10
	s_cbranch_execz .LBB6_2256
; %bb.2253:                             ;   in Loop: Header=BB6_130 Depth=2
	v_bfe_u32 v3, v100, 2, 5
	s_mov_b32 s27, exec_lo
	s_delay_alu instid0(VALU_DEP_1)
	v_cmpx_eq_u32_e32 0, v3
	s_cbranch_execz .LBB6_2255
; %bb.2254:                             ;   in Loop: Header=BB6_130 Depth=2
	v_clz_i32_u32_e32 v1, v1
	s_delay_alu instid0(VALU_DEP_1) | instskip(SKIP_1) | instid1(VALU_DEP_2)
	v_min_u32_e32 v3, 32, v1
	v_mov_b32_e32 v1, v5
	v_subrev_nc_u32_e32 v100, 29, v3
	v_sub_nc_u32_e32 v3, 30, v3
	s_delay_alu instid0(VALU_DEP_2) | instskip(NEXT) | instid1(VALU_DEP_1)
	v_lshlrev_b64_e32 v[0:1], v100, v[0:1]
	v_and_b32_e32 v1, 3, v0
.LBB6_2255:                             ;   in Loop: Header=BB6_130 Depth=2
	s_or_b32 exec_lo, exec_lo, s27
	v_lshlrev_b32_e32 v0, 16, v4
	s_delay_alu instid0(VALU_DEP_1) | instskip(NEXT) | instid1(VALU_DEP_1)
	v_and_b32_e32 v0, 0x80000000, v0
	v_lshl_add_u32 v0, v3, 23, v0
	s_delay_alu instid0(VALU_DEP_1) | instskip(NEXT) | instid1(VALU_DEP_1)
	v_lshl_or_b32 v0, v1, 21, v0
                                        ; implicit-def: $vgpr1
	v_add_nc_u32_e32 v3, 0x38000000, v0
.LBB6_2256:                             ;   in Loop: Header=BB6_130 Depth=2
	s_and_not1_saveexec_b32 s27, s10
; %bb.2257:                             ;   in Loop: Header=BB6_130 Depth=2
	v_cmp_lt_i16_e64 s10, -1, v4
	v_cmp_eq_u32_e32 vcc_lo, 0, v1
	s_delay_alu instid0(VALU_DEP_2) | instskip(NEXT) | instid1(VALU_DEP_1)
	v_cndmask_b32_e64 v0, 0xff800000, v109, s10
	v_cndmask_b32_e32 v3, 0x7f800001, v0, vcc_lo
; %bb.2258:                             ;   in Loop: Header=BB6_130 Depth=2
	s_or_b32 exec_lo, exec_lo, s27
.LBB6_2259:                             ;   in Loop: Header=BB6_130 Depth=2
	s_delay_alu instid0(SALU_CYCLE_1)
	s_or_b32 exec_lo, exec_lo, s26
.LBB6_2260:                             ;   in Loop: Header=BB6_130 Depth=2
	s_delay_alu instid0(SALU_CYCLE_1) | instskip(SKIP_2) | instid1(VALU_DEP_1)
	s_or_b32 exec_lo, exec_lo, s25
	v_lshrrev_b16 v0, 8, v11
	s_mov_b32 s25, exec_lo
	v_cmpx_ne_u16_e32 0, v0
	s_cbranch_execz .LBB6_2270
; %bb.2261:                             ;   in Loop: Header=BB6_130 Depth=2
	v_bfrev_b32_e32 v2, 1
	s_mov_b32 s26, exec_lo
	v_cmpx_ne_u16_e32 0x80, v0
	s_cbranch_execz .LBB6_2269
; %bb.2262:                             ;   in Loop: Header=BB6_130 Depth=2
	v_and_b32_e32 v4, 0xffff, v0
	s_delay_alu instid0(VALU_DEP_1) | instskip(SKIP_1) | instid1(VALU_DEP_2)
	v_and_b32_e32 v2, 0x7c, v4
	v_and_b32_e32 v1, 3, v4
	v_cmp_ne_u32_e32 vcc_lo, 0x7c, v2
                                        ; implicit-def: $vgpr2
	s_and_saveexec_b32 s10, vcc_lo
	s_delay_alu instid0(SALU_CYCLE_1)
	s_xor_b32 s10, exec_lo, s10
	s_cbranch_execz .LBB6_2266
; %bb.2263:                             ;   in Loop: Header=BB6_130 Depth=2
	v_bfe_u32 v2, v4, 2, 5
	s_mov_b32 s27, exec_lo
	s_delay_alu instid0(VALU_DEP_1)
	v_cmpx_eq_u32_e32 0, v2
	s_cbranch_execz .LBB6_2265
; %bb.2264:                             ;   in Loop: Header=BB6_130 Depth=2
	v_clz_i32_u32_e32 v1, v1
	s_delay_alu instid0(VALU_DEP_1) | instskip(SKIP_1) | instid1(VALU_DEP_2)
	v_min_u32_e32 v2, 32, v1
	v_mov_b32_e32 v1, v5
	v_subrev_nc_u32_e32 v4, 29, v2
	v_sub_nc_u32_e32 v2, 30, v2
	s_delay_alu instid0(VALU_DEP_2) | instskip(NEXT) | instid1(VALU_DEP_1)
	v_lshlrev_b64_e32 v[0:1], v4, v[0:1]
	v_and_b32_e32 v1, 3, v0
.LBB6_2265:                             ;   in Loop: Header=BB6_130 Depth=2
	s_or_b32 exec_lo, exec_lo, s27
	v_lshlrev_b32_e32 v0, 16, v11
	s_delay_alu instid0(VALU_DEP_1) | instskip(NEXT) | instid1(VALU_DEP_1)
	v_and_b32_e32 v0, 0x80000000, v0
	v_lshl_add_u32 v0, v2, 23, v0
	s_delay_alu instid0(VALU_DEP_1) | instskip(NEXT) | instid1(VALU_DEP_1)
	v_lshl_or_b32 v0, v1, 21, v0
                                        ; implicit-def: $vgpr1
	v_add_nc_u32_e32 v2, 0x38000000, v0
.LBB6_2266:                             ;   in Loop: Header=BB6_130 Depth=2
	s_and_not1_saveexec_b32 s27, s10
; %bb.2267:                             ;   in Loop: Header=BB6_130 Depth=2
	v_cmp_lt_i16_e64 s10, -1, v11
	v_cmp_eq_u32_e32 vcc_lo, 0, v1
	s_delay_alu instid0(VALU_DEP_2) | instskip(NEXT) | instid1(VALU_DEP_1)
	v_cndmask_b32_e64 v0, 0xff800000, v109, s10
	v_cndmask_b32_e32 v2, 0x7f800001, v0, vcc_lo
; %bb.2268:                             ;   in Loop: Header=BB6_130 Depth=2
	s_or_b32 exec_lo, exec_lo, s27
.LBB6_2269:                             ;   in Loop: Header=BB6_130 Depth=2
	s_delay_alu instid0(SALU_CYCLE_1)
	s_or_b32 exec_lo, exec_lo, s26
.LBB6_2270:                             ;   in Loop: Header=BB6_130 Depth=2
	s_delay_alu instid0(SALU_CYCLE_1) | instskip(NEXT) | instid1(VALU_DEP_1)
	s_or_b32 exec_lo, exec_lo, s25
	v_dual_mul_f32 v0, v3, v2 :: v_dual_mov_b32 v3, v5
                                        ; implicit-def: $vgpr100
	s_mov_b32 s10, exec_lo
	s_delay_alu instid0(VALU_DEP_1) | instskip(SKIP_2) | instid1(VALU_DEP_3)
	v_and_b32_e32 v2, 0x7f800000, v0
	v_and_b32_e32 v4, 0x7fffff, v0
	v_lshrrev_b32_e32 v1, 24, v0
	v_cmpx_ne_u64_e32 0x7f800000, v[2:3]
	s_xor_b32 s25, exec_lo, s10
	s_cbranch_execz .LBB6_2284
; %bb.2271:                             ;   in Loop: Header=BB6_130 Depth=2
	v_and_b32_e32 v2, 0x7fffffff, v0
	v_mov_b32_e32 v3, v5
	v_and_b32_e32 v101, 0x80, v1
                                        ; implicit-def: $vgpr100
	s_mov_b32 s10, exec_lo
	s_delay_alu instid0(VALU_DEP_2)
	v_cmpx_gt_u64_e32 0x47600001, v[2:3]
	s_xor_b32 s26, exec_lo, s10
	s_cbranch_execz .LBB6_2281
; %bb.2272:                             ;   in Loop: Header=BB6_130 Depth=2
	v_mov_b32_e32 v100, 0
	s_mov_b32 s27, exec_lo
	v_cmpx_ne_u32_e32 0, v0
	s_cbranch_execz .LBB6_2280
; %bb.2273:                             ;   in Loop: Header=BB6_130 Depth=2
	v_bfe_u32 v100, v0, 23, 8
	v_or_b32_e32 v1, 0x800000, v4
	s_delay_alu instid0(VALU_DEP_2) | instskip(SKIP_2) | instid1(VALU_DEP_2)
	v_cmp_gt_u32_e64 s10, 0x72, v100
	v_sub_nc_u32_e32 v0, 0x71, v100
	v_cmp_eq_u32_e32 vcc_lo, 0, v100
	v_cndmask_b32_e64 v0, 0, v0, s10
	s_delay_alu instid0(VALU_DEP_1) | instskip(SKIP_1) | instid1(VALU_DEP_2)
	v_cndmask_b32_e64 v102, v0, 0x70, vcc_lo
	v_cndmask_b32_e32 v0, v1, v4, vcc_lo
	v_dual_mov_b32 v1, v5 :: v_dual_add_nc_u32 v2, 21, v102
	v_add_nc_u32_e32 v4, 20, v102
	s_delay_alu instid0(VALU_DEP_2) | instskip(NEXT) | instid1(VALU_DEP_2)
	v_lshlrev_b64_e64 v[2:3], v2, -1
	v_lshlrev_b64_e64 v[112:113], v4, 1
	s_delay_alu instid0(VALU_DEP_2) | instskip(SKIP_1) | instid1(VALU_DEP_4)
	v_bfi_b32 v2, v2, 0, v0
	v_lshrrev_b64 v[0:1], v102, v[0:1]
	v_bfi_b32 v3, v3, 0, 0
	s_delay_alu instid0(VALU_DEP_1) | instskip(NEXT) | instid1(VALU_DEP_3)
	v_cmp_eq_u64_e64 s10, v[2:3], v[112:113]
	v_mov_b64_e32 v[2:3], v[0:1]
	s_and_saveexec_b32 s28, s10
; %bb.2274:                             ;   in Loop: Header=BB6_130 Depth=2
	v_bfe_u32 v2, v0, 21, 1
	v_mov_b32_e32 v3, v5
	s_delay_alu instid0(VALU_DEP_1) | instskip(NEXT) | instid1(VALU_DEP_1)
	v_add_nc_u64_e32 v[2:3], v[0:1], v[2:3]
	v_add_nc_u64_e32 v[2:3], -1, v[2:3]
; %bb.2275:                             ;   in Loop: Header=BB6_130 Depth=2
	s_or_b32 exec_lo, exec_lo, s28
	v_add_nc_u32_e32 v1, 0xffffff81, v100
	v_lshrrev_b32_e32 v3, 23, v0
	s_mov_b32 s10, exec_lo
	s_delay_alu instid0(VALU_DEP_2) | instskip(NEXT) | instid1(VALU_DEP_1)
	v_cndmask_b32_e64 v1, v1, 0xffffff82, vcc_lo
	v_add3_u32 v100, v102, v1, v3
	v_and_b32_e32 v1, 0x1fffff, v2
                                        ; implicit-def: $vgpr2
	s_delay_alu instid0(VALU_DEP_2) | instskip(NEXT) | instid1(VALU_DEP_2)
	v_add_nc_u32_e32 v3, 14, v100
	v_add_nc_u32_e32 v4, v1, v0
                                        ; implicit-def: $vgpr0_vgpr1
	s_delay_alu instid0(VALU_DEP_2)
	v_cmpx_ne_u32_e32 0, v3
	s_xor_b32 s10, exec_lo, s10
; %bb.2276:                             ;   in Loop: Header=BB6_130 Depth=2
	s_delay_alu instid0(VALU_DEP_2) | instskip(SKIP_1) | instid1(VALU_DEP_1)
	v_cmp_lt_u64_e32 vcc_lo, 0xffffff, v[4:5]
	v_add_nc_u32_e32 v0, 15, v100
	v_cndmask_b32_e32 v2, v3, v0, vcc_lo
	v_cndmask_b32_e64 v0, 0, 1, vcc_lo
	s_delay_alu instid0(VALU_DEP_1)
	v_lshrrev_b64 v[0:1], v0, v[4:5]
; %bb.2277:                             ;   in Loop: Header=BB6_130 Depth=2
	s_and_not1_saveexec_b32 s10, s10
; %bb.2278:                             ;   in Loop: Header=BB6_130 Depth=2
	v_mov_b64_e32 v[0:1], v[4:5]
	v_bfe_u32 v2, v4, 23, 1
; %bb.2279:                             ;   in Loop: Header=BB6_130 Depth=2
	s_or_b32 exec_lo, exec_lo, s10
	s_delay_alu instid0(VALU_DEP_2) | instskip(NEXT) | instid1(VALU_DEP_2)
	v_lshrrev_b64 v[0:1], 21, v[0:1]
	v_cmp_gt_i32_e32 vcc_lo, 32, v2
	v_min_i32_e32 v3, 31, v2
	v_cmp_eq_u32_e64 s10, 0, v2
	s_delay_alu instid0(VALU_DEP_2) | instskip(SKIP_1) | instid1(VALU_DEP_2)
	v_dual_cndmask_b32 v1, 0, v1, vcc_lo :: v_dual_lshlrev_b32 v3, 2, v3
	v_cndmask_b32_e32 v0, 3, v0, vcc_lo
	v_and_b32_e32 v3, 0xfc, v3
	s_delay_alu instid0(VALU_DEP_2) | instskip(NEXT) | instid1(VALU_DEP_2)
	v_cmp_eq_u64_e32 vcc_lo, 0, v[0:1]
	v_and_or_b32 v0, v0, 3, v3
	s_and_b32 s10, s10, vcc_lo
	s_delay_alu instid0(VALU_DEP_1) | instid1(SALU_CYCLE_1)
	v_cndmask_b32_e64 v0, v0, 0, s10
	s_delay_alu instid0(VALU_DEP_1)
	v_or_b32_e32 v100, v0, v101
.LBB6_2280:                             ;   in Loop: Header=BB6_130 Depth=2
	s_or_b32 exec_lo, exec_lo, s27
                                        ; implicit-def: $vgpr101
.LBB6_2281:                             ;   in Loop: Header=BB6_130 Depth=2
	s_and_not1_saveexec_b32 s10, s26
; %bb.2282:                             ;   in Loop: Header=BB6_130 Depth=2
	v_or_b32_e32 v100, 0x7b, v101
; %bb.2283:                             ;   in Loop: Header=BB6_130 Depth=2
	s_or_b32 exec_lo, exec_lo, s10
                                        ; implicit-def: $vgpr0
                                        ; implicit-def: $vgpr1
.LBB6_2284:                             ;   in Loop: Header=BB6_130 Depth=2
	s_and_not1_saveexec_b32 s10, s25
	s_cbranch_execz .LBB6_2290
; %bb.2285:                             ;   in Loop: Header=BB6_130 Depth=2
	s_mov_b32 s25, exec_lo
                                        ; implicit-def: $vgpr100
	v_cmpx_ne_u64_e32 0, v[4:5]
	s_xor_b32 s25, exec_lo, s25
; %bb.2286:                             ;   in Loop: Header=BB6_130 Depth=2
	v_or_b32_e32 v100, 0x7f, v1
                                        ; implicit-def: $vgpr0
; %bb.2287:                             ;   in Loop: Header=BB6_130 Depth=2
	s_and_not1_saveexec_b32 s25, s25
; %bb.2288:                             ;   in Loop: Header=BB6_130 Depth=2
	v_cmp_lt_i32_e32 vcc_lo, -1, v0
	v_cndmask_b32_e32 v100, 0xfc, v108, vcc_lo
; %bb.2289:                             ;   in Loop: Header=BB6_130 Depth=2
	s_or_b32 exec_lo, exec_lo, s25
.LBB6_2290:                             ;   in Loop: Header=BB6_130 Depth=2
	s_delay_alu instid0(SALU_CYCLE_1) | instskip(SKIP_3) | instid1(VALU_DEP_2)
	s_or_b32 exec_lo, exec_lo, s10
	v_dual_mov_b32 v1, 0 :: v_dual_lshrrev_b32 v0, 16, v15
	v_mov_b32_e32 v2, 0
	s_mov_b32 s25, exec_lo
	v_and_b32_e32 v3, 0xff, v0
	s_delay_alu instid0(VALU_DEP_1)
	v_cmpx_ne_u16_e32 0, v3
	s_cbranch_execz .LBB6_2300
; %bb.2291:                             ;   in Loop: Header=BB6_130 Depth=2
	v_bfrev_b32_e32 v2, 1
	s_mov_b32 s26, exec_lo
	v_cmpx_ne_u16_e32 0x80, v3
	s_cbranch_execz .LBB6_2299
; %bb.2292:                             ;   in Loop: Header=BB6_130 Depth=2
	v_and_b32_e32 v2, 0x7c0000, v15
	v_bfe_u32 v3, v15, 16, 2
	s_delay_alu instid0(VALU_DEP_2) | instskip(SKIP_1) | instid1(SALU_CYCLE_1)
	v_cmp_ne_u32_e32 vcc_lo, 0x7c0000, v2
                                        ; implicit-def: $vgpr2
	s_and_saveexec_b32 s10, vcc_lo
	s_xor_b32 s10, exec_lo, s10
	s_cbranch_execz .LBB6_2296
; %bb.2293:                             ;   in Loop: Header=BB6_130 Depth=2
	v_bfe_u32 v2, v15, 18, 5
	s_mov_b32 s27, exec_lo
	s_delay_alu instid0(VALU_DEP_1)
	v_cmpx_eq_u32_e32 0, v2
; %bb.2294:                             ;   in Loop: Header=BB6_130 Depth=2
	v_clz_i32_u32_e32 v2, v3
	s_delay_alu instid0(VALU_DEP_1) | instskip(NEXT) | instid1(VALU_DEP_1)
	v_min_u32_e32 v2, 32, v2
	v_subrev_nc_u32_e32 v3, 29, v2
	v_sub_nc_u32_e32 v2, 30, v2
	s_delay_alu instid0(VALU_DEP_2) | instskip(NEXT) | instid1(VALU_DEP_1)
	v_lshlrev_b64_e32 v[102:103], v3, v[0:1]
	v_and_b32_e32 v3, 3, v102
; %bb.2295:                             ;   in Loop: Header=BB6_130 Depth=2
	s_or_b32 exec_lo, exec_lo, s27
	v_lshlrev_b32_e32 v0, 24, v0
	s_delay_alu instid0(VALU_DEP_1) | instskip(NEXT) | instid1(VALU_DEP_1)
	v_and_b32_e32 v0, 0x80000000, v0
	v_lshl_add_u32 v0, v2, 23, v0
	s_delay_alu instid0(VALU_DEP_1) | instskip(NEXT) | instid1(VALU_DEP_1)
	v_lshl_or_b32 v0, v3, 21, v0
                                        ; implicit-def: $vgpr3
	v_add_nc_u32_e32 v2, 0x38000000, v0
                                        ; implicit-def: $vgpr0
.LBB6_2296:                             ;   in Loop: Header=BB6_130 Depth=2
	s_and_not1_saveexec_b32 s27, s10
; %bb.2297:                             ;   in Loop: Header=BB6_130 Depth=2
	v_bfe_i32 v0, v0, 0, 8
	v_cmp_eq_u32_e32 vcc_lo, 0, v3
	s_delay_alu instid0(VALU_DEP_2) | instskip(NEXT) | instid1(VALU_DEP_1)
	v_cmp_lt_i16_e64 s10, -1, v0
	v_cndmask_b32_e64 v0, 0xff800000, v109, s10
	s_delay_alu instid0(VALU_DEP_1)
	v_cndmask_b32_e32 v2, 0x7f800001, v0, vcc_lo
; %bb.2298:                             ;   in Loop: Header=BB6_130 Depth=2
	s_or_b32 exec_lo, exec_lo, s27
.LBB6_2299:                             ;   in Loop: Header=BB6_130 Depth=2
	s_delay_alu instid0(SALU_CYCLE_1)
	s_or_b32 exec_lo, exec_lo, s26
.LBB6_2300:                             ;   in Loop: Header=BB6_130 Depth=2
	s_delay_alu instid0(SALU_CYCLE_1) | instskip(SKIP_2) | instid1(VALU_DEP_1)
	s_or_b32 exec_lo, exec_lo, s25
	v_lshrrev_b32_e32 v0, 16, v11
	s_mov_b32 s25, exec_lo
	v_and_b32_e32 v3, 0xff, v0
	s_delay_alu instid0(VALU_DEP_1)
	v_cmpx_ne_u16_e32 0, v3
	s_cbranch_execz .LBB6_2310
; %bb.2301:                             ;   in Loop: Header=BB6_130 Depth=2
	v_bfrev_b32_e32 v1, 1
	s_mov_b32 s26, exec_lo
	v_cmpx_ne_u16_e32 0x80, v3
	s_cbranch_execz .LBB6_2309
; %bb.2302:                             ;   in Loop: Header=BB6_130 Depth=2
	v_and_b32_e32 v1, 0x7c0000, v11
	v_bfe_u32 v3, v11, 16, 2
	s_delay_alu instid0(VALU_DEP_2) | instskip(SKIP_1) | instid1(SALU_CYCLE_1)
	v_cmp_ne_u32_e32 vcc_lo, 0x7c0000, v1
                                        ; implicit-def: $vgpr1
	s_and_saveexec_b32 s10, vcc_lo
	s_xor_b32 s10, exec_lo, s10
	s_cbranch_execz .LBB6_2306
; %bb.2303:                             ;   in Loop: Header=BB6_130 Depth=2
	v_bfe_u32 v1, v11, 18, 5
	s_mov_b32 s27, exec_lo
	s_delay_alu instid0(VALU_DEP_1)
	v_cmpx_eq_u32_e32 0, v1
; %bb.2304:                             ;   in Loop: Header=BB6_130 Depth=2
	v_clz_i32_u32_e32 v1, v3
	s_delay_alu instid0(VALU_DEP_1) | instskip(NEXT) | instid1(VALU_DEP_1)
	v_min_u32_e32 v1, 32, v1
	v_subrev_nc_u32_e32 v3, 29, v1
	s_delay_alu instid0(VALU_DEP_1) | instskip(NEXT) | instid1(VALU_DEP_1)
	v_lshlrev_b64_e32 v[102:103], v3, v[0:1]
	v_dual_sub_nc_u32 v1, 30, v1 :: v_dual_bitop2_b32 v3, 3, v102 bitop3:0x40
; %bb.2305:                             ;   in Loop: Header=BB6_130 Depth=2
	s_or_b32 exec_lo, exec_lo, s27
	v_lshlrev_b32_e32 v0, 24, v0
	s_delay_alu instid0(VALU_DEP_1) | instskip(NEXT) | instid1(VALU_DEP_1)
	v_and_b32_e32 v0, 0x80000000, v0
	v_lshl_add_u32 v0, v1, 23, v0
	s_delay_alu instid0(VALU_DEP_1) | instskip(NEXT) | instid1(VALU_DEP_1)
	v_lshl_or_b32 v0, v3, 21, v0
                                        ; implicit-def: $vgpr3
	v_add_nc_u32_e32 v1, 0x38000000, v0
                                        ; implicit-def: $vgpr0
.LBB6_2306:                             ;   in Loop: Header=BB6_130 Depth=2
	s_and_not1_saveexec_b32 s27, s10
; %bb.2307:                             ;   in Loop: Header=BB6_130 Depth=2
	v_bfe_i32 v0, v0, 0, 8
	v_cmp_eq_u32_e32 vcc_lo, 0, v3
	s_delay_alu instid0(VALU_DEP_2) | instskip(NEXT) | instid1(VALU_DEP_1)
	v_cmp_lt_i16_e64 s10, -1, v0
	v_cndmask_b32_e64 v0, 0xff800000, v109, s10
	s_delay_alu instid0(VALU_DEP_1)
	v_cndmask_b32_e32 v1, 0x7f800001, v0, vcc_lo
; %bb.2308:                             ;   in Loop: Header=BB6_130 Depth=2
	s_or_b32 exec_lo, exec_lo, s27
.LBB6_2309:                             ;   in Loop: Header=BB6_130 Depth=2
	s_delay_alu instid0(SALU_CYCLE_1)
	s_or_b32 exec_lo, exec_lo, s26
.LBB6_2310:                             ;   in Loop: Header=BB6_130 Depth=2
	s_delay_alu instid0(SALU_CYCLE_1) | instskip(NEXT) | instid1(VALU_DEP_1)
	s_or_b32 exec_lo, exec_lo, s25
	v_dual_mul_f32 v0, v2, v1 :: v_dual_mov_b32 v3, v5
                                        ; implicit-def: $vgpr101
	s_mov_b32 s10, exec_lo
	s_delay_alu instid0(VALU_DEP_1) | instskip(SKIP_2) | instid1(VALU_DEP_3)
	v_and_b32_e32 v2, 0x7f800000, v0
	v_and_b32_e32 v4, 0x7fffff, v0
	v_lshrrev_b32_e32 v1, 24, v0
	v_cmpx_ne_u64_e32 0x7f800000, v[2:3]
	s_xor_b32 s25, exec_lo, s10
	s_cbranch_execz .LBB6_2324
; %bb.2311:                             ;   in Loop: Header=BB6_130 Depth=2
	v_and_b32_e32 v2, 0x7fffffff, v0
	v_mov_b32_e32 v3, v5
	v_and_b32_e32 v102, 0x80, v1
                                        ; implicit-def: $vgpr101
	s_mov_b32 s10, exec_lo
	s_delay_alu instid0(VALU_DEP_2)
	v_cmpx_gt_u64_e32 0x47600001, v[2:3]
	s_xor_b32 s26, exec_lo, s10
	s_cbranch_execz .LBB6_2321
; %bb.2312:                             ;   in Loop: Header=BB6_130 Depth=2
	v_mov_b32_e32 v101, 0
	s_mov_b32 s27, exec_lo
	v_cmpx_ne_u32_e32 0, v0
	s_cbranch_execz .LBB6_2320
; %bb.2313:                             ;   in Loop: Header=BB6_130 Depth=2
	v_bfe_u32 v101, v0, 23, 8
	v_or_b32_e32 v1, 0x800000, v4
	s_delay_alu instid0(VALU_DEP_2) | instskip(SKIP_2) | instid1(VALU_DEP_2)
	v_cmp_gt_u32_e64 s10, 0x72, v101
	v_sub_nc_u32_e32 v0, 0x71, v101
	v_cmp_eq_u32_e32 vcc_lo, 0, v101
	v_cndmask_b32_e64 v0, 0, v0, s10
	s_delay_alu instid0(VALU_DEP_1) | instskip(SKIP_1) | instid1(VALU_DEP_2)
	v_cndmask_b32_e64 v103, v0, 0x70, vcc_lo
	v_cndmask_b32_e32 v0, v1, v4, vcc_lo
	v_dual_mov_b32 v1, v5 :: v_dual_add_nc_u32 v2, 21, v103
	v_add_nc_u32_e32 v4, 20, v103
	s_delay_alu instid0(VALU_DEP_2) | instskip(NEXT) | instid1(VALU_DEP_2)
	v_lshlrev_b64_e64 v[2:3], v2, -1
	v_lshlrev_b64_e64 v[112:113], v4, 1
	s_delay_alu instid0(VALU_DEP_2) | instskip(SKIP_1) | instid1(VALU_DEP_4)
	v_bfi_b32 v2, v2, 0, v0
	v_lshrrev_b64 v[0:1], v103, v[0:1]
	v_bfi_b32 v3, v3, 0, 0
	s_delay_alu instid0(VALU_DEP_1) | instskip(NEXT) | instid1(VALU_DEP_3)
	v_cmp_eq_u64_e64 s10, v[2:3], v[112:113]
	v_mov_b64_e32 v[2:3], v[0:1]
	s_and_saveexec_b32 s28, s10
; %bb.2314:                             ;   in Loop: Header=BB6_130 Depth=2
	v_bfe_u32 v2, v0, 21, 1
	v_mov_b32_e32 v3, v5
	s_delay_alu instid0(VALU_DEP_1) | instskip(NEXT) | instid1(VALU_DEP_1)
	v_add_nc_u64_e32 v[2:3], v[0:1], v[2:3]
	v_add_nc_u64_e32 v[2:3], -1, v[2:3]
; %bb.2315:                             ;   in Loop: Header=BB6_130 Depth=2
	s_or_b32 exec_lo, exec_lo, s28
	v_add_nc_u32_e32 v1, 0xffffff81, v101
	v_lshrrev_b32_e32 v3, 23, v0
	s_mov_b32 s10, exec_lo
	s_delay_alu instid0(VALU_DEP_2) | instskip(NEXT) | instid1(VALU_DEP_1)
	v_cndmask_b32_e64 v1, v1, 0xffffff82, vcc_lo
	v_add3_u32 v101, v103, v1, v3
	v_and_b32_e32 v1, 0x1fffff, v2
                                        ; implicit-def: $vgpr2
	s_delay_alu instid0(VALU_DEP_1) | instskip(NEXT) | instid1(VALU_DEP_1)
	v_dual_add_nc_u32 v3, 14, v101 :: v_dual_add_nc_u32 v4, v1, v0
                                        ; implicit-def: $vgpr0_vgpr1
	v_cmpx_ne_u32_e32 0, v3
	s_xor_b32 s10, exec_lo, s10
; %bb.2316:                             ;   in Loop: Header=BB6_130 Depth=2
	s_delay_alu instid0(VALU_DEP_2) | instskip(SKIP_1) | instid1(VALU_DEP_1)
	v_cmp_lt_u64_e32 vcc_lo, 0xffffff, v[4:5]
	v_add_nc_u32_e32 v0, 15, v101
	v_cndmask_b32_e32 v2, v3, v0, vcc_lo
	v_cndmask_b32_e64 v0, 0, 1, vcc_lo
	s_delay_alu instid0(VALU_DEP_1)
	v_lshrrev_b64 v[0:1], v0, v[4:5]
; %bb.2317:                             ;   in Loop: Header=BB6_130 Depth=2
	s_and_not1_saveexec_b32 s10, s10
; %bb.2318:                             ;   in Loop: Header=BB6_130 Depth=2
	v_mov_b64_e32 v[0:1], v[4:5]
	v_bfe_u32 v2, v4, 23, 1
; %bb.2319:                             ;   in Loop: Header=BB6_130 Depth=2
	s_or_b32 exec_lo, exec_lo, s10
	s_delay_alu instid0(VALU_DEP_2) | instskip(NEXT) | instid1(VALU_DEP_2)
	v_lshrrev_b64 v[0:1], 21, v[0:1]
	v_cmp_gt_i32_e32 vcc_lo, 32, v2
	v_min_i32_e32 v3, 31, v2
	v_cmp_eq_u32_e64 s10, 0, v2
	s_delay_alu instid0(VALU_DEP_2) | instskip(SKIP_1) | instid1(VALU_DEP_2)
	v_dual_cndmask_b32 v1, 0, v1, vcc_lo :: v_dual_lshlrev_b32 v3, 2, v3
	v_cndmask_b32_e32 v0, 3, v0, vcc_lo
	v_and_b32_e32 v3, 0xfc, v3
	s_delay_alu instid0(VALU_DEP_2) | instskip(NEXT) | instid1(VALU_DEP_2)
	v_cmp_eq_u64_e32 vcc_lo, 0, v[0:1]
	v_and_or_b32 v0, v0, 3, v3
	s_and_b32 s10, s10, vcc_lo
	s_delay_alu instid0(VALU_DEP_1) | instid1(SALU_CYCLE_1)
	v_cndmask_b32_e64 v0, v0, 0, s10
	s_delay_alu instid0(VALU_DEP_1)
	v_or_b32_e32 v101, v0, v102
.LBB6_2320:                             ;   in Loop: Header=BB6_130 Depth=2
	s_or_b32 exec_lo, exec_lo, s27
                                        ; implicit-def: $vgpr102
.LBB6_2321:                             ;   in Loop: Header=BB6_130 Depth=2
	s_and_not1_saveexec_b32 s10, s26
; %bb.2322:                             ;   in Loop: Header=BB6_130 Depth=2
	v_or_b32_e32 v101, 0x7b, v102
; %bb.2323:                             ;   in Loop: Header=BB6_130 Depth=2
	s_or_b32 exec_lo, exec_lo, s10
                                        ; implicit-def: $vgpr0
                                        ; implicit-def: $vgpr1
.LBB6_2324:                             ;   in Loop: Header=BB6_130 Depth=2
	s_and_not1_saveexec_b32 s10, s25
	s_cbranch_execz .LBB6_2330
; %bb.2325:                             ;   in Loop: Header=BB6_130 Depth=2
	s_mov_b32 s25, exec_lo
                                        ; implicit-def: $vgpr101
	v_cmpx_ne_u64_e32 0, v[4:5]
	s_xor_b32 s25, exec_lo, s25
; %bb.2326:                             ;   in Loop: Header=BB6_130 Depth=2
	v_or_b32_e32 v101, 0x7f, v1
                                        ; implicit-def: $vgpr0
; %bb.2327:                             ;   in Loop: Header=BB6_130 Depth=2
	s_and_not1_saveexec_b32 s25, s25
; %bb.2328:                             ;   in Loop: Header=BB6_130 Depth=2
	v_cmp_lt_i32_e32 vcc_lo, -1, v0
	v_cndmask_b32_e32 v101, 0xfc, v108, vcc_lo
; %bb.2329:                             ;   in Loop: Header=BB6_130 Depth=2
	s_or_b32 exec_lo, exec_lo, s25
.LBB6_2330:                             ;   in Loop: Header=BB6_130 Depth=2
	s_delay_alu instid0(SALU_CYCLE_1)
	s_or_b32 exec_lo, exec_lo, s10
	v_dual_mov_b32 v1, 0 :: v_dual_mov_b32 v2, 0
	s_mov_b32 s25, exec_lo
	v_cmpx_lt_u64_e64 s[12:13], v[14:15]
	s_cbranch_execz .LBB6_2340
; %bb.2331:                             ;   in Loop: Header=BB6_130 Depth=2
	v_lshrrev_b32_e32 v0, 24, v15
	v_bfrev_b32_e32 v2, 1
	s_mov_b32 s26, exec_lo
	s_delay_alu instid0(VALU_DEP_2)
	v_cmpx_ne_u32_e32 0x80, v0
	s_cbranch_execz .LBB6_2339
; %bb.2332:                             ;   in Loop: Header=BB6_130 Depth=2
	v_and_b32_e32 v2, 0x7c000000, v15
	v_bfe_u32 v3, v15, 24, 2
	s_delay_alu instid0(VALU_DEP_2) | instskip(SKIP_1) | instid1(SALU_CYCLE_1)
	v_cmp_ne_u32_e32 vcc_lo, 0x7c000000, v2
                                        ; implicit-def: $vgpr2
	s_and_saveexec_b32 s10, vcc_lo
	s_xor_b32 s10, exec_lo, s10
	s_cbranch_execz .LBB6_2336
; %bb.2333:                             ;   in Loop: Header=BB6_130 Depth=2
	v_bfe_u32 v2, v15, 26, 5
	s_mov_b32 s27, exec_lo
	s_delay_alu instid0(VALU_DEP_1)
	v_cmpx_eq_u32_e32 0, v2
; %bb.2334:                             ;   in Loop: Header=BB6_130 Depth=2
	v_clz_i32_u32_e32 v2, v3
	s_delay_alu instid0(VALU_DEP_1) | instskip(NEXT) | instid1(VALU_DEP_1)
	v_min_u32_e32 v2, 32, v2
	v_subrev_nc_u32_e32 v3, 29, v2
	v_sub_nc_u32_e32 v2, 30, v2
	s_delay_alu instid0(VALU_DEP_2) | instskip(NEXT) | instid1(VALU_DEP_1)
	v_lshlrev_b64_e32 v[102:103], v3, v[0:1]
	v_and_b32_e32 v3, 3, v102
; %bb.2335:                             ;   in Loop: Header=BB6_130 Depth=2
	s_or_b32 exec_lo, exec_lo, s27
	v_and_b32_e32 v0, 0x80000000, v15
	s_delay_alu instid0(VALU_DEP_1) | instskip(NEXT) | instid1(VALU_DEP_1)
	v_lshl_add_u32 v0, v2, 23, v0
	v_lshl_or_b32 v0, v3, 21, v0
                                        ; implicit-def: $vgpr3
	s_delay_alu instid0(VALU_DEP_1)
	v_add_nc_u32_e32 v2, 0x38000000, v0
.LBB6_2336:                             ;   in Loop: Header=BB6_130 Depth=2
	s_and_not1_saveexec_b32 s27, s10
; %bb.2337:                             ;   in Loop: Header=BB6_130 Depth=2
	v_cmp_lt_i64_e64 s10, -1, v[14:15]
	v_cmp_eq_u32_e32 vcc_lo, 0, v3
	s_delay_alu instid0(VALU_DEP_2) | instskip(NEXT) | instid1(VALU_DEP_1)
	v_cndmask_b32_e64 v0, 0xff800000, v109, s10
	v_cndmask_b32_e32 v2, 0x7f800001, v0, vcc_lo
; %bb.2338:                             ;   in Loop: Header=BB6_130 Depth=2
	s_or_b32 exec_lo, exec_lo, s27
.LBB6_2339:                             ;   in Loop: Header=BB6_130 Depth=2
	s_delay_alu instid0(SALU_CYCLE_1)
	s_or_b32 exec_lo, exec_lo, s26
.LBB6_2340:                             ;   in Loop: Header=BB6_130 Depth=2
	s_delay_alu instid0(SALU_CYCLE_1) | instskip(NEXT) | instid1(SALU_CYCLE_1)
	s_or_b32 exec_lo, exec_lo, s25
	s_mov_b32 s25, exec_lo
	v_cmpx_lt_u64_e64 s[12:13], v[10:11]
	s_cbranch_execz .LBB6_2350
; %bb.2341:                             ;   in Loop: Header=BB6_130 Depth=2
	v_lshrrev_b32_e32 v0, 24, v11
	v_bfrev_b32_e32 v1, 1
	s_mov_b32 s26, exec_lo
	s_delay_alu instid0(VALU_DEP_2)
	v_cmpx_ne_u32_e32 0x80, v0
	s_cbranch_execz .LBB6_2349
; %bb.2342:                             ;   in Loop: Header=BB6_130 Depth=2
	v_and_b32_e32 v1, 0x7c000000, v11
	v_bfe_u32 v3, v11, 24, 2
	s_delay_alu instid0(VALU_DEP_2) | instskip(SKIP_1) | instid1(SALU_CYCLE_1)
	v_cmp_ne_u32_e32 vcc_lo, 0x7c000000, v1
                                        ; implicit-def: $vgpr1
	s_and_saveexec_b32 s10, vcc_lo
	s_xor_b32 s10, exec_lo, s10
	s_cbranch_execz .LBB6_2346
; %bb.2343:                             ;   in Loop: Header=BB6_130 Depth=2
	v_bfe_u32 v1, v11, 26, 5
	s_mov_b32 s27, exec_lo
	s_delay_alu instid0(VALU_DEP_1)
	v_cmpx_eq_u32_e32 0, v1
; %bb.2344:                             ;   in Loop: Header=BB6_130 Depth=2
	v_clz_i32_u32_e32 v1, v3
	s_delay_alu instid0(VALU_DEP_1) | instskip(NEXT) | instid1(VALU_DEP_1)
	v_min_u32_e32 v3, 32, v1
	v_subrev_nc_u32_e32 v1, 29, v3
	s_delay_alu instid0(VALU_DEP_1) | instskip(NEXT) | instid1(VALU_DEP_1)
	v_lshlrev_b64_e32 v[0:1], v1, v[0:1]
	v_dual_sub_nc_u32 v1, 30, v3 :: v_dual_bitop2_b32 v3, 3, v0 bitop3:0x40
; %bb.2345:                             ;   in Loop: Header=BB6_130 Depth=2
	s_or_b32 exec_lo, exec_lo, s27
	v_and_b32_e32 v0, 0x80000000, v11
	s_delay_alu instid0(VALU_DEP_1) | instskip(NEXT) | instid1(VALU_DEP_1)
	v_lshl_add_u32 v0, v1, 23, v0
	v_lshl_or_b32 v0, v3, 21, v0
                                        ; implicit-def: $vgpr3
	s_delay_alu instid0(VALU_DEP_1)
	v_add_nc_u32_e32 v1, 0x38000000, v0
.LBB6_2346:                             ;   in Loop: Header=BB6_130 Depth=2
	s_and_not1_saveexec_b32 s27, s10
; %bb.2347:                             ;   in Loop: Header=BB6_130 Depth=2
	v_cmp_lt_i64_e64 s10, -1, v[10:11]
	v_cmp_eq_u32_e32 vcc_lo, 0, v3
	s_delay_alu instid0(VALU_DEP_2) | instskip(NEXT) | instid1(VALU_DEP_1)
	v_cndmask_b32_e64 v0, 0xff800000, v109, s10
	v_cndmask_b32_e32 v1, 0x7f800001, v0, vcc_lo
; %bb.2348:                             ;   in Loop: Header=BB6_130 Depth=2
	s_or_b32 exec_lo, exec_lo, s27
.LBB6_2349:                             ;   in Loop: Header=BB6_130 Depth=2
	s_delay_alu instid0(SALU_CYCLE_1)
	s_or_b32 exec_lo, exec_lo, s26
.LBB6_2350:                             ;   in Loop: Header=BB6_130 Depth=2
	s_delay_alu instid0(SALU_CYCLE_1) | instskip(NEXT) | instid1(VALU_DEP_1)
	s_or_b32 exec_lo, exec_lo, s25
	v_dual_mul_f32 v0, v2, v1 :: v_dual_mov_b32 v3, v5
                                        ; implicit-def: $vgpr10
	s_mov_b32 s10, exec_lo
	s_delay_alu instid0(VALU_DEP_1) | instskip(SKIP_2) | instid1(VALU_DEP_3)
	v_and_b32_e32 v2, 0x7f800000, v0
	v_and_b32_e32 v4, 0x7fffff, v0
	v_lshrrev_b32_e32 v1, 24, v0
	v_cmpx_ne_u64_e32 0x7f800000, v[2:3]
	s_xor_b32 s25, exec_lo, s10
	s_cbranch_execz .LBB6_2364
; %bb.2351:                             ;   in Loop: Header=BB6_130 Depth=2
	v_and_b32_e32 v2, 0x7fffffff, v0
	v_mov_b32_e32 v3, v5
	v_and_b32_e32 v11, 0x80, v1
                                        ; implicit-def: $vgpr10
	s_mov_b32 s10, exec_lo
	s_delay_alu instid0(VALU_DEP_2)
	v_cmpx_gt_u64_e32 0x47600001, v[2:3]
	s_xor_b32 s26, exec_lo, s10
	s_cbranch_execz .LBB6_2361
; %bb.2352:                             ;   in Loop: Header=BB6_130 Depth=2
	v_mov_b32_e32 v10, 0
	s_mov_b32 s27, exec_lo
	v_cmpx_ne_u32_e32 0, v0
	s_cbranch_execz .LBB6_2360
; %bb.2353:                             ;   in Loop: Header=BB6_130 Depth=2
	v_bfe_u32 v10, v0, 23, 8
	v_or_b32_e32 v1, 0x800000, v4
	s_delay_alu instid0(VALU_DEP_2) | instskip(SKIP_2) | instid1(VALU_DEP_2)
	v_cmp_gt_u32_e64 s10, 0x72, v10
	v_sub_nc_u32_e32 v0, 0x71, v10
	v_cmp_eq_u32_e32 vcc_lo, 0, v10
	v_cndmask_b32_e64 v0, 0, v0, s10
	s_delay_alu instid0(VALU_DEP_1) | instskip(SKIP_1) | instid1(VALU_DEP_2)
	v_cndmask_b32_e64 v14, v0, 0x70, vcc_lo
	v_cndmask_b32_e32 v0, v1, v4, vcc_lo
	v_dual_mov_b32 v1, v5 :: v_dual_add_nc_u32 v2, 21, v14
	v_add_nc_u32_e32 v4, 20, v14
	s_delay_alu instid0(VALU_DEP_2) | instskip(NEXT) | instid1(VALU_DEP_2)
	v_lshlrev_b64_e64 v[2:3], v2, -1
	v_lshlrev_b64_e64 v[102:103], v4, 1
	s_delay_alu instid0(VALU_DEP_2) | instskip(SKIP_1) | instid1(VALU_DEP_4)
	v_bfi_b32 v2, v2, 0, v0
	v_lshrrev_b64 v[0:1], v14, v[0:1]
	v_bfi_b32 v3, v3, 0, 0
	s_delay_alu instid0(VALU_DEP_1) | instskip(NEXT) | instid1(VALU_DEP_3)
	v_cmp_eq_u64_e64 s10, v[2:3], v[102:103]
	v_mov_b64_e32 v[2:3], v[0:1]
	s_and_saveexec_b32 s28, s10
; %bb.2354:                             ;   in Loop: Header=BB6_130 Depth=2
	v_bfe_u32 v2, v0, 21, 1
	v_mov_b32_e32 v3, v5
	s_delay_alu instid0(VALU_DEP_1) | instskip(NEXT) | instid1(VALU_DEP_1)
	v_add_nc_u64_e32 v[2:3], v[0:1], v[2:3]
	v_add_nc_u64_e32 v[2:3], -1, v[2:3]
; %bb.2355:                             ;   in Loop: Header=BB6_130 Depth=2
	s_or_b32 exec_lo, exec_lo, s28
	v_add_nc_u32_e32 v1, 0xffffff81, v10
	v_lshrrev_b32_e32 v3, 23, v0
	s_mov_b32 s10, exec_lo
	s_delay_alu instid0(VALU_DEP_2) | instskip(NEXT) | instid1(VALU_DEP_1)
	v_cndmask_b32_e64 v1, v1, 0xffffff82, vcc_lo
	v_add3_u32 v10, v14, v1, v3
	v_and_b32_e32 v1, 0x1fffff, v2
                                        ; implicit-def: $vgpr2
	s_delay_alu instid0(VALU_DEP_1) | instskip(NEXT) | instid1(VALU_DEP_1)
	v_dual_add_nc_u32 v3, 14, v10 :: v_dual_add_nc_u32 v4, v1, v0
                                        ; implicit-def: $vgpr0_vgpr1
	v_cmpx_ne_u32_e32 0, v3
	s_xor_b32 s10, exec_lo, s10
; %bb.2356:                             ;   in Loop: Header=BB6_130 Depth=2
	s_delay_alu instid0(VALU_DEP_2) | instskip(SKIP_1) | instid1(VALU_DEP_1)
	v_cmp_lt_u64_e32 vcc_lo, 0xffffff, v[4:5]
	v_add_nc_u32_e32 v0, 15, v10
	v_cndmask_b32_e32 v2, v3, v0, vcc_lo
	v_cndmask_b32_e64 v0, 0, 1, vcc_lo
	s_delay_alu instid0(VALU_DEP_1)
	v_lshrrev_b64 v[0:1], v0, v[4:5]
; %bb.2357:                             ;   in Loop: Header=BB6_130 Depth=2
	s_and_not1_saveexec_b32 s10, s10
; %bb.2358:                             ;   in Loop: Header=BB6_130 Depth=2
	v_mov_b64_e32 v[0:1], v[4:5]
	v_bfe_u32 v2, v4, 23, 1
; %bb.2359:                             ;   in Loop: Header=BB6_130 Depth=2
	s_or_b32 exec_lo, exec_lo, s10
	s_delay_alu instid0(VALU_DEP_2) | instskip(NEXT) | instid1(VALU_DEP_2)
	v_lshrrev_b64 v[0:1], 21, v[0:1]
	v_cmp_gt_i32_e32 vcc_lo, 32, v2
	v_min_i32_e32 v3, 31, v2
	v_cmp_eq_u32_e64 s10, 0, v2
	s_delay_alu instid0(VALU_DEP_2) | instskip(SKIP_1) | instid1(VALU_DEP_2)
	v_dual_cndmask_b32 v1, 0, v1, vcc_lo :: v_dual_lshlrev_b32 v3, 2, v3
	v_cndmask_b32_e32 v0, 3, v0, vcc_lo
	v_and_b32_e32 v3, 0xfc, v3
	s_delay_alu instid0(VALU_DEP_2) | instskip(NEXT) | instid1(VALU_DEP_2)
	v_cmp_eq_u64_e32 vcc_lo, 0, v[0:1]
	v_and_or_b32 v0, v0, 3, v3
	s_and_b32 s10, s10, vcc_lo
	s_delay_alu instid0(VALU_DEP_1) | instid1(SALU_CYCLE_1)
	v_cndmask_b32_e64 v0, v0, 0, s10
	s_delay_alu instid0(VALU_DEP_1)
	v_or_b32_e32 v10, v0, v11
.LBB6_2360:                             ;   in Loop: Header=BB6_130 Depth=2
	s_or_b32 exec_lo, exec_lo, s27
                                        ; implicit-def: $vgpr11
.LBB6_2361:                             ;   in Loop: Header=BB6_130 Depth=2
	s_and_not1_saveexec_b32 s10, s26
; %bb.2362:                             ;   in Loop: Header=BB6_130 Depth=2
	v_or_b32_e32 v10, 0x7b, v11
; %bb.2363:                             ;   in Loop: Header=BB6_130 Depth=2
	s_or_b32 exec_lo, exec_lo, s10
                                        ; implicit-def: $vgpr0
                                        ; implicit-def: $vgpr1
.LBB6_2364:                             ;   in Loop: Header=BB6_130 Depth=2
	s_and_not1_saveexec_b32 s10, s25
	s_cbranch_execz .LBB6_2370
; %bb.2365:                             ;   in Loop: Header=BB6_130 Depth=2
	s_mov_b32 s25, exec_lo
                                        ; implicit-def: $vgpr10
	v_cmpx_ne_u64_e32 0, v[4:5]
	s_xor_b32 s25, exec_lo, s25
; %bb.2366:                             ;   in Loop: Header=BB6_130 Depth=2
	v_or_b32_e32 v10, 0x7f, v1
                                        ; implicit-def: $vgpr0
; %bb.2367:                             ;   in Loop: Header=BB6_130 Depth=2
	s_and_not1_saveexec_b32 s25, s25
; %bb.2368:                             ;   in Loop: Header=BB6_130 Depth=2
	v_cmp_lt_i32_e32 vcc_lo, -1, v0
	v_cndmask_b32_e32 v10, 0xfc, v108, vcc_lo
; %bb.2369:                             ;   in Loop: Header=BB6_130 Depth=2
	s_or_b32 exec_lo, exec_lo, s25
.LBB6_2370:                             ;   in Loop: Header=BB6_130 Depth=2
	s_delay_alu instid0(SALU_CYCLE_1) | instskip(SKIP_2) | instid1(VALU_DEP_2)
	s_or_b32 exec_lo, exec_lo, s10
	v_and_b32_e32 v1, 0xff, v16
	v_mov_b32_e32 v0, 0
	v_cmp_ne_u16_e32 vcc_lo, 0, v1
	v_mov_b32_e32 v1, 0
	s_and_saveexec_b32 s25, vcc_lo
	s_cbranch_execz .LBB6_2380
; %bb.2371:                             ;   in Loop: Header=BB6_130 Depth=2
	v_bfe_i32 v3, v16, 0, 8
	v_bfrev_b32_e32 v1, 1
	s_mov_b32 s26, exec_lo
	s_delay_alu instid0(VALU_DEP_2)
	v_cmpx_ne_u16_e32 0xff80, v3
	s_cbranch_execz .LBB6_2379
; %bb.2372:                             ;   in Loop: Header=BB6_130 Depth=2
	v_and_b32_e32 v1, 0x7c, v16
	v_and_b32_e32 v2, 3, v16
	s_delay_alu instid0(VALU_DEP_2) | instskip(SKIP_1) | instid1(SALU_CYCLE_1)
	v_cmp_ne_u32_e32 vcc_lo, 0x7c, v1
                                        ; implicit-def: $vgpr1
	s_and_saveexec_b32 s10, vcc_lo
	s_xor_b32 s10, exec_lo, s10
	s_cbranch_execz .LBB6_2376
; %bb.2373:                             ;   in Loop: Header=BB6_130 Depth=2
	v_bfe_u32 v1, v16, 2, 5
	s_mov_b32 s27, exec_lo
	s_delay_alu instid0(VALU_DEP_1)
	v_cmpx_eq_u32_e32 0, v1
; %bb.2374:                             ;   in Loop: Header=BB6_130 Depth=2
	v_clz_i32_u32_e32 v1, v2
	s_delay_alu instid0(VALU_DEP_1) | instskip(NEXT) | instid1(VALU_DEP_1)
	v_min_u32_e32 v1, 32, v1
	v_subrev_nc_u32_e32 v2, 29, v1
	s_delay_alu instid0(VALU_DEP_1) | instskip(NEXT) | instid1(VALU_DEP_1)
	v_lshlrev_b64_e32 v[2:3], v2, v[16:17]
	v_dual_sub_nc_u32 v1, 30, v1 :: v_dual_bitop2_b32 v2, 3, v2 bitop3:0x40
; %bb.2375:                             ;   in Loop: Header=BB6_130 Depth=2
	s_or_b32 exec_lo, exec_lo, s27
	v_lshlrev_b32_e32 v3, 24, v16
	s_delay_alu instid0(VALU_DEP_1) | instskip(NEXT) | instid1(VALU_DEP_1)
	v_and_b32_e32 v3, 0x80000000, v3
	v_lshl_add_u32 v1, v1, 23, v3
                                        ; implicit-def: $vgpr3
	s_delay_alu instid0(VALU_DEP_1) | instskip(NEXT) | instid1(VALU_DEP_1)
	v_lshl_or_b32 v1, v2, 21, v1
                                        ; implicit-def: $vgpr2
	v_add_nc_u32_e32 v1, 0x38000000, v1
.LBB6_2376:                             ;   in Loop: Header=BB6_130 Depth=2
	s_and_not1_saveexec_b32 s27, s10
; %bb.2377:                             ;   in Loop: Header=BB6_130 Depth=2
	v_cmp_lt_i16_e64 s10, -1, v3
	v_cmp_eq_u32_e32 vcc_lo, 0, v2
	s_delay_alu instid0(VALU_DEP_2) | instskip(NEXT) | instid1(VALU_DEP_1)
	v_cndmask_b32_e64 v1, 0xff800000, v109, s10
	v_cndmask_b32_e32 v1, 0x7f800001, v1, vcc_lo
; %bb.2378:                             ;   in Loop: Header=BB6_130 Depth=2
	s_or_b32 exec_lo, exec_lo, s27
.LBB6_2379:                             ;   in Loop: Header=BB6_130 Depth=2
	s_delay_alu instid0(SALU_CYCLE_1)
	s_or_b32 exec_lo, exec_lo, s26
.LBB6_2380:                             ;   in Loop: Header=BB6_130 Depth=2
	s_delay_alu instid0(SALU_CYCLE_1) | instskip(SKIP_2) | instid1(VALU_DEP_1)
	s_or_b32 exec_lo, exec_lo, s25
	v_and_b32_e32 v2, 0xff, v12
	s_mov_b32 s25, exec_lo
	v_cmpx_ne_u16_e32 0, v2
	s_cbranch_execz .LBB6_2390
; %bb.2381:                             ;   in Loop: Header=BB6_130 Depth=2
	v_bfe_i32 v3, v12, 0, 8
	v_bfrev_b32_e32 v0, 1
	s_mov_b32 s26, exec_lo
	s_delay_alu instid0(VALU_DEP_2)
	v_cmpx_ne_u16_e32 0xff80, v3
	s_cbranch_execz .LBB6_2389
; %bb.2382:                             ;   in Loop: Header=BB6_130 Depth=2
	v_and_b32_e32 v0, 0x7c, v12
	v_and_b32_e32 v2, 3, v12
	s_delay_alu instid0(VALU_DEP_2) | instskip(SKIP_1) | instid1(SALU_CYCLE_1)
	v_cmp_ne_u32_e32 vcc_lo, 0x7c, v0
                                        ; implicit-def: $vgpr0
	s_and_saveexec_b32 s10, vcc_lo
	s_xor_b32 s10, exec_lo, s10
	s_cbranch_execz .LBB6_2386
; %bb.2383:                             ;   in Loop: Header=BB6_130 Depth=2
	v_bfe_u32 v0, v12, 2, 5
	s_mov_b32 s27, exec_lo
	s_delay_alu instid0(VALU_DEP_1)
	v_cmpx_eq_u32_e32 0, v0
; %bb.2384:                             ;   in Loop: Header=BB6_130 Depth=2
	v_clz_i32_u32_e32 v0, v2
	s_delay_alu instid0(VALU_DEP_1) | instskip(NEXT) | instid1(VALU_DEP_1)
	v_min_u32_e32 v0, 32, v0
	v_subrev_nc_u32_e32 v2, 29, v0
	s_delay_alu instid0(VALU_DEP_1) | instskip(NEXT) | instid1(VALU_DEP_1)
	v_lshlrev_b64_e32 v[2:3], v2, v[12:13]
	v_dual_sub_nc_u32 v0, 30, v0 :: v_dual_bitop2_b32 v2, 3, v2 bitop3:0x40
; %bb.2385:                             ;   in Loop: Header=BB6_130 Depth=2
	s_or_b32 exec_lo, exec_lo, s27
	v_lshlrev_b32_e32 v3, 24, v12
	s_delay_alu instid0(VALU_DEP_1) | instskip(NEXT) | instid1(VALU_DEP_1)
	v_and_b32_e32 v3, 0x80000000, v3
	v_lshl_add_u32 v0, v0, 23, v3
                                        ; implicit-def: $vgpr3
	s_delay_alu instid0(VALU_DEP_1) | instskip(NEXT) | instid1(VALU_DEP_1)
	v_lshl_or_b32 v0, v2, 21, v0
                                        ; implicit-def: $vgpr2
	v_add_nc_u32_e32 v0, 0x38000000, v0
.LBB6_2386:                             ;   in Loop: Header=BB6_130 Depth=2
	s_and_not1_saveexec_b32 s27, s10
; %bb.2387:                             ;   in Loop: Header=BB6_130 Depth=2
	v_cmp_lt_i16_e64 s10, -1, v3
	v_cmp_eq_u32_e32 vcc_lo, 0, v2
	s_delay_alu instid0(VALU_DEP_2) | instskip(NEXT) | instid1(VALU_DEP_1)
	v_cndmask_b32_e64 v0, 0xff800000, v109, s10
	v_cndmask_b32_e32 v0, 0x7f800001, v0, vcc_lo
; %bb.2388:                             ;   in Loop: Header=BB6_130 Depth=2
	s_or_b32 exec_lo, exec_lo, s27
.LBB6_2389:                             ;   in Loop: Header=BB6_130 Depth=2
	s_delay_alu instid0(SALU_CYCLE_1)
	s_or_b32 exec_lo, exec_lo, s26
.LBB6_2390:                             ;   in Loop: Header=BB6_130 Depth=2
	s_delay_alu instid0(SALU_CYCLE_1) | instskip(NEXT) | instid1(VALU_DEP_1)
	s_or_b32 exec_lo, exec_lo, s25
	v_mul_f32_e32 v0, v1, v0
	v_mov_b32_e32 v3, v5
                                        ; implicit-def: $vgpr11
	s_mov_b32 s10, exec_lo
	s_delay_alu instid0(VALU_DEP_2) | instskip(SKIP_2) | instid1(VALU_DEP_3)
	v_and_b32_e32 v2, 0x7f800000, v0
	v_and_b32_e32 v4, 0x7fffff, v0
	v_lshrrev_b32_e32 v1, 24, v0
	v_cmpx_ne_u64_e32 0x7f800000, v[2:3]
	s_xor_b32 s25, exec_lo, s10
	s_cbranch_execz .LBB6_2404
; %bb.2391:                             ;   in Loop: Header=BB6_130 Depth=2
	v_and_b32_e32 v2, 0x7fffffff, v0
	v_mov_b32_e32 v3, v5
	v_and_b32_e32 v14, 0x80, v1
                                        ; implicit-def: $vgpr11
	s_mov_b32 s10, exec_lo
	s_delay_alu instid0(VALU_DEP_2)
	v_cmpx_gt_u64_e32 0x47600001, v[2:3]
	s_xor_b32 s26, exec_lo, s10
	s_cbranch_execz .LBB6_2401
; %bb.2392:                             ;   in Loop: Header=BB6_130 Depth=2
	v_mov_b32_e32 v11, 0
	s_mov_b32 s27, exec_lo
	v_cmpx_ne_u32_e32 0, v0
	s_cbranch_execz .LBB6_2400
; %bb.2393:                             ;   in Loop: Header=BB6_130 Depth=2
	v_bfe_u32 v11, v0, 23, 8
	v_or_b32_e32 v1, 0x800000, v4
	s_delay_alu instid0(VALU_DEP_2) | instskip(SKIP_2) | instid1(VALU_DEP_2)
	v_cmp_gt_u32_e64 s10, 0x72, v11
	v_sub_nc_u32_e32 v0, 0x71, v11
	v_cmp_eq_u32_e32 vcc_lo, 0, v11
	v_cndmask_b32_e64 v0, 0, v0, s10
	s_delay_alu instid0(VALU_DEP_1) | instskip(SKIP_1) | instid1(VALU_DEP_2)
	v_cndmask_b32_e64 v15, v0, 0x70, vcc_lo
	v_cndmask_b32_e32 v0, v1, v4, vcc_lo
	v_dual_mov_b32 v1, v5 :: v_dual_add_nc_u32 v2, 21, v15
	v_add_nc_u32_e32 v4, 20, v15
	s_delay_alu instid0(VALU_DEP_2) | instskip(NEXT) | instid1(VALU_DEP_2)
	v_lshlrev_b64_e64 v[2:3], v2, -1
	v_lshlrev_b64_e64 v[102:103], v4, 1
	s_delay_alu instid0(VALU_DEP_2) | instskip(SKIP_1) | instid1(VALU_DEP_4)
	v_bfi_b32 v2, v2, 0, v0
	v_lshrrev_b64 v[0:1], v15, v[0:1]
	v_bfi_b32 v3, v3, 0, 0
	s_delay_alu instid0(VALU_DEP_1) | instskip(NEXT) | instid1(VALU_DEP_3)
	v_cmp_eq_u64_e64 s10, v[2:3], v[102:103]
	v_mov_b64_e32 v[2:3], v[0:1]
	s_and_saveexec_b32 s28, s10
; %bb.2394:                             ;   in Loop: Header=BB6_130 Depth=2
	v_bfe_u32 v2, v0, 21, 1
	v_mov_b32_e32 v3, v5
	s_delay_alu instid0(VALU_DEP_1) | instskip(NEXT) | instid1(VALU_DEP_1)
	v_add_nc_u64_e32 v[2:3], v[0:1], v[2:3]
	v_add_nc_u64_e32 v[2:3], -1, v[2:3]
; %bb.2395:                             ;   in Loop: Header=BB6_130 Depth=2
	s_or_b32 exec_lo, exec_lo, s28
	v_add_nc_u32_e32 v1, 0xffffff81, v11
	v_lshrrev_b32_e32 v3, 23, v0
	s_mov_b32 s10, exec_lo
	s_delay_alu instid0(VALU_DEP_2) | instskip(NEXT) | instid1(VALU_DEP_1)
	v_cndmask_b32_e64 v1, v1, 0xffffff82, vcc_lo
	v_add3_u32 v11, v15, v1, v3
	v_and_b32_e32 v1, 0x1fffff, v2
                                        ; implicit-def: $vgpr2
	s_delay_alu instid0(VALU_DEP_1) | instskip(NEXT) | instid1(VALU_DEP_1)
	v_dual_add_nc_u32 v3, 14, v11 :: v_dual_add_nc_u32 v4, v1, v0
                                        ; implicit-def: $vgpr0_vgpr1
	v_cmpx_ne_u32_e32 0, v3
	s_xor_b32 s10, exec_lo, s10
; %bb.2396:                             ;   in Loop: Header=BB6_130 Depth=2
	s_delay_alu instid0(VALU_DEP_2) | instskip(SKIP_1) | instid1(VALU_DEP_1)
	v_cmp_lt_u64_e32 vcc_lo, 0xffffff, v[4:5]
	v_add_nc_u32_e32 v0, 15, v11
	v_cndmask_b32_e32 v2, v3, v0, vcc_lo
	v_cndmask_b32_e64 v0, 0, 1, vcc_lo
	s_delay_alu instid0(VALU_DEP_1)
	v_lshrrev_b64 v[0:1], v0, v[4:5]
; %bb.2397:                             ;   in Loop: Header=BB6_130 Depth=2
	s_and_not1_saveexec_b32 s10, s10
; %bb.2398:                             ;   in Loop: Header=BB6_130 Depth=2
	v_mov_b64_e32 v[0:1], v[4:5]
	v_bfe_u32 v2, v4, 23, 1
; %bb.2399:                             ;   in Loop: Header=BB6_130 Depth=2
	s_or_b32 exec_lo, exec_lo, s10
	s_delay_alu instid0(VALU_DEP_2) | instskip(NEXT) | instid1(VALU_DEP_2)
	v_lshrrev_b64 v[0:1], 21, v[0:1]
	v_cmp_gt_i32_e32 vcc_lo, 32, v2
	v_min_i32_e32 v3, 31, v2
	v_cmp_eq_u32_e64 s10, 0, v2
	s_delay_alu instid0(VALU_DEP_2) | instskip(SKIP_1) | instid1(VALU_DEP_2)
	v_dual_cndmask_b32 v1, 0, v1, vcc_lo :: v_dual_lshlrev_b32 v3, 2, v3
	v_cndmask_b32_e32 v0, 3, v0, vcc_lo
	v_and_b32_e32 v3, 0xfc, v3
	s_delay_alu instid0(VALU_DEP_2) | instskip(NEXT) | instid1(VALU_DEP_2)
	v_cmp_eq_u64_e32 vcc_lo, 0, v[0:1]
	v_and_or_b32 v0, v0, 3, v3
	s_and_b32 s10, s10, vcc_lo
	s_delay_alu instid0(VALU_DEP_1) | instid1(SALU_CYCLE_1)
	v_cndmask_b32_e64 v0, v0, 0, s10
	s_delay_alu instid0(VALU_DEP_1)
	v_or_b32_e32 v11, v0, v14
.LBB6_2400:                             ;   in Loop: Header=BB6_130 Depth=2
	s_or_b32 exec_lo, exec_lo, s27
                                        ; implicit-def: $vgpr14
.LBB6_2401:                             ;   in Loop: Header=BB6_130 Depth=2
	s_and_not1_saveexec_b32 s10, s26
; %bb.2402:                             ;   in Loop: Header=BB6_130 Depth=2
	v_or_b32_e32 v11, 0x7b, v14
; %bb.2403:                             ;   in Loop: Header=BB6_130 Depth=2
	s_or_b32 exec_lo, exec_lo, s10
                                        ; implicit-def: $vgpr0
                                        ; implicit-def: $vgpr1
.LBB6_2404:                             ;   in Loop: Header=BB6_130 Depth=2
	s_and_not1_saveexec_b32 s10, s25
	s_cbranch_execz .LBB6_2410
; %bb.2405:                             ;   in Loop: Header=BB6_130 Depth=2
	s_mov_b32 s25, exec_lo
                                        ; implicit-def: $vgpr11
	v_cmpx_ne_u64_e32 0, v[4:5]
	s_xor_b32 s25, exec_lo, s25
; %bb.2406:                             ;   in Loop: Header=BB6_130 Depth=2
	v_or_b32_e32 v11, 0x7f, v1
                                        ; implicit-def: $vgpr0
; %bb.2407:                             ;   in Loop: Header=BB6_130 Depth=2
	s_and_not1_saveexec_b32 s25, s25
; %bb.2408:                             ;   in Loop: Header=BB6_130 Depth=2
	v_cmp_lt_i32_e32 vcc_lo, -1, v0
	v_cndmask_b32_e32 v11, 0xfc, v108, vcc_lo
; %bb.2409:                             ;   in Loop: Header=BB6_130 Depth=2
	s_or_b32 exec_lo, exec_lo, s25
.LBB6_2410:                             ;   in Loop: Header=BB6_130 Depth=2
	s_delay_alu instid0(SALU_CYCLE_1) | instskip(SKIP_3) | instid1(VALU_DEP_2)
	s_or_b32 exec_lo, exec_lo, s10
	v_lshrrev_b16 v0, 8, v16
	v_dual_mov_b32 v2, 0 :: v_dual_mov_b32 v3, 0
	s_mov_b32 s25, exec_lo
	v_cmpx_ne_u16_e32 0, v0
	s_cbranch_execz .LBB6_2420
; %bb.2411:                             ;   in Loop: Header=BB6_130 Depth=2
	v_bfrev_b32_e32 v3, 1
	s_mov_b32 s26, exec_lo
	v_cmpx_ne_u16_e32 0x80, v0
	s_cbranch_execz .LBB6_2419
; %bb.2412:                             ;   in Loop: Header=BB6_130 Depth=2
	v_and_b32_e32 v4, 0xffff, v0
	s_delay_alu instid0(VALU_DEP_1) | instskip(SKIP_1) | instid1(VALU_DEP_2)
	v_and_b32_e32 v3, 0x7c, v4
	v_and_b32_e32 v1, 3, v4
	v_cmp_ne_u32_e32 vcc_lo, 0x7c, v3
                                        ; implicit-def: $vgpr3
	s_and_saveexec_b32 s10, vcc_lo
	s_delay_alu instid0(SALU_CYCLE_1)
	s_xor_b32 s10, exec_lo, s10
	s_cbranch_execz .LBB6_2416
; %bb.2413:                             ;   in Loop: Header=BB6_130 Depth=2
	v_bfe_u32 v3, v4, 2, 5
	s_mov_b32 s27, exec_lo
	s_delay_alu instid0(VALU_DEP_1)
	v_cmpx_eq_u32_e32 0, v3
	s_cbranch_execz .LBB6_2415
; %bb.2414:                             ;   in Loop: Header=BB6_130 Depth=2
	v_clz_i32_u32_e32 v1, v1
	s_delay_alu instid0(VALU_DEP_1) | instskip(SKIP_1) | instid1(VALU_DEP_2)
	v_min_u32_e32 v3, 32, v1
	v_mov_b32_e32 v1, v5
	v_subrev_nc_u32_e32 v4, 29, v3
	v_sub_nc_u32_e32 v3, 30, v3
	s_delay_alu instid0(VALU_DEP_2) | instskip(NEXT) | instid1(VALU_DEP_1)
	v_lshlrev_b64_e32 v[0:1], v4, v[0:1]
	v_and_b32_e32 v1, 3, v0
.LBB6_2415:                             ;   in Loop: Header=BB6_130 Depth=2
	s_or_b32 exec_lo, exec_lo, s27
	v_lshlrev_b32_e32 v0, 16, v16
	s_delay_alu instid0(VALU_DEP_1) | instskip(NEXT) | instid1(VALU_DEP_1)
	v_and_b32_e32 v0, 0x80000000, v0
	v_lshl_add_u32 v0, v3, 23, v0
	s_delay_alu instid0(VALU_DEP_1) | instskip(NEXT) | instid1(VALU_DEP_1)
	v_lshl_or_b32 v0, v1, 21, v0
                                        ; implicit-def: $vgpr1
	v_add_nc_u32_e32 v3, 0x38000000, v0
.LBB6_2416:                             ;   in Loop: Header=BB6_130 Depth=2
	s_and_not1_saveexec_b32 s27, s10
; %bb.2417:                             ;   in Loop: Header=BB6_130 Depth=2
	v_cmp_lt_i16_e64 s10, -1, v16
	v_cmp_eq_u32_e32 vcc_lo, 0, v1
	s_delay_alu instid0(VALU_DEP_2) | instskip(NEXT) | instid1(VALU_DEP_1)
	v_cndmask_b32_e64 v0, 0xff800000, v109, s10
	v_cndmask_b32_e32 v3, 0x7f800001, v0, vcc_lo
; %bb.2418:                             ;   in Loop: Header=BB6_130 Depth=2
	s_or_b32 exec_lo, exec_lo, s27
.LBB6_2419:                             ;   in Loop: Header=BB6_130 Depth=2
	s_delay_alu instid0(SALU_CYCLE_1)
	s_or_b32 exec_lo, exec_lo, s26
.LBB6_2420:                             ;   in Loop: Header=BB6_130 Depth=2
	s_delay_alu instid0(SALU_CYCLE_1) | instskip(SKIP_2) | instid1(VALU_DEP_1)
	s_or_b32 exec_lo, exec_lo, s25
	v_lshrrev_b16 v0, 8, v12
	s_mov_b32 s25, exec_lo
	v_cmpx_ne_u16_e32 0, v0
	s_cbranch_execz .LBB6_2430
; %bb.2421:                             ;   in Loop: Header=BB6_130 Depth=2
	v_bfrev_b32_e32 v2, 1
	s_mov_b32 s26, exec_lo
	v_cmpx_ne_u16_e32 0x80, v0
	s_cbranch_execz .LBB6_2429
; %bb.2422:                             ;   in Loop: Header=BB6_130 Depth=2
	v_and_b32_e32 v4, 0xffff, v0
	s_delay_alu instid0(VALU_DEP_1) | instskip(SKIP_1) | instid1(VALU_DEP_2)
	v_and_b32_e32 v2, 0x7c, v4
	v_and_b32_e32 v1, 3, v4
	v_cmp_ne_u32_e32 vcc_lo, 0x7c, v2
                                        ; implicit-def: $vgpr2
	s_and_saveexec_b32 s10, vcc_lo
	s_delay_alu instid0(SALU_CYCLE_1)
	s_xor_b32 s10, exec_lo, s10
	s_cbranch_execz .LBB6_2426
; %bb.2423:                             ;   in Loop: Header=BB6_130 Depth=2
	v_bfe_u32 v2, v4, 2, 5
	s_mov_b32 s27, exec_lo
	s_delay_alu instid0(VALU_DEP_1)
	v_cmpx_eq_u32_e32 0, v2
	s_cbranch_execz .LBB6_2425
; %bb.2424:                             ;   in Loop: Header=BB6_130 Depth=2
	v_clz_i32_u32_e32 v1, v1
	s_delay_alu instid0(VALU_DEP_1) | instskip(SKIP_1) | instid1(VALU_DEP_2)
	v_min_u32_e32 v2, 32, v1
	v_mov_b32_e32 v1, v5
	v_subrev_nc_u32_e32 v4, 29, v2
	v_sub_nc_u32_e32 v2, 30, v2
	s_delay_alu instid0(VALU_DEP_2) | instskip(NEXT) | instid1(VALU_DEP_1)
	v_lshlrev_b64_e32 v[0:1], v4, v[0:1]
	v_and_b32_e32 v1, 3, v0
.LBB6_2425:                             ;   in Loop: Header=BB6_130 Depth=2
	s_or_b32 exec_lo, exec_lo, s27
	v_lshlrev_b32_e32 v0, 16, v12
	s_delay_alu instid0(VALU_DEP_1) | instskip(NEXT) | instid1(VALU_DEP_1)
	v_and_b32_e32 v0, 0x80000000, v0
	v_lshl_add_u32 v0, v2, 23, v0
	s_delay_alu instid0(VALU_DEP_1) | instskip(NEXT) | instid1(VALU_DEP_1)
	v_lshl_or_b32 v0, v1, 21, v0
                                        ; implicit-def: $vgpr1
	v_add_nc_u32_e32 v2, 0x38000000, v0
.LBB6_2426:                             ;   in Loop: Header=BB6_130 Depth=2
	s_and_not1_saveexec_b32 s27, s10
; %bb.2427:                             ;   in Loop: Header=BB6_130 Depth=2
	v_cmp_lt_i16_e64 s10, -1, v12
	v_cmp_eq_u32_e32 vcc_lo, 0, v1
	s_delay_alu instid0(VALU_DEP_2) | instskip(NEXT) | instid1(VALU_DEP_1)
	v_cndmask_b32_e64 v0, 0xff800000, v109, s10
	v_cndmask_b32_e32 v2, 0x7f800001, v0, vcc_lo
; %bb.2428:                             ;   in Loop: Header=BB6_130 Depth=2
	s_or_b32 exec_lo, exec_lo, s27
.LBB6_2429:                             ;   in Loop: Header=BB6_130 Depth=2
	s_delay_alu instid0(SALU_CYCLE_1)
	s_or_b32 exec_lo, exec_lo, s26
.LBB6_2430:                             ;   in Loop: Header=BB6_130 Depth=2
	s_delay_alu instid0(SALU_CYCLE_1) | instskip(NEXT) | instid1(VALU_DEP_1)
	s_or_b32 exec_lo, exec_lo, s25
	v_dual_mul_f32 v0, v3, v2 :: v_dual_mov_b32 v3, v5
                                        ; implicit-def: $vgpr14
	s_mov_b32 s10, exec_lo
	s_delay_alu instid0(VALU_DEP_1) | instskip(SKIP_2) | instid1(VALU_DEP_3)
	v_and_b32_e32 v2, 0x7f800000, v0
	v_and_b32_e32 v4, 0x7fffff, v0
	v_lshrrev_b32_e32 v1, 24, v0
	v_cmpx_ne_u64_e32 0x7f800000, v[2:3]
	s_xor_b32 s25, exec_lo, s10
	s_cbranch_execz .LBB6_2444
; %bb.2431:                             ;   in Loop: Header=BB6_130 Depth=2
	v_and_b32_e32 v2, 0x7fffffff, v0
	v_mov_b32_e32 v3, v5
	v_and_b32_e32 v15, 0x80, v1
                                        ; implicit-def: $vgpr14
	s_mov_b32 s10, exec_lo
	s_delay_alu instid0(VALU_DEP_2)
	v_cmpx_gt_u64_e32 0x47600001, v[2:3]
	s_xor_b32 s26, exec_lo, s10
	s_cbranch_execz .LBB6_2441
; %bb.2432:                             ;   in Loop: Header=BB6_130 Depth=2
	v_mov_b32_e32 v14, 0
	s_mov_b32 s27, exec_lo
	v_cmpx_ne_u32_e32 0, v0
	s_cbranch_execz .LBB6_2440
; %bb.2433:                             ;   in Loop: Header=BB6_130 Depth=2
	v_bfe_u32 v14, v0, 23, 8
	v_or_b32_e32 v1, 0x800000, v4
	s_delay_alu instid0(VALU_DEP_2) | instskip(SKIP_2) | instid1(VALU_DEP_2)
	v_cmp_gt_u32_e64 s10, 0x72, v14
	v_sub_nc_u32_e32 v0, 0x71, v14
	v_cmp_eq_u32_e32 vcc_lo, 0, v14
	v_cndmask_b32_e64 v0, 0, v0, s10
	s_delay_alu instid0(VALU_DEP_1) | instskip(SKIP_1) | instid1(VALU_DEP_2)
	v_cndmask_b32_e64 v102, v0, 0x70, vcc_lo
	v_cndmask_b32_e32 v0, v1, v4, vcc_lo
	v_dual_mov_b32 v1, v5 :: v_dual_add_nc_u32 v2, 21, v102
	v_add_nc_u32_e32 v4, 20, v102
	s_delay_alu instid0(VALU_DEP_2) | instskip(NEXT) | instid1(VALU_DEP_2)
	v_lshlrev_b64_e64 v[2:3], v2, -1
	v_lshlrev_b64_e64 v[112:113], v4, 1
	s_delay_alu instid0(VALU_DEP_2) | instskip(SKIP_1) | instid1(VALU_DEP_4)
	v_bfi_b32 v2, v2, 0, v0
	v_lshrrev_b64 v[0:1], v102, v[0:1]
	v_bfi_b32 v3, v3, 0, 0
	s_delay_alu instid0(VALU_DEP_1) | instskip(NEXT) | instid1(VALU_DEP_3)
	v_cmp_eq_u64_e64 s10, v[2:3], v[112:113]
	v_mov_b64_e32 v[2:3], v[0:1]
	s_and_saveexec_b32 s28, s10
; %bb.2434:                             ;   in Loop: Header=BB6_130 Depth=2
	v_bfe_u32 v2, v0, 21, 1
	v_mov_b32_e32 v3, v5
	s_delay_alu instid0(VALU_DEP_1) | instskip(NEXT) | instid1(VALU_DEP_1)
	v_add_nc_u64_e32 v[2:3], v[0:1], v[2:3]
	v_add_nc_u64_e32 v[2:3], -1, v[2:3]
; %bb.2435:                             ;   in Loop: Header=BB6_130 Depth=2
	s_or_b32 exec_lo, exec_lo, s28
	v_add_nc_u32_e32 v1, 0xffffff81, v14
	v_lshrrev_b32_e32 v3, 23, v0
	s_mov_b32 s10, exec_lo
	s_delay_alu instid0(VALU_DEP_2) | instskip(NEXT) | instid1(VALU_DEP_1)
	v_cndmask_b32_e64 v1, v1, 0xffffff82, vcc_lo
	v_add3_u32 v14, v102, v1, v3
	v_and_b32_e32 v1, 0x1fffff, v2
                                        ; implicit-def: $vgpr2
	s_delay_alu instid0(VALU_DEP_1) | instskip(NEXT) | instid1(VALU_DEP_1)
	v_dual_add_nc_u32 v3, 14, v14 :: v_dual_add_nc_u32 v4, v1, v0
                                        ; implicit-def: $vgpr0_vgpr1
	v_cmpx_ne_u32_e32 0, v3
	s_xor_b32 s10, exec_lo, s10
; %bb.2436:                             ;   in Loop: Header=BB6_130 Depth=2
	s_delay_alu instid0(VALU_DEP_2) | instskip(SKIP_1) | instid1(VALU_DEP_1)
	v_cmp_lt_u64_e32 vcc_lo, 0xffffff, v[4:5]
	v_add_nc_u32_e32 v0, 15, v14
	v_cndmask_b32_e32 v2, v3, v0, vcc_lo
	v_cndmask_b32_e64 v0, 0, 1, vcc_lo
	s_delay_alu instid0(VALU_DEP_1)
	v_lshrrev_b64 v[0:1], v0, v[4:5]
; %bb.2437:                             ;   in Loop: Header=BB6_130 Depth=2
	s_and_not1_saveexec_b32 s10, s10
; %bb.2438:                             ;   in Loop: Header=BB6_130 Depth=2
	v_mov_b64_e32 v[0:1], v[4:5]
	v_bfe_u32 v2, v4, 23, 1
; %bb.2439:                             ;   in Loop: Header=BB6_130 Depth=2
	s_or_b32 exec_lo, exec_lo, s10
	s_delay_alu instid0(VALU_DEP_2) | instskip(NEXT) | instid1(VALU_DEP_2)
	v_lshrrev_b64 v[0:1], 21, v[0:1]
	v_cmp_gt_i32_e32 vcc_lo, 32, v2
	v_min_i32_e32 v3, 31, v2
	v_cmp_eq_u32_e64 s10, 0, v2
	s_delay_alu instid0(VALU_DEP_2) | instskip(SKIP_1) | instid1(VALU_DEP_2)
	v_dual_cndmask_b32 v1, 0, v1, vcc_lo :: v_dual_lshlrev_b32 v3, 2, v3
	v_cndmask_b32_e32 v0, 3, v0, vcc_lo
	v_and_b32_e32 v3, 0xfc, v3
	s_delay_alu instid0(VALU_DEP_2) | instskip(NEXT) | instid1(VALU_DEP_2)
	v_cmp_eq_u64_e32 vcc_lo, 0, v[0:1]
	v_and_or_b32 v0, v0, 3, v3
	s_and_b32 s10, s10, vcc_lo
	s_delay_alu instid0(VALU_DEP_1) | instid1(SALU_CYCLE_1)
	v_cndmask_b32_e64 v0, v0, 0, s10
	s_delay_alu instid0(VALU_DEP_1)
	v_or_b32_e32 v14, v0, v15
.LBB6_2440:                             ;   in Loop: Header=BB6_130 Depth=2
	s_or_b32 exec_lo, exec_lo, s27
                                        ; implicit-def: $vgpr15
.LBB6_2441:                             ;   in Loop: Header=BB6_130 Depth=2
	s_and_not1_saveexec_b32 s10, s26
; %bb.2442:                             ;   in Loop: Header=BB6_130 Depth=2
	v_or_b32_e32 v14, 0x7b, v15
; %bb.2443:                             ;   in Loop: Header=BB6_130 Depth=2
	s_or_b32 exec_lo, exec_lo, s10
                                        ; implicit-def: $vgpr0
                                        ; implicit-def: $vgpr1
.LBB6_2444:                             ;   in Loop: Header=BB6_130 Depth=2
	s_and_not1_saveexec_b32 s10, s25
	s_cbranch_execz .LBB6_2450
; %bb.2445:                             ;   in Loop: Header=BB6_130 Depth=2
	s_mov_b32 s25, exec_lo
                                        ; implicit-def: $vgpr14
	v_cmpx_ne_u64_e32 0, v[4:5]
	s_xor_b32 s25, exec_lo, s25
; %bb.2446:                             ;   in Loop: Header=BB6_130 Depth=2
	v_or_b32_e32 v14, 0x7f, v1
                                        ; implicit-def: $vgpr0
; %bb.2447:                             ;   in Loop: Header=BB6_130 Depth=2
	s_and_not1_saveexec_b32 s25, s25
; %bb.2448:                             ;   in Loop: Header=BB6_130 Depth=2
	v_cmp_lt_i32_e32 vcc_lo, -1, v0
	v_cndmask_b32_e32 v14, 0xfc, v108, vcc_lo
; %bb.2449:                             ;   in Loop: Header=BB6_130 Depth=2
	s_or_b32 exec_lo, exec_lo, s25
.LBB6_2450:                             ;   in Loop: Header=BB6_130 Depth=2
	s_delay_alu instid0(SALU_CYCLE_1) | instskip(SKIP_3) | instid1(VALU_DEP_2)
	s_or_b32 exec_lo, exec_lo, s10
	v_dual_mov_b32 v1, 0 :: v_dual_lshrrev_b32 v0, 16, v16
	v_mov_b32_e32 v2, 0
	s_mov_b32 s25, exec_lo
	v_and_b32_e32 v3, 0xff, v0
	s_delay_alu instid0(VALU_DEP_1)
	v_cmpx_ne_u16_e32 0, v3
	s_cbranch_execz .LBB6_2460
; %bb.2451:                             ;   in Loop: Header=BB6_130 Depth=2
	v_bfrev_b32_e32 v2, 1
	s_mov_b32 s26, exec_lo
	v_cmpx_ne_u16_e32 0x80, v3
	s_cbranch_execz .LBB6_2459
; %bb.2452:                             ;   in Loop: Header=BB6_130 Depth=2
	v_and_b32_e32 v2, 0x7c0000, v16
	v_bfe_u32 v3, v16, 16, 2
	s_delay_alu instid0(VALU_DEP_2) | instskip(SKIP_1) | instid1(SALU_CYCLE_1)
	v_cmp_ne_u32_e32 vcc_lo, 0x7c0000, v2
                                        ; implicit-def: $vgpr2
	s_and_saveexec_b32 s10, vcc_lo
	s_xor_b32 s10, exec_lo, s10
	s_cbranch_execz .LBB6_2456
; %bb.2453:                             ;   in Loop: Header=BB6_130 Depth=2
	v_bfe_u32 v2, v16, 18, 5
	s_mov_b32 s27, exec_lo
	s_delay_alu instid0(VALU_DEP_1)
	v_cmpx_eq_u32_e32 0, v2
; %bb.2454:                             ;   in Loop: Header=BB6_130 Depth=2
	v_clz_i32_u32_e32 v2, v3
	s_delay_alu instid0(VALU_DEP_1) | instskip(NEXT) | instid1(VALU_DEP_1)
	v_min_u32_e32 v2, 32, v2
	v_subrev_nc_u32_e32 v3, 29, v2
	v_sub_nc_u32_e32 v2, 30, v2
	s_delay_alu instid0(VALU_DEP_2) | instskip(NEXT) | instid1(VALU_DEP_1)
	v_lshlrev_b64_e32 v[102:103], v3, v[0:1]
	v_and_b32_e32 v3, 3, v102
; %bb.2455:                             ;   in Loop: Header=BB6_130 Depth=2
	s_or_b32 exec_lo, exec_lo, s27
	v_lshlrev_b32_e32 v0, 24, v0
	s_delay_alu instid0(VALU_DEP_1) | instskip(NEXT) | instid1(VALU_DEP_1)
	v_and_b32_e32 v0, 0x80000000, v0
	v_lshl_add_u32 v0, v2, 23, v0
	s_delay_alu instid0(VALU_DEP_1) | instskip(NEXT) | instid1(VALU_DEP_1)
	v_lshl_or_b32 v0, v3, 21, v0
                                        ; implicit-def: $vgpr3
	v_add_nc_u32_e32 v2, 0x38000000, v0
                                        ; implicit-def: $vgpr0
.LBB6_2456:                             ;   in Loop: Header=BB6_130 Depth=2
	s_and_not1_saveexec_b32 s27, s10
; %bb.2457:                             ;   in Loop: Header=BB6_130 Depth=2
	v_bfe_i32 v0, v0, 0, 8
	v_cmp_eq_u32_e32 vcc_lo, 0, v3
	s_delay_alu instid0(VALU_DEP_2) | instskip(NEXT) | instid1(VALU_DEP_1)
	v_cmp_lt_i16_e64 s10, -1, v0
	v_cndmask_b32_e64 v0, 0xff800000, v109, s10
	s_delay_alu instid0(VALU_DEP_1)
	v_cndmask_b32_e32 v2, 0x7f800001, v0, vcc_lo
; %bb.2458:                             ;   in Loop: Header=BB6_130 Depth=2
	s_or_b32 exec_lo, exec_lo, s27
.LBB6_2459:                             ;   in Loop: Header=BB6_130 Depth=2
	s_delay_alu instid0(SALU_CYCLE_1)
	s_or_b32 exec_lo, exec_lo, s26
.LBB6_2460:                             ;   in Loop: Header=BB6_130 Depth=2
	s_delay_alu instid0(SALU_CYCLE_1) | instskip(SKIP_2) | instid1(VALU_DEP_1)
	s_or_b32 exec_lo, exec_lo, s25
	v_lshrrev_b32_e32 v0, 16, v12
	s_mov_b32 s25, exec_lo
	v_and_b32_e32 v3, 0xff, v0
	s_delay_alu instid0(VALU_DEP_1)
	v_cmpx_ne_u16_e32 0, v3
	s_cbranch_execz .LBB6_2470
; %bb.2461:                             ;   in Loop: Header=BB6_130 Depth=2
	v_bfrev_b32_e32 v1, 1
	s_mov_b32 s26, exec_lo
	v_cmpx_ne_u16_e32 0x80, v3
	s_cbranch_execz .LBB6_2469
; %bb.2462:                             ;   in Loop: Header=BB6_130 Depth=2
	v_and_b32_e32 v1, 0x7c0000, v12
	v_bfe_u32 v3, v12, 16, 2
	s_delay_alu instid0(VALU_DEP_2) | instskip(SKIP_1) | instid1(SALU_CYCLE_1)
	v_cmp_ne_u32_e32 vcc_lo, 0x7c0000, v1
                                        ; implicit-def: $vgpr1
	s_and_saveexec_b32 s10, vcc_lo
	s_xor_b32 s10, exec_lo, s10
	s_cbranch_execz .LBB6_2466
; %bb.2463:                             ;   in Loop: Header=BB6_130 Depth=2
	v_bfe_u32 v1, v12, 18, 5
	s_mov_b32 s27, exec_lo
	s_delay_alu instid0(VALU_DEP_1)
	v_cmpx_eq_u32_e32 0, v1
; %bb.2464:                             ;   in Loop: Header=BB6_130 Depth=2
	v_clz_i32_u32_e32 v1, v3
	s_delay_alu instid0(VALU_DEP_1) | instskip(NEXT) | instid1(VALU_DEP_1)
	v_min_u32_e32 v1, 32, v1
	v_subrev_nc_u32_e32 v3, 29, v1
	s_delay_alu instid0(VALU_DEP_1) | instskip(NEXT) | instid1(VALU_DEP_1)
	v_lshlrev_b64_e32 v[102:103], v3, v[0:1]
	v_dual_sub_nc_u32 v1, 30, v1 :: v_dual_bitop2_b32 v3, 3, v102 bitop3:0x40
; %bb.2465:                             ;   in Loop: Header=BB6_130 Depth=2
	s_or_b32 exec_lo, exec_lo, s27
	v_lshlrev_b32_e32 v0, 24, v0
	s_delay_alu instid0(VALU_DEP_1) | instskip(NEXT) | instid1(VALU_DEP_1)
	v_and_b32_e32 v0, 0x80000000, v0
	v_lshl_add_u32 v0, v1, 23, v0
	s_delay_alu instid0(VALU_DEP_1) | instskip(NEXT) | instid1(VALU_DEP_1)
	v_lshl_or_b32 v0, v3, 21, v0
                                        ; implicit-def: $vgpr3
	v_add_nc_u32_e32 v1, 0x38000000, v0
                                        ; implicit-def: $vgpr0
.LBB6_2466:                             ;   in Loop: Header=BB6_130 Depth=2
	s_and_not1_saveexec_b32 s27, s10
; %bb.2467:                             ;   in Loop: Header=BB6_130 Depth=2
	v_bfe_i32 v0, v0, 0, 8
	v_cmp_eq_u32_e32 vcc_lo, 0, v3
	s_delay_alu instid0(VALU_DEP_2) | instskip(NEXT) | instid1(VALU_DEP_1)
	v_cmp_lt_i16_e64 s10, -1, v0
	v_cndmask_b32_e64 v0, 0xff800000, v109, s10
	s_delay_alu instid0(VALU_DEP_1)
	v_cndmask_b32_e32 v1, 0x7f800001, v0, vcc_lo
; %bb.2468:                             ;   in Loop: Header=BB6_130 Depth=2
	s_or_b32 exec_lo, exec_lo, s27
.LBB6_2469:                             ;   in Loop: Header=BB6_130 Depth=2
	s_delay_alu instid0(SALU_CYCLE_1)
	s_or_b32 exec_lo, exec_lo, s26
.LBB6_2470:                             ;   in Loop: Header=BB6_130 Depth=2
	s_delay_alu instid0(SALU_CYCLE_1) | instskip(NEXT) | instid1(VALU_DEP_1)
	s_or_b32 exec_lo, exec_lo, s25
	v_dual_mul_f32 v0, v2, v1 :: v_dual_mov_b32 v3, v5
                                        ; implicit-def: $vgpr15
	s_mov_b32 s10, exec_lo
	s_delay_alu instid0(VALU_DEP_1) | instskip(SKIP_2) | instid1(VALU_DEP_3)
	v_and_b32_e32 v2, 0x7f800000, v0
	v_and_b32_e32 v4, 0x7fffff, v0
	v_lshrrev_b32_e32 v1, 24, v0
	v_cmpx_ne_u64_e32 0x7f800000, v[2:3]
	s_xor_b32 s25, exec_lo, s10
	s_cbranch_execz .LBB6_2484
; %bb.2471:                             ;   in Loop: Header=BB6_130 Depth=2
	v_and_b32_e32 v2, 0x7fffffff, v0
	v_mov_b32_e32 v3, v5
	v_and_b32_e32 v102, 0x80, v1
                                        ; implicit-def: $vgpr15
	s_mov_b32 s10, exec_lo
	s_delay_alu instid0(VALU_DEP_2)
	v_cmpx_gt_u64_e32 0x47600001, v[2:3]
	s_xor_b32 s26, exec_lo, s10
	s_cbranch_execz .LBB6_2481
; %bb.2472:                             ;   in Loop: Header=BB6_130 Depth=2
	v_mov_b32_e32 v15, 0
	s_mov_b32 s27, exec_lo
	v_cmpx_ne_u32_e32 0, v0
	s_cbranch_execz .LBB6_2480
; %bb.2473:                             ;   in Loop: Header=BB6_130 Depth=2
	v_bfe_u32 v15, v0, 23, 8
	v_or_b32_e32 v1, 0x800000, v4
	s_delay_alu instid0(VALU_DEP_2) | instskip(SKIP_2) | instid1(VALU_DEP_2)
	v_cmp_gt_u32_e64 s10, 0x72, v15
	v_sub_nc_u32_e32 v0, 0x71, v15
	v_cmp_eq_u32_e32 vcc_lo, 0, v15
	v_cndmask_b32_e64 v0, 0, v0, s10
	s_delay_alu instid0(VALU_DEP_1) | instskip(SKIP_1) | instid1(VALU_DEP_2)
	v_cndmask_b32_e64 v103, v0, 0x70, vcc_lo
	v_cndmask_b32_e32 v0, v1, v4, vcc_lo
	v_dual_mov_b32 v1, v5 :: v_dual_add_nc_u32 v2, 21, v103
	v_add_nc_u32_e32 v4, 20, v103
	s_delay_alu instid0(VALU_DEP_2) | instskip(NEXT) | instid1(VALU_DEP_2)
	v_lshlrev_b64_e64 v[2:3], v2, -1
	v_lshlrev_b64_e64 v[112:113], v4, 1
	s_delay_alu instid0(VALU_DEP_2) | instskip(SKIP_1) | instid1(VALU_DEP_4)
	v_bfi_b32 v2, v2, 0, v0
	v_lshrrev_b64 v[0:1], v103, v[0:1]
	v_bfi_b32 v3, v3, 0, 0
	s_delay_alu instid0(VALU_DEP_1) | instskip(NEXT) | instid1(VALU_DEP_3)
	v_cmp_eq_u64_e64 s10, v[2:3], v[112:113]
	v_mov_b64_e32 v[2:3], v[0:1]
	s_and_saveexec_b32 s28, s10
; %bb.2474:                             ;   in Loop: Header=BB6_130 Depth=2
	v_bfe_u32 v2, v0, 21, 1
	v_mov_b32_e32 v3, v5
	s_delay_alu instid0(VALU_DEP_1) | instskip(NEXT) | instid1(VALU_DEP_1)
	v_add_nc_u64_e32 v[2:3], v[0:1], v[2:3]
	v_add_nc_u64_e32 v[2:3], -1, v[2:3]
; %bb.2475:                             ;   in Loop: Header=BB6_130 Depth=2
	s_or_b32 exec_lo, exec_lo, s28
	v_add_nc_u32_e32 v1, 0xffffff81, v15
	v_lshrrev_b32_e32 v3, 23, v0
	s_mov_b32 s10, exec_lo
	s_delay_alu instid0(VALU_DEP_2) | instskip(NEXT) | instid1(VALU_DEP_1)
	v_cndmask_b32_e64 v1, v1, 0xffffff82, vcc_lo
	v_add3_u32 v15, v103, v1, v3
	v_and_b32_e32 v1, 0x1fffff, v2
                                        ; implicit-def: $vgpr2
	s_delay_alu instid0(VALU_DEP_1) | instskip(NEXT) | instid1(VALU_DEP_1)
	v_dual_add_nc_u32 v3, 14, v15 :: v_dual_add_nc_u32 v4, v1, v0
                                        ; implicit-def: $vgpr0_vgpr1
	v_cmpx_ne_u32_e32 0, v3
	s_xor_b32 s10, exec_lo, s10
; %bb.2476:                             ;   in Loop: Header=BB6_130 Depth=2
	s_delay_alu instid0(VALU_DEP_2) | instskip(SKIP_1) | instid1(VALU_DEP_1)
	v_cmp_lt_u64_e32 vcc_lo, 0xffffff, v[4:5]
	v_add_nc_u32_e32 v0, 15, v15
	v_cndmask_b32_e32 v2, v3, v0, vcc_lo
	v_cndmask_b32_e64 v0, 0, 1, vcc_lo
	s_delay_alu instid0(VALU_DEP_1)
	v_lshrrev_b64 v[0:1], v0, v[4:5]
; %bb.2477:                             ;   in Loop: Header=BB6_130 Depth=2
	s_and_not1_saveexec_b32 s10, s10
; %bb.2478:                             ;   in Loop: Header=BB6_130 Depth=2
	v_mov_b64_e32 v[0:1], v[4:5]
	v_bfe_u32 v2, v4, 23, 1
; %bb.2479:                             ;   in Loop: Header=BB6_130 Depth=2
	s_or_b32 exec_lo, exec_lo, s10
	s_delay_alu instid0(VALU_DEP_2) | instskip(NEXT) | instid1(VALU_DEP_2)
	v_lshrrev_b64 v[0:1], 21, v[0:1]
	v_cmp_gt_i32_e32 vcc_lo, 32, v2
	v_min_i32_e32 v3, 31, v2
	v_cmp_eq_u32_e64 s10, 0, v2
	s_delay_alu instid0(VALU_DEP_2) | instskip(SKIP_1) | instid1(VALU_DEP_2)
	v_dual_cndmask_b32 v1, 0, v1, vcc_lo :: v_dual_lshlrev_b32 v3, 2, v3
	v_cndmask_b32_e32 v0, 3, v0, vcc_lo
	v_and_b32_e32 v3, 0xfc, v3
	s_delay_alu instid0(VALU_DEP_2) | instskip(NEXT) | instid1(VALU_DEP_2)
	v_cmp_eq_u64_e32 vcc_lo, 0, v[0:1]
	v_and_or_b32 v0, v0, 3, v3
	s_and_b32 s10, s10, vcc_lo
	s_delay_alu instid0(VALU_DEP_1) | instid1(SALU_CYCLE_1)
	v_cndmask_b32_e64 v0, v0, 0, s10
	s_delay_alu instid0(VALU_DEP_1)
	v_or_b32_e32 v15, v0, v102
.LBB6_2480:                             ;   in Loop: Header=BB6_130 Depth=2
	s_or_b32 exec_lo, exec_lo, s27
                                        ; implicit-def: $vgpr102
.LBB6_2481:                             ;   in Loop: Header=BB6_130 Depth=2
	s_and_not1_saveexec_b32 s10, s26
; %bb.2482:                             ;   in Loop: Header=BB6_130 Depth=2
	v_or_b32_e32 v15, 0x7b, v102
; %bb.2483:                             ;   in Loop: Header=BB6_130 Depth=2
	s_or_b32 exec_lo, exec_lo, s10
                                        ; implicit-def: $vgpr0
                                        ; implicit-def: $vgpr1
.LBB6_2484:                             ;   in Loop: Header=BB6_130 Depth=2
	s_and_not1_saveexec_b32 s10, s25
	s_cbranch_execz .LBB6_2490
; %bb.2485:                             ;   in Loop: Header=BB6_130 Depth=2
	s_mov_b32 s25, exec_lo
                                        ; implicit-def: $vgpr15
	v_cmpx_ne_u64_e32 0, v[4:5]
	s_xor_b32 s25, exec_lo, s25
; %bb.2486:                             ;   in Loop: Header=BB6_130 Depth=2
	v_or_b32_e32 v15, 0x7f, v1
                                        ; implicit-def: $vgpr0
; %bb.2487:                             ;   in Loop: Header=BB6_130 Depth=2
	s_and_not1_saveexec_b32 s25, s25
; %bb.2488:                             ;   in Loop: Header=BB6_130 Depth=2
	v_cmp_lt_i32_e32 vcc_lo, -1, v0
	v_cndmask_b32_e32 v15, 0xfc, v108, vcc_lo
; %bb.2489:                             ;   in Loop: Header=BB6_130 Depth=2
	s_or_b32 exec_lo, exec_lo, s25
.LBB6_2490:                             ;   in Loop: Header=BB6_130 Depth=2
	s_delay_alu instid0(SALU_CYCLE_1)
	s_or_b32 exec_lo, exec_lo, s10
	v_dual_mov_b32 v1, 0 :: v_dual_mov_b32 v2, 0
	s_mov_b32 s25, exec_lo
	v_cmpx_lt_u32_e32 0xffffff, v16
	s_cbranch_execz .LBB6_2500
; %bb.2491:                             ;   in Loop: Header=BB6_130 Depth=2
	v_lshrrev_b32_e32 v0, 24, v16
	v_bfrev_b32_e32 v2, 1
	s_mov_b32 s26, exec_lo
	s_delay_alu instid0(VALU_DEP_2)
	v_cmpx_ne_u32_e32 0x80, v0
	s_cbranch_execz .LBB6_2499
; %bb.2492:                             ;   in Loop: Header=BB6_130 Depth=2
	v_and_b32_e32 v2, 0x7c000000, v16
	v_bfe_u32 v3, v16, 24, 2
	s_delay_alu instid0(VALU_DEP_2) | instskip(SKIP_1) | instid1(SALU_CYCLE_1)
	v_cmp_ne_u32_e32 vcc_lo, 0x7c000000, v2
                                        ; implicit-def: $vgpr2
	s_and_saveexec_b32 s10, vcc_lo
	s_xor_b32 s10, exec_lo, s10
	s_cbranch_execz .LBB6_2496
; %bb.2493:                             ;   in Loop: Header=BB6_130 Depth=2
	v_bfe_u32 v2, v16, 26, 5
	s_mov_b32 s27, exec_lo
	s_delay_alu instid0(VALU_DEP_1)
	v_cmpx_eq_u32_e32 0, v2
; %bb.2494:                             ;   in Loop: Header=BB6_130 Depth=2
	v_clz_i32_u32_e32 v2, v3
	s_delay_alu instid0(VALU_DEP_1) | instskip(NEXT) | instid1(VALU_DEP_1)
	v_min_u32_e32 v2, 32, v2
	v_subrev_nc_u32_e32 v3, 29, v2
	v_sub_nc_u32_e32 v2, 30, v2
	s_delay_alu instid0(VALU_DEP_2) | instskip(NEXT) | instid1(VALU_DEP_1)
	v_lshlrev_b64_e32 v[102:103], v3, v[0:1]
	v_and_b32_e32 v3, 3, v102
; %bb.2495:                             ;   in Loop: Header=BB6_130 Depth=2
	s_or_b32 exec_lo, exec_lo, s27
	v_and_b32_e32 v0, 0x80000000, v16
	s_delay_alu instid0(VALU_DEP_1) | instskip(NEXT) | instid1(VALU_DEP_1)
	v_lshl_add_u32 v0, v2, 23, v0
	v_lshl_or_b32 v0, v3, 21, v0
                                        ; implicit-def: $vgpr3
	s_delay_alu instid0(VALU_DEP_1)
	v_add_nc_u32_e32 v2, 0x38000000, v0
.LBB6_2496:                             ;   in Loop: Header=BB6_130 Depth=2
	s_and_not1_saveexec_b32 s27, s10
; %bb.2497:                             ;   in Loop: Header=BB6_130 Depth=2
	v_cmp_lt_i32_e64 s10, -1, v16
	v_cmp_eq_u32_e32 vcc_lo, 0, v3
	s_delay_alu instid0(VALU_DEP_2) | instskip(NEXT) | instid1(VALU_DEP_1)
	v_cndmask_b32_e64 v0, 0xff800000, v109, s10
	v_cndmask_b32_e32 v2, 0x7f800001, v0, vcc_lo
; %bb.2498:                             ;   in Loop: Header=BB6_130 Depth=2
	s_or_b32 exec_lo, exec_lo, s27
.LBB6_2499:                             ;   in Loop: Header=BB6_130 Depth=2
	s_delay_alu instid0(SALU_CYCLE_1)
	s_or_b32 exec_lo, exec_lo, s26
.LBB6_2500:                             ;   in Loop: Header=BB6_130 Depth=2
	s_delay_alu instid0(SALU_CYCLE_1) | instskip(NEXT) | instid1(SALU_CYCLE_1)
	s_or_b32 exec_lo, exec_lo, s25
	s_mov_b32 s25, exec_lo
	v_cmpx_lt_u32_e32 0xffffff, v12
	s_cbranch_execz .LBB6_2510
; %bb.2501:                             ;   in Loop: Header=BB6_130 Depth=2
	v_lshrrev_b32_e32 v0, 24, v12
	v_bfrev_b32_e32 v1, 1
	s_mov_b32 s26, exec_lo
	s_delay_alu instid0(VALU_DEP_2)
	v_cmpx_ne_u32_e32 0x80, v0
	s_cbranch_execz .LBB6_2509
; %bb.2502:                             ;   in Loop: Header=BB6_130 Depth=2
	v_and_b32_e32 v1, 0x7c000000, v12
	v_bfe_u32 v3, v12, 24, 2
	s_delay_alu instid0(VALU_DEP_2) | instskip(SKIP_1) | instid1(SALU_CYCLE_1)
	v_cmp_ne_u32_e32 vcc_lo, 0x7c000000, v1
                                        ; implicit-def: $vgpr1
	s_and_saveexec_b32 s10, vcc_lo
	s_xor_b32 s10, exec_lo, s10
	s_cbranch_execz .LBB6_2506
; %bb.2503:                             ;   in Loop: Header=BB6_130 Depth=2
	v_bfe_u32 v1, v12, 26, 5
	s_mov_b32 s27, exec_lo
	s_delay_alu instid0(VALU_DEP_1)
	v_cmpx_eq_u32_e32 0, v1
; %bb.2504:                             ;   in Loop: Header=BB6_130 Depth=2
	v_clz_i32_u32_e32 v1, v3
	s_delay_alu instid0(VALU_DEP_1) | instskip(NEXT) | instid1(VALU_DEP_1)
	v_min_u32_e32 v3, 32, v1
	v_subrev_nc_u32_e32 v1, 29, v3
	s_delay_alu instid0(VALU_DEP_1) | instskip(NEXT) | instid1(VALU_DEP_1)
	v_lshlrev_b64_e32 v[0:1], v1, v[0:1]
	v_dual_sub_nc_u32 v1, 30, v3 :: v_dual_bitop2_b32 v3, 3, v0 bitop3:0x40
; %bb.2505:                             ;   in Loop: Header=BB6_130 Depth=2
	s_or_b32 exec_lo, exec_lo, s27
	v_and_b32_e32 v0, 0x80000000, v12
	s_delay_alu instid0(VALU_DEP_1) | instskip(NEXT) | instid1(VALU_DEP_1)
	v_lshl_add_u32 v0, v1, 23, v0
	v_lshl_or_b32 v0, v3, 21, v0
                                        ; implicit-def: $vgpr3
	s_delay_alu instid0(VALU_DEP_1)
	v_add_nc_u32_e32 v1, 0x38000000, v0
.LBB6_2506:                             ;   in Loop: Header=BB6_130 Depth=2
	s_and_not1_saveexec_b32 s27, s10
; %bb.2507:                             ;   in Loop: Header=BB6_130 Depth=2
	v_cmp_lt_i32_e64 s10, -1, v12
	v_cmp_eq_u32_e32 vcc_lo, 0, v3
	s_delay_alu instid0(VALU_DEP_2) | instskip(NEXT) | instid1(VALU_DEP_1)
	v_cndmask_b32_e64 v0, 0xff800000, v109, s10
	v_cndmask_b32_e32 v1, 0x7f800001, v0, vcc_lo
; %bb.2508:                             ;   in Loop: Header=BB6_130 Depth=2
	s_or_b32 exec_lo, exec_lo, s27
.LBB6_2509:                             ;   in Loop: Header=BB6_130 Depth=2
	s_delay_alu instid0(SALU_CYCLE_1)
	s_or_b32 exec_lo, exec_lo, s26
.LBB6_2510:                             ;   in Loop: Header=BB6_130 Depth=2
	s_delay_alu instid0(SALU_CYCLE_1) | instskip(NEXT) | instid1(VALU_DEP_1)
	s_or_b32 exec_lo, exec_lo, s25
	v_dual_mul_f32 v0, v2, v1 :: v_dual_mov_b32 v3, v5
                                        ; implicit-def: $vgpr102
	s_mov_b32 s10, exec_lo
	s_delay_alu instid0(VALU_DEP_1) | instskip(SKIP_2) | instid1(VALU_DEP_3)
	v_and_b32_e32 v2, 0x7f800000, v0
	v_and_b32_e32 v4, 0x7fffff, v0
	v_lshrrev_b32_e32 v1, 24, v0
	v_cmpx_ne_u64_e32 0x7f800000, v[2:3]
	s_xor_b32 s25, exec_lo, s10
	s_cbranch_execz .LBB6_2524
; %bb.2511:                             ;   in Loop: Header=BB6_130 Depth=2
	v_and_b32_e32 v2, 0x7fffffff, v0
	v_mov_b32_e32 v3, v5
	v_and_b32_e32 v103, 0x80, v1
                                        ; implicit-def: $vgpr102
	s_mov_b32 s10, exec_lo
	s_delay_alu instid0(VALU_DEP_2)
	v_cmpx_gt_u64_e32 0x47600001, v[2:3]
	s_xor_b32 s26, exec_lo, s10
	s_cbranch_execz .LBB6_2521
; %bb.2512:                             ;   in Loop: Header=BB6_130 Depth=2
	v_mov_b32_e32 v102, 0
	s_mov_b32 s27, exec_lo
	v_cmpx_ne_u32_e32 0, v0
	s_cbranch_execz .LBB6_2520
; %bb.2513:                             ;   in Loop: Header=BB6_130 Depth=2
	v_bfe_u32 v102, v0, 23, 8
	v_or_b32_e32 v1, 0x800000, v4
	s_delay_alu instid0(VALU_DEP_2) | instskip(SKIP_2) | instid1(VALU_DEP_2)
	v_cmp_gt_u32_e64 s10, 0x72, v102
	v_sub_nc_u32_e32 v0, 0x71, v102
	v_cmp_eq_u32_e32 vcc_lo, 0, v102
	v_cndmask_b32_e64 v0, 0, v0, s10
	s_delay_alu instid0(VALU_DEP_1) | instskip(SKIP_1) | instid1(VALU_DEP_2)
	v_cndmask_b32_e64 v112, v0, 0x70, vcc_lo
	v_cndmask_b32_e32 v0, v1, v4, vcc_lo
	v_dual_mov_b32 v1, v5 :: v_dual_add_nc_u32 v2, 21, v112
	v_add_nc_u32_e32 v4, 20, v112
	s_delay_alu instid0(VALU_DEP_2) | instskip(NEXT) | instid1(VALU_DEP_2)
	v_lshlrev_b64_e64 v[2:3], v2, -1
	v_lshlrev_b64_e64 v[114:115], v4, 1
	s_delay_alu instid0(VALU_DEP_2) | instskip(SKIP_1) | instid1(VALU_DEP_4)
	v_bfi_b32 v2, v2, 0, v0
	v_lshrrev_b64 v[0:1], v112, v[0:1]
	v_bfi_b32 v3, v3, 0, 0
	s_delay_alu instid0(VALU_DEP_1) | instskip(NEXT) | instid1(VALU_DEP_3)
	v_cmp_eq_u64_e64 s10, v[2:3], v[114:115]
	v_mov_b64_e32 v[2:3], v[0:1]
	s_and_saveexec_b32 s28, s10
; %bb.2514:                             ;   in Loop: Header=BB6_130 Depth=2
	v_bfe_u32 v2, v0, 21, 1
	v_mov_b32_e32 v3, v5
	s_delay_alu instid0(VALU_DEP_1) | instskip(NEXT) | instid1(VALU_DEP_1)
	v_add_nc_u64_e32 v[2:3], v[0:1], v[2:3]
	v_add_nc_u64_e32 v[2:3], -1, v[2:3]
; %bb.2515:                             ;   in Loop: Header=BB6_130 Depth=2
	s_or_b32 exec_lo, exec_lo, s28
	v_add_nc_u32_e32 v1, 0xffffff81, v102
	v_lshrrev_b32_e32 v3, 23, v0
	s_mov_b32 s10, exec_lo
	s_delay_alu instid0(VALU_DEP_2) | instskip(NEXT) | instid1(VALU_DEP_1)
	v_cndmask_b32_e64 v1, v1, 0xffffff82, vcc_lo
	v_add3_u32 v102, v112, v1, v3
	v_and_b32_e32 v1, 0x1fffff, v2
                                        ; implicit-def: $vgpr2
	s_delay_alu instid0(VALU_DEP_1) | instskip(NEXT) | instid1(VALU_DEP_1)
	v_dual_add_nc_u32 v3, 14, v102 :: v_dual_add_nc_u32 v4, v1, v0
                                        ; implicit-def: $vgpr0_vgpr1
	v_cmpx_ne_u32_e32 0, v3
	s_xor_b32 s10, exec_lo, s10
; %bb.2516:                             ;   in Loop: Header=BB6_130 Depth=2
	s_delay_alu instid0(VALU_DEP_2) | instskip(SKIP_1) | instid1(VALU_DEP_1)
	v_cmp_lt_u64_e32 vcc_lo, 0xffffff, v[4:5]
	v_add_nc_u32_e32 v0, 15, v102
	v_cndmask_b32_e32 v2, v3, v0, vcc_lo
	v_cndmask_b32_e64 v0, 0, 1, vcc_lo
	s_delay_alu instid0(VALU_DEP_1)
	v_lshrrev_b64 v[0:1], v0, v[4:5]
; %bb.2517:                             ;   in Loop: Header=BB6_130 Depth=2
	s_and_not1_saveexec_b32 s10, s10
; %bb.2518:                             ;   in Loop: Header=BB6_130 Depth=2
	v_mov_b64_e32 v[0:1], v[4:5]
	v_bfe_u32 v2, v4, 23, 1
; %bb.2519:                             ;   in Loop: Header=BB6_130 Depth=2
	s_or_b32 exec_lo, exec_lo, s10
	s_delay_alu instid0(VALU_DEP_2) | instskip(NEXT) | instid1(VALU_DEP_2)
	v_lshrrev_b64 v[0:1], 21, v[0:1]
	v_cmp_gt_i32_e32 vcc_lo, 32, v2
	v_min_i32_e32 v3, 31, v2
	v_cmp_eq_u32_e64 s10, 0, v2
	s_delay_alu instid0(VALU_DEP_2) | instskip(SKIP_1) | instid1(VALU_DEP_2)
	v_dual_cndmask_b32 v1, 0, v1, vcc_lo :: v_dual_lshlrev_b32 v3, 2, v3
	v_cndmask_b32_e32 v0, 3, v0, vcc_lo
	v_and_b32_e32 v3, 0xfc, v3
	s_delay_alu instid0(VALU_DEP_2) | instskip(NEXT) | instid1(VALU_DEP_2)
	v_cmp_eq_u64_e32 vcc_lo, 0, v[0:1]
	v_and_or_b32 v0, v0, 3, v3
	s_and_b32 s10, s10, vcc_lo
	s_delay_alu instid0(VALU_DEP_1) | instid1(SALU_CYCLE_1)
	v_cndmask_b32_e64 v0, v0, 0, s10
	s_delay_alu instid0(VALU_DEP_1)
	v_or_b32_e32 v102, v0, v103
.LBB6_2520:                             ;   in Loop: Header=BB6_130 Depth=2
	s_or_b32 exec_lo, exec_lo, s27
                                        ; implicit-def: $vgpr103
.LBB6_2521:                             ;   in Loop: Header=BB6_130 Depth=2
	s_and_not1_saveexec_b32 s10, s26
; %bb.2522:                             ;   in Loop: Header=BB6_130 Depth=2
	v_or_b32_e32 v102, 0x7b, v103
; %bb.2523:                             ;   in Loop: Header=BB6_130 Depth=2
	s_or_b32 exec_lo, exec_lo, s10
                                        ; implicit-def: $vgpr0
                                        ; implicit-def: $vgpr1
.LBB6_2524:                             ;   in Loop: Header=BB6_130 Depth=2
	s_and_not1_saveexec_b32 s10, s25
	s_cbranch_execz .LBB6_2530
; %bb.2525:                             ;   in Loop: Header=BB6_130 Depth=2
	s_mov_b32 s25, exec_lo
                                        ; implicit-def: $vgpr102
	v_cmpx_ne_u64_e32 0, v[4:5]
	s_xor_b32 s25, exec_lo, s25
; %bb.2526:                             ;   in Loop: Header=BB6_130 Depth=2
	v_or_b32_e32 v102, 0x7f, v1
                                        ; implicit-def: $vgpr0
; %bb.2527:                             ;   in Loop: Header=BB6_130 Depth=2
	s_and_not1_saveexec_b32 s25, s25
; %bb.2528:                             ;   in Loop: Header=BB6_130 Depth=2
	v_cmp_lt_i32_e32 vcc_lo, -1, v0
	v_cndmask_b32_e32 v102, 0xfc, v108, vcc_lo
; %bb.2529:                             ;   in Loop: Header=BB6_130 Depth=2
	s_or_b32 exec_lo, exec_lo, s25
.LBB6_2530:                             ;   in Loop: Header=BB6_130 Depth=2
	s_delay_alu instid0(SALU_CYCLE_1) | instskip(SKIP_4) | instid1(VALU_DEP_3)
	s_or_b32 exec_lo, exec_lo, s10
	v_and_b32_e32 v2, 0xff, v17
	v_dual_mov_b32 v4, v17 :: v_dual_mov_b32 v1, 0
	v_mov_b32_e32 v0, 0
	s_mov_b32 s25, exec_lo
	v_cmpx_ne_u16_e32 0, v2
	s_cbranch_execz .LBB6_2540
; %bb.2531:                             ;   in Loop: Header=BB6_130 Depth=2
	v_bfrev_b32_e32 v0, 1
	s_mov_b32 s26, exec_lo
	v_cmpx_ne_u16_e32 0x80, v2
	s_cbranch_execz .LBB6_2539
; %bb.2532:                             ;   in Loop: Header=BB6_130 Depth=2
	v_and_b32_e32 v0, 0x7c, v17
	v_and_b32_e32 v2, 3, v17
	s_delay_alu instid0(VALU_DEP_2) | instskip(SKIP_1) | instid1(SALU_CYCLE_1)
	v_cmp_ne_u32_e32 vcc_lo, 0x7c, v0
                                        ; implicit-def: $vgpr0
	s_and_saveexec_b32 s10, vcc_lo
	s_xor_b32 s10, exec_lo, s10
	s_cbranch_execz .LBB6_2536
; %bb.2533:                             ;   in Loop: Header=BB6_130 Depth=2
	v_bfe_u32 v0, v17, 2, 5
	s_mov_b32 s27, exec_lo
	s_delay_alu instid0(VALU_DEP_1)
	v_cmpx_eq_u32_e32 0, v0
; %bb.2534:                             ;   in Loop: Header=BB6_130 Depth=2
	v_clz_i32_u32_e32 v0, v2
	s_delay_alu instid0(VALU_DEP_1) | instskip(NEXT) | instid1(VALU_DEP_1)
	v_min_u32_e32 v0, 32, v0
	v_subrev_nc_u32_e32 v2, 29, v0
	s_delay_alu instid0(VALU_DEP_1) | instskip(NEXT) | instid1(VALU_DEP_1)
	v_lshlrev_b64_e32 v[2:3], v2, v[4:5]
	v_dual_sub_nc_u32 v0, 30, v0 :: v_dual_bitop2_b32 v2, 3, v2 bitop3:0x40
; %bb.2535:                             ;   in Loop: Header=BB6_130 Depth=2
	s_or_b32 exec_lo, exec_lo, s27
	v_lshlrev_b32_e32 v3, 24, v17
	s_delay_alu instid0(VALU_DEP_1) | instskip(NEXT) | instid1(VALU_DEP_1)
	v_and_b32_e32 v3, 0x80000000, v3
	v_lshl_add_u32 v0, v0, 23, v3
	s_delay_alu instid0(VALU_DEP_1) | instskip(NEXT) | instid1(VALU_DEP_1)
	v_lshl_or_b32 v0, v2, 21, v0
                                        ; implicit-def: $vgpr2
	v_add_nc_u32_e32 v0, 0x38000000, v0
.LBB6_2536:                             ;   in Loop: Header=BB6_130 Depth=2
	s_and_not1_saveexec_b32 s27, s10
; %bb.2537:                             ;   in Loop: Header=BB6_130 Depth=2
	v_bfe_i32 v0, v17, 0, 8
	v_cmp_eq_u32_e32 vcc_lo, 0, v2
	s_delay_alu instid0(VALU_DEP_2) | instskip(NEXT) | instid1(VALU_DEP_1)
	v_cmp_lt_i16_e64 s10, -1, v0
	v_cndmask_b32_e64 v0, 0xff800000, v109, s10
	s_delay_alu instid0(VALU_DEP_1)
	v_cndmask_b32_e32 v0, 0x7f800001, v0, vcc_lo
; %bb.2538:                             ;   in Loop: Header=BB6_130 Depth=2
	s_or_b32 exec_lo, exec_lo, s27
.LBB6_2539:                             ;   in Loop: Header=BB6_130 Depth=2
	s_delay_alu instid0(SALU_CYCLE_1)
	s_or_b32 exec_lo, exec_lo, s26
.LBB6_2540:                             ;   in Loop: Header=BB6_130 Depth=2
	s_delay_alu instid0(SALU_CYCLE_1) | instskip(SKIP_2) | instid1(VALU_DEP_1)
	s_or_b32 exec_lo, exec_lo, s25
	v_and_b32_e32 v2, 0xff, v13
	s_mov_b32 s25, exec_lo
	v_cmpx_ne_u16_e32 0, v2
	s_cbranch_execz .LBB6_2550
; %bb.2541:                             ;   in Loop: Header=BB6_130 Depth=2
	v_bfrev_b32_e32 v1, 1
	s_mov_b32 s26, exec_lo
	v_cmpx_ne_u16_e32 0x80, v2
	s_cbranch_execz .LBB6_2549
; %bb.2542:                             ;   in Loop: Header=BB6_130 Depth=2
	v_and_b32_e32 v1, 0x7c, v13
	v_and_b32_e32 v2, 3, v13
	s_delay_alu instid0(VALU_DEP_2) | instskip(SKIP_1) | instid1(SALU_CYCLE_1)
	v_cmp_ne_u32_e32 vcc_lo, 0x7c, v1
                                        ; implicit-def: $vgpr1
	s_and_saveexec_b32 s10, vcc_lo
	s_xor_b32 s10, exec_lo, s10
	s_cbranch_execz .LBB6_2546
; %bb.2543:                             ;   in Loop: Header=BB6_130 Depth=2
	v_bfe_u32 v1, v13, 2, 5
	s_mov_b32 s27, exec_lo
	s_delay_alu instid0(VALU_DEP_1)
	v_cmpx_eq_u32_e32 0, v1
; %bb.2544:                             ;   in Loop: Header=BB6_130 Depth=2
	v_clz_i32_u32_e32 v1, v2
	v_dual_mov_b32 v2, v13 :: v_dual_mov_b32 v3, v5
	s_delay_alu instid0(VALU_DEP_2) | instskip(NEXT) | instid1(VALU_DEP_1)
	v_min_u32_e32 v1, 32, v1
	v_subrev_nc_u32_e32 v103, 29, v1
	s_delay_alu instid0(VALU_DEP_1) | instskip(NEXT) | instid1(VALU_DEP_1)
	v_lshlrev_b64_e32 v[2:3], v103, v[2:3]
	v_dual_sub_nc_u32 v1, 30, v1 :: v_dual_bitop2_b32 v2, 3, v2 bitop3:0x40
; %bb.2545:                             ;   in Loop: Header=BB6_130 Depth=2
	s_or_b32 exec_lo, exec_lo, s27
	v_lshlrev_b32_e32 v3, 24, v13
	s_delay_alu instid0(VALU_DEP_1) | instskip(NEXT) | instid1(VALU_DEP_1)
	v_and_b32_e32 v3, 0x80000000, v3
	v_lshl_add_u32 v1, v1, 23, v3
	s_delay_alu instid0(VALU_DEP_1) | instskip(NEXT) | instid1(VALU_DEP_1)
	v_lshl_or_b32 v1, v2, 21, v1
                                        ; implicit-def: $vgpr2
	v_add_nc_u32_e32 v1, 0x38000000, v1
.LBB6_2546:                             ;   in Loop: Header=BB6_130 Depth=2
	s_and_not1_saveexec_b32 s27, s10
; %bb.2547:                             ;   in Loop: Header=BB6_130 Depth=2
	v_bfe_i32 v1, v13, 0, 8
	v_cmp_eq_u32_e32 vcc_lo, 0, v2
	s_delay_alu instid0(VALU_DEP_2) | instskip(NEXT) | instid1(VALU_DEP_1)
	v_cmp_lt_i16_e64 s10, -1, v1
	v_cndmask_b32_e64 v1, 0xff800000, v109, s10
	s_delay_alu instid0(VALU_DEP_1)
	v_cndmask_b32_e32 v1, 0x7f800001, v1, vcc_lo
; %bb.2548:                             ;   in Loop: Header=BB6_130 Depth=2
	s_or_b32 exec_lo, exec_lo, s27
.LBB6_2549:                             ;   in Loop: Header=BB6_130 Depth=2
	s_delay_alu instid0(SALU_CYCLE_1)
	s_or_b32 exec_lo, exec_lo, s26
.LBB6_2550:                             ;   in Loop: Header=BB6_130 Depth=2
	s_delay_alu instid0(SALU_CYCLE_1) | instskip(NEXT) | instid1(VALU_DEP_1)
	s_or_b32 exec_lo, exec_lo, s25
	v_dual_mul_f32 v2, v0, v1 :: v_dual_mov_b32 v113, v5
	v_mov_b32_e32 v1, v5
                                        ; implicit-def: $vgpr103
	s_mov_b32 s10, exec_lo
	s_delay_alu instid0(VALU_DEP_2) | instskip(SKIP_2) | instid1(VALU_DEP_3)
	v_and_b32_e32 v112, 0x7f800000, v2
	v_and_b32_e32 v0, 0x7fffff, v2
	v_lshrrev_b32_e32 v3, 24, v2
	v_cmpx_ne_u64_e32 0x7f800000, v[112:113]
	s_xor_b32 s25, exec_lo, s10
	s_cbranch_execz .LBB6_2564
; %bb.2551:                             ;   in Loop: Header=BB6_130 Depth=2
	v_and_b32_e32 v112, 0x7fffffff, v2
	v_mov_b32_e32 v113, v5
                                        ; implicit-def: $vgpr103
	s_delay_alu instid0(VALU_DEP_1) | instskip(SKIP_2) | instid1(SALU_CYCLE_1)
	v_cmp_gt_u64_e32 vcc_lo, 0x47600001, v[112:113]
	v_and_b32_e32 v112, 0x80, v3
	s_and_saveexec_b32 s10, vcc_lo
	s_xor_b32 s26, exec_lo, s10
	s_cbranch_execz .LBB6_2561
; %bb.2552:                             ;   in Loop: Header=BB6_130 Depth=2
	v_mov_b32_e32 v103, 0
	s_mov_b32 s27, exec_lo
	v_cmpx_ne_u32_e32 0, v2
	s_cbranch_execz .LBB6_2560
; %bb.2553:                             ;   in Loop: Header=BB6_130 Depth=2
	v_bfe_u32 v103, v2, 23, 8
	v_or_b32_e32 v3, 0x800000, v0
	s_delay_alu instid0(VALU_DEP_2) | instskip(SKIP_2) | instid1(VALU_DEP_2)
	v_cmp_gt_u32_e64 s10, 0x72, v103
	v_sub_nc_u32_e32 v2, 0x71, v103
	v_cmp_eq_u32_e32 vcc_lo, 0, v103
	v_dual_cndmask_b32 v2, 0, v2, s10 :: v_dual_cndmask_b32 v0, v3, v0, vcc_lo
	s_delay_alu instid0(VALU_DEP_1) | instskip(NEXT) | instid1(VALU_DEP_1)
	v_cndmask_b32_e64 v113, v2, 0x70, vcc_lo
	v_dual_add_nc_u32 v2, 21, v113 :: v_dual_add_nc_u32 v114, 20, v113
	s_delay_alu instid0(VALU_DEP_1) | instskip(NEXT) | instid1(VALU_DEP_2)
	v_lshlrev_b64_e64 v[2:3], v2, -1
	v_lshlrev_b64_e64 v[114:115], v114, 1
	s_delay_alu instid0(VALU_DEP_2) | instskip(SKIP_1) | instid1(VALU_DEP_4)
	v_bfi_b32 v2, v2, 0, v0
	v_lshrrev_b64 v[0:1], v113, v[0:1]
	v_bfi_b32 v3, v3, 0, 0
	s_delay_alu instid0(VALU_DEP_1) | instskip(NEXT) | instid1(VALU_DEP_3)
	v_cmp_eq_u64_e64 s10, v[2:3], v[114:115]
	v_mov_b64_e32 v[2:3], v[0:1]
	s_and_saveexec_b32 s28, s10
; %bb.2554:                             ;   in Loop: Header=BB6_130 Depth=2
	v_bfe_u32 v2, v0, 21, 1
	v_mov_b32_e32 v3, v5
	s_delay_alu instid0(VALU_DEP_1) | instskip(NEXT) | instid1(VALU_DEP_1)
	v_add_nc_u64_e32 v[2:3], v[0:1], v[2:3]
	v_add_nc_u64_e32 v[2:3], -1, v[2:3]
; %bb.2555:                             ;   in Loop: Header=BB6_130 Depth=2
	s_or_b32 exec_lo, exec_lo, s28
	v_add_nc_u32_e32 v1, 0xffffff81, v103
	v_lshrrev_b32_e32 v3, 23, v0
	s_mov_b32 s10, exec_lo
	s_delay_alu instid0(VALU_DEP_2) | instskip(NEXT) | instid1(VALU_DEP_1)
	v_cndmask_b32_e64 v1, v1, 0xffffff82, vcc_lo
	v_add3_u32 v103, v113, v1, v3
	v_and_b32_e32 v1, 0x1fffff, v2
                                        ; implicit-def: $vgpr2
	s_delay_alu instid0(VALU_DEP_1) | instskip(SKIP_1) | instid1(VALU_DEP_2)
	v_dual_add_nc_u32 v3, 14, v103 :: v_dual_add_nc_u32 v0, v1, v0
	v_mov_b32_e32 v1, v5
	v_cmpx_ne_u32_e32 0, v3
	s_xor_b32 s10, exec_lo, s10
; %bb.2556:                             ;   in Loop: Header=BB6_130 Depth=2
	s_delay_alu instid0(VALU_DEP_2) | instskip(SKIP_1) | instid1(VALU_DEP_1)
	v_cmp_lt_u64_e32 vcc_lo, 0xffffff, v[0:1]
	v_add_nc_u32_e32 v2, 15, v103
	v_cndmask_b32_e32 v2, v3, v2, vcc_lo
	v_cndmask_b32_e64 v3, 0, 1, vcc_lo
	s_delay_alu instid0(VALU_DEP_1)
	v_lshrrev_b64 v[0:1], v3, v[0:1]
; %bb.2557:                             ;   in Loop: Header=BB6_130 Depth=2
	s_and_not1_saveexec_b32 s10, s10
; %bb.2558:                             ;   in Loop: Header=BB6_130 Depth=2
	s_delay_alu instid0(VALU_DEP_1)
	v_bfe_u32 v2, v0, 23, 1
; %bb.2559:                             ;   in Loop: Header=BB6_130 Depth=2
	s_or_b32 exec_lo, exec_lo, s10
	s_delay_alu instid0(VALU_DEP_2) | instskip(NEXT) | instid1(VALU_DEP_2)
	v_lshrrev_b64 v[0:1], 21, v[0:1]
	v_cmp_gt_i32_e32 vcc_lo, 32, v2
	v_min_i32_e32 v3, 31, v2
	v_cmp_eq_u32_e64 s10, 0, v2
	s_delay_alu instid0(VALU_DEP_2) | instskip(SKIP_1) | instid1(VALU_DEP_2)
	v_dual_cndmask_b32 v1, 0, v1, vcc_lo :: v_dual_lshlrev_b32 v3, 2, v3
	v_cndmask_b32_e32 v0, 3, v0, vcc_lo
	v_and_b32_e32 v3, 0xfc, v3
	s_delay_alu instid0(VALU_DEP_2) | instskip(NEXT) | instid1(VALU_DEP_2)
	v_cmp_eq_u64_e32 vcc_lo, 0, v[0:1]
	v_and_or_b32 v0, v0, 3, v3
	s_and_b32 s10, s10, vcc_lo
	s_delay_alu instid0(VALU_DEP_1) | instid1(SALU_CYCLE_1)
	v_cndmask_b32_e64 v0, v0, 0, s10
	s_delay_alu instid0(VALU_DEP_1)
	v_or_b32_e32 v103, v0, v112
.LBB6_2560:                             ;   in Loop: Header=BB6_130 Depth=2
	s_or_b32 exec_lo, exec_lo, s27
                                        ; implicit-def: $vgpr112
.LBB6_2561:                             ;   in Loop: Header=BB6_130 Depth=2
	s_and_not1_saveexec_b32 s10, s26
; %bb.2562:                             ;   in Loop: Header=BB6_130 Depth=2
	v_or_b32_e32 v103, 0x7b, v112
; %bb.2563:                             ;   in Loop: Header=BB6_130 Depth=2
	s_or_b32 exec_lo, exec_lo, s10
                                        ; implicit-def: $vgpr2
                                        ; implicit-def: $vgpr0_vgpr1
                                        ; implicit-def: $vgpr3
.LBB6_2564:                             ;   in Loop: Header=BB6_130 Depth=2
	s_and_not1_saveexec_b32 s10, s25
	s_cbranch_execz .LBB6_2570
; %bb.2565:                             ;   in Loop: Header=BB6_130 Depth=2
	s_mov_b32 s25, exec_lo
                                        ; implicit-def: $vgpr103
	v_cmpx_ne_u64_e32 0, v[0:1]
	s_xor_b32 s25, exec_lo, s25
; %bb.2566:                             ;   in Loop: Header=BB6_130 Depth=2
	v_or_b32_e32 v103, 0x7f, v3
                                        ; implicit-def: $vgpr2
; %bb.2567:                             ;   in Loop: Header=BB6_130 Depth=2
	s_and_not1_saveexec_b32 s25, s25
; %bb.2568:                             ;   in Loop: Header=BB6_130 Depth=2
	v_cmp_lt_i32_e32 vcc_lo, -1, v2
	v_cndmask_b32_e32 v103, 0xfc, v108, vcc_lo
; %bb.2569:                             ;   in Loop: Header=BB6_130 Depth=2
	s_or_b32 exec_lo, exec_lo, s25
.LBB6_2570:                             ;   in Loop: Header=BB6_130 Depth=2
	s_delay_alu instid0(SALU_CYCLE_1) | instskip(SKIP_3) | instid1(VALU_DEP_2)
	s_or_b32 exec_lo, exec_lo, s10
	v_lshrrev_b16 v0, 8, v4
	v_dual_mov_b32 v2, 0 :: v_dual_mov_b32 v3, 0
	s_mov_b32 s25, exec_lo
	v_cmpx_ne_u16_e32 0, v0
	s_cbranch_execz .LBB6_2580
; %bb.2571:                             ;   in Loop: Header=BB6_130 Depth=2
	v_bfrev_b32_e32 v3, 1
	s_mov_b32 s26, exec_lo
	v_cmpx_ne_u16_e32 0x80, v0
	s_cbranch_execz .LBB6_2579
; %bb.2572:                             ;   in Loop: Header=BB6_130 Depth=2
	v_and_b32_e32 v112, 0xffff, v0
	s_delay_alu instid0(VALU_DEP_1) | instskip(SKIP_1) | instid1(VALU_DEP_2)
	v_and_b32_e32 v3, 0x7c, v112
	v_and_b32_e32 v1, 3, v112
	v_cmp_ne_u32_e32 vcc_lo, 0x7c, v3
                                        ; implicit-def: $vgpr3
	s_and_saveexec_b32 s10, vcc_lo
	s_delay_alu instid0(SALU_CYCLE_1)
	s_xor_b32 s10, exec_lo, s10
	s_cbranch_execz .LBB6_2576
; %bb.2573:                             ;   in Loop: Header=BB6_130 Depth=2
	v_bfe_u32 v3, v112, 2, 5
	s_mov_b32 s27, exec_lo
	s_delay_alu instid0(VALU_DEP_1)
	v_cmpx_eq_u32_e32 0, v3
	s_cbranch_execz .LBB6_2575
; %bb.2574:                             ;   in Loop: Header=BB6_130 Depth=2
	v_clz_i32_u32_e32 v1, v1
	s_delay_alu instid0(VALU_DEP_1) | instskip(SKIP_1) | instid1(VALU_DEP_2)
	v_min_u32_e32 v3, 32, v1
	v_mov_b32_e32 v1, v5
	v_subrev_nc_u32_e32 v112, 29, v3
	v_sub_nc_u32_e32 v3, 30, v3
	s_delay_alu instid0(VALU_DEP_2) | instskip(NEXT) | instid1(VALU_DEP_1)
	v_lshlrev_b64_e32 v[0:1], v112, v[0:1]
	v_and_b32_e32 v1, 3, v0
.LBB6_2575:                             ;   in Loop: Header=BB6_130 Depth=2
	s_or_b32 exec_lo, exec_lo, s27
	v_lshlrev_b32_e32 v0, 16, v4
	s_delay_alu instid0(VALU_DEP_1) | instskip(NEXT) | instid1(VALU_DEP_1)
	v_and_b32_e32 v0, 0x80000000, v0
	v_lshl_add_u32 v0, v3, 23, v0
	s_delay_alu instid0(VALU_DEP_1) | instskip(NEXT) | instid1(VALU_DEP_1)
	v_lshl_or_b32 v0, v1, 21, v0
                                        ; implicit-def: $vgpr1
	v_add_nc_u32_e32 v3, 0x38000000, v0
.LBB6_2576:                             ;   in Loop: Header=BB6_130 Depth=2
	s_and_not1_saveexec_b32 s27, s10
; %bb.2577:                             ;   in Loop: Header=BB6_130 Depth=2
	v_cmp_lt_i16_e64 s10, -1, v4
	v_cmp_eq_u32_e32 vcc_lo, 0, v1
	s_delay_alu instid0(VALU_DEP_2) | instskip(NEXT) | instid1(VALU_DEP_1)
	v_cndmask_b32_e64 v0, 0xff800000, v109, s10
	v_cndmask_b32_e32 v3, 0x7f800001, v0, vcc_lo
; %bb.2578:                             ;   in Loop: Header=BB6_130 Depth=2
	s_or_b32 exec_lo, exec_lo, s27
.LBB6_2579:                             ;   in Loop: Header=BB6_130 Depth=2
	s_delay_alu instid0(SALU_CYCLE_1)
	s_or_b32 exec_lo, exec_lo, s26
.LBB6_2580:                             ;   in Loop: Header=BB6_130 Depth=2
	s_delay_alu instid0(SALU_CYCLE_1) | instskip(SKIP_2) | instid1(VALU_DEP_1)
	s_or_b32 exec_lo, exec_lo, s25
	v_lshrrev_b16 v0, 8, v13
	s_mov_b32 s25, exec_lo
	v_cmpx_ne_u16_e32 0, v0
	s_cbranch_execz .LBB6_2590
; %bb.2581:                             ;   in Loop: Header=BB6_130 Depth=2
	v_bfrev_b32_e32 v2, 1
	s_mov_b32 s26, exec_lo
	v_cmpx_ne_u16_e32 0x80, v0
	s_cbranch_execz .LBB6_2589
; %bb.2582:                             ;   in Loop: Header=BB6_130 Depth=2
	v_and_b32_e32 v4, 0xffff, v0
	s_delay_alu instid0(VALU_DEP_1) | instskip(SKIP_1) | instid1(VALU_DEP_2)
	v_and_b32_e32 v2, 0x7c, v4
	v_and_b32_e32 v1, 3, v4
	v_cmp_ne_u32_e32 vcc_lo, 0x7c, v2
                                        ; implicit-def: $vgpr2
	s_and_saveexec_b32 s10, vcc_lo
	s_delay_alu instid0(SALU_CYCLE_1)
	s_xor_b32 s10, exec_lo, s10
	s_cbranch_execz .LBB6_2586
; %bb.2583:                             ;   in Loop: Header=BB6_130 Depth=2
	v_bfe_u32 v2, v4, 2, 5
	s_mov_b32 s27, exec_lo
	s_delay_alu instid0(VALU_DEP_1)
	v_cmpx_eq_u32_e32 0, v2
	s_cbranch_execz .LBB6_2585
; %bb.2584:                             ;   in Loop: Header=BB6_130 Depth=2
	v_clz_i32_u32_e32 v1, v1
	s_delay_alu instid0(VALU_DEP_1) | instskip(SKIP_1) | instid1(VALU_DEP_2)
	v_min_u32_e32 v2, 32, v1
	v_mov_b32_e32 v1, v5
	v_subrev_nc_u32_e32 v4, 29, v2
	v_sub_nc_u32_e32 v2, 30, v2
	s_delay_alu instid0(VALU_DEP_2) | instskip(NEXT) | instid1(VALU_DEP_1)
	v_lshlrev_b64_e32 v[0:1], v4, v[0:1]
	v_and_b32_e32 v1, 3, v0
.LBB6_2585:                             ;   in Loop: Header=BB6_130 Depth=2
	s_or_b32 exec_lo, exec_lo, s27
	v_lshlrev_b32_e32 v0, 16, v13
	s_delay_alu instid0(VALU_DEP_1) | instskip(NEXT) | instid1(VALU_DEP_1)
	v_and_b32_e32 v0, 0x80000000, v0
	v_lshl_add_u32 v0, v2, 23, v0
	s_delay_alu instid0(VALU_DEP_1) | instskip(NEXT) | instid1(VALU_DEP_1)
	v_lshl_or_b32 v0, v1, 21, v0
                                        ; implicit-def: $vgpr1
	v_add_nc_u32_e32 v2, 0x38000000, v0
.LBB6_2586:                             ;   in Loop: Header=BB6_130 Depth=2
	s_and_not1_saveexec_b32 s27, s10
; %bb.2587:                             ;   in Loop: Header=BB6_130 Depth=2
	v_cmp_lt_i16_e64 s10, -1, v13
	v_cmp_eq_u32_e32 vcc_lo, 0, v1
	s_delay_alu instid0(VALU_DEP_2) | instskip(NEXT) | instid1(VALU_DEP_1)
	v_cndmask_b32_e64 v0, 0xff800000, v109, s10
	v_cndmask_b32_e32 v2, 0x7f800001, v0, vcc_lo
; %bb.2588:                             ;   in Loop: Header=BB6_130 Depth=2
	s_or_b32 exec_lo, exec_lo, s27
.LBB6_2589:                             ;   in Loop: Header=BB6_130 Depth=2
	s_delay_alu instid0(SALU_CYCLE_1)
	s_or_b32 exec_lo, exec_lo, s26
.LBB6_2590:                             ;   in Loop: Header=BB6_130 Depth=2
	s_delay_alu instid0(SALU_CYCLE_1) | instskip(NEXT) | instid1(VALU_DEP_1)
	s_or_b32 exec_lo, exec_lo, s25
	v_dual_mul_f32 v0, v3, v2 :: v_dual_mov_b32 v3, v5
                                        ; implicit-def: $vgpr112
	s_mov_b32 s10, exec_lo
	s_delay_alu instid0(VALU_DEP_1) | instskip(SKIP_2) | instid1(VALU_DEP_3)
	v_and_b32_e32 v2, 0x7f800000, v0
	v_and_b32_e32 v4, 0x7fffff, v0
	v_lshrrev_b32_e32 v1, 24, v0
	v_cmpx_ne_u64_e32 0x7f800000, v[2:3]
	s_xor_b32 s25, exec_lo, s10
	s_cbranch_execz .LBB6_2604
; %bb.2591:                             ;   in Loop: Header=BB6_130 Depth=2
	v_and_b32_e32 v2, 0x7fffffff, v0
	v_mov_b32_e32 v3, v5
	v_and_b32_e32 v113, 0x80, v1
                                        ; implicit-def: $vgpr112
	s_mov_b32 s10, exec_lo
	s_delay_alu instid0(VALU_DEP_2)
	v_cmpx_gt_u64_e32 0x47600001, v[2:3]
	s_xor_b32 s26, exec_lo, s10
	s_cbranch_execz .LBB6_2601
; %bb.2592:                             ;   in Loop: Header=BB6_130 Depth=2
	v_mov_b32_e32 v112, 0
	s_mov_b32 s27, exec_lo
	v_cmpx_ne_u32_e32 0, v0
	s_cbranch_execz .LBB6_2600
; %bb.2593:                             ;   in Loop: Header=BB6_130 Depth=2
	v_bfe_u32 v112, v0, 23, 8
	v_or_b32_e32 v1, 0x800000, v4
	s_delay_alu instid0(VALU_DEP_2) | instskip(SKIP_2) | instid1(VALU_DEP_2)
	v_cmp_gt_u32_e64 s10, 0x72, v112
	v_sub_nc_u32_e32 v0, 0x71, v112
	v_cmp_eq_u32_e32 vcc_lo, 0, v112
	v_cndmask_b32_e64 v0, 0, v0, s10
	s_delay_alu instid0(VALU_DEP_1) | instskip(SKIP_1) | instid1(VALU_DEP_2)
	v_cndmask_b32_e64 v114, v0, 0x70, vcc_lo
	v_cndmask_b32_e32 v0, v1, v4, vcc_lo
	v_dual_mov_b32 v1, v5 :: v_dual_add_nc_u32 v2, 21, v114
	v_add_nc_u32_e32 v4, 20, v114
	s_delay_alu instid0(VALU_DEP_2) | instskip(NEXT) | instid1(VALU_DEP_2)
	v_lshlrev_b64_e64 v[2:3], v2, -1
	v_lshlrev_b64_e64 v[116:117], v4, 1
	s_delay_alu instid0(VALU_DEP_2) | instskip(SKIP_1) | instid1(VALU_DEP_4)
	v_bfi_b32 v2, v2, 0, v0
	v_lshrrev_b64 v[0:1], v114, v[0:1]
	v_bfi_b32 v3, v3, 0, 0
	s_delay_alu instid0(VALU_DEP_1) | instskip(NEXT) | instid1(VALU_DEP_3)
	v_cmp_eq_u64_e64 s10, v[2:3], v[116:117]
	v_mov_b64_e32 v[2:3], v[0:1]
	s_and_saveexec_b32 s28, s10
; %bb.2594:                             ;   in Loop: Header=BB6_130 Depth=2
	v_bfe_u32 v2, v0, 21, 1
	v_mov_b32_e32 v3, v5
	s_delay_alu instid0(VALU_DEP_1) | instskip(NEXT) | instid1(VALU_DEP_1)
	v_add_nc_u64_e32 v[2:3], v[0:1], v[2:3]
	v_add_nc_u64_e32 v[2:3], -1, v[2:3]
; %bb.2595:                             ;   in Loop: Header=BB6_130 Depth=2
	s_or_b32 exec_lo, exec_lo, s28
	v_add_nc_u32_e32 v1, 0xffffff81, v112
	v_lshrrev_b32_e32 v3, 23, v0
	s_mov_b32 s10, exec_lo
	s_delay_alu instid0(VALU_DEP_2) | instskip(NEXT) | instid1(VALU_DEP_1)
	v_cndmask_b32_e64 v1, v1, 0xffffff82, vcc_lo
	v_add3_u32 v112, v114, v1, v3
	v_and_b32_e32 v1, 0x1fffff, v2
                                        ; implicit-def: $vgpr2
	s_delay_alu instid0(VALU_DEP_2) | instskip(NEXT) | instid1(VALU_DEP_2)
	v_add_nc_u32_e32 v3, 14, v112
	v_add_nc_u32_e32 v4, v1, v0
                                        ; implicit-def: $vgpr0_vgpr1
	s_delay_alu instid0(VALU_DEP_2)
	v_cmpx_ne_u32_e32 0, v3
	s_xor_b32 s10, exec_lo, s10
; %bb.2596:                             ;   in Loop: Header=BB6_130 Depth=2
	s_delay_alu instid0(VALU_DEP_2) | instskip(SKIP_1) | instid1(VALU_DEP_1)
	v_cmp_lt_u64_e32 vcc_lo, 0xffffff, v[4:5]
	v_add_nc_u32_e32 v0, 15, v112
	v_cndmask_b32_e32 v2, v3, v0, vcc_lo
	v_cndmask_b32_e64 v0, 0, 1, vcc_lo
	s_delay_alu instid0(VALU_DEP_1)
	v_lshrrev_b64 v[0:1], v0, v[4:5]
; %bb.2597:                             ;   in Loop: Header=BB6_130 Depth=2
	s_and_not1_saveexec_b32 s10, s10
; %bb.2598:                             ;   in Loop: Header=BB6_130 Depth=2
	v_mov_b64_e32 v[0:1], v[4:5]
	v_bfe_u32 v2, v4, 23, 1
; %bb.2599:                             ;   in Loop: Header=BB6_130 Depth=2
	s_or_b32 exec_lo, exec_lo, s10
	s_delay_alu instid0(VALU_DEP_2) | instskip(NEXT) | instid1(VALU_DEP_2)
	v_lshrrev_b64 v[0:1], 21, v[0:1]
	v_cmp_gt_i32_e32 vcc_lo, 32, v2
	v_min_i32_e32 v3, 31, v2
	v_cmp_eq_u32_e64 s10, 0, v2
	s_delay_alu instid0(VALU_DEP_2) | instskip(SKIP_1) | instid1(VALU_DEP_2)
	v_dual_cndmask_b32 v1, 0, v1, vcc_lo :: v_dual_lshlrev_b32 v3, 2, v3
	v_cndmask_b32_e32 v0, 3, v0, vcc_lo
	v_and_b32_e32 v3, 0xfc, v3
	s_delay_alu instid0(VALU_DEP_2) | instskip(NEXT) | instid1(VALU_DEP_2)
	v_cmp_eq_u64_e32 vcc_lo, 0, v[0:1]
	v_and_or_b32 v0, v0, 3, v3
	s_and_b32 s10, s10, vcc_lo
	s_delay_alu instid0(VALU_DEP_1) | instid1(SALU_CYCLE_1)
	v_cndmask_b32_e64 v0, v0, 0, s10
	s_delay_alu instid0(VALU_DEP_1)
	v_or_b32_e32 v112, v0, v113
.LBB6_2600:                             ;   in Loop: Header=BB6_130 Depth=2
	s_or_b32 exec_lo, exec_lo, s27
                                        ; implicit-def: $vgpr113
.LBB6_2601:                             ;   in Loop: Header=BB6_130 Depth=2
	s_and_not1_saveexec_b32 s10, s26
; %bb.2602:                             ;   in Loop: Header=BB6_130 Depth=2
	v_or_b32_e32 v112, 0x7b, v113
; %bb.2603:                             ;   in Loop: Header=BB6_130 Depth=2
	s_or_b32 exec_lo, exec_lo, s10
                                        ; implicit-def: $vgpr0
                                        ; implicit-def: $vgpr1
.LBB6_2604:                             ;   in Loop: Header=BB6_130 Depth=2
	s_and_not1_saveexec_b32 s10, s25
	s_cbranch_execz .LBB6_2610
; %bb.2605:                             ;   in Loop: Header=BB6_130 Depth=2
	s_mov_b32 s25, exec_lo
                                        ; implicit-def: $vgpr112
	v_cmpx_ne_u64_e32 0, v[4:5]
	s_xor_b32 s25, exec_lo, s25
; %bb.2606:                             ;   in Loop: Header=BB6_130 Depth=2
	v_or_b32_e32 v112, 0x7f, v1
                                        ; implicit-def: $vgpr0
; %bb.2607:                             ;   in Loop: Header=BB6_130 Depth=2
	s_and_not1_saveexec_b32 s25, s25
; %bb.2608:                             ;   in Loop: Header=BB6_130 Depth=2
	v_cmp_lt_i32_e32 vcc_lo, -1, v0
	v_cndmask_b32_e32 v112, 0xfc, v108, vcc_lo
; %bb.2609:                             ;   in Loop: Header=BB6_130 Depth=2
	s_or_b32 exec_lo, exec_lo, s25
.LBB6_2610:                             ;   in Loop: Header=BB6_130 Depth=2
	s_delay_alu instid0(SALU_CYCLE_1) | instskip(SKIP_3) | instid1(VALU_DEP_2)
	s_or_b32 exec_lo, exec_lo, s10
	v_dual_mov_b32 v1, 0 :: v_dual_lshrrev_b32 v0, 16, v17
	v_mov_b32_e32 v2, 0
	s_mov_b32 s25, exec_lo
	v_and_b32_e32 v3, 0xff, v0
	s_delay_alu instid0(VALU_DEP_1)
	v_cmpx_ne_u16_e32 0, v3
	s_cbranch_execz .LBB6_2620
; %bb.2611:                             ;   in Loop: Header=BB6_130 Depth=2
	v_bfrev_b32_e32 v2, 1
	s_mov_b32 s26, exec_lo
	v_cmpx_ne_u16_e32 0x80, v3
	s_cbranch_execz .LBB6_2619
; %bb.2612:                             ;   in Loop: Header=BB6_130 Depth=2
	v_and_b32_e32 v2, 0x7c0000, v17
	v_bfe_u32 v3, v17, 16, 2
	s_delay_alu instid0(VALU_DEP_2) | instskip(SKIP_1) | instid1(SALU_CYCLE_1)
	v_cmp_ne_u32_e32 vcc_lo, 0x7c0000, v2
                                        ; implicit-def: $vgpr2
	s_and_saveexec_b32 s10, vcc_lo
	s_xor_b32 s10, exec_lo, s10
	s_cbranch_execz .LBB6_2616
; %bb.2613:                             ;   in Loop: Header=BB6_130 Depth=2
	v_bfe_u32 v2, v17, 18, 5
	s_mov_b32 s27, exec_lo
	s_delay_alu instid0(VALU_DEP_1)
	v_cmpx_eq_u32_e32 0, v2
; %bb.2614:                             ;   in Loop: Header=BB6_130 Depth=2
	v_clz_i32_u32_e32 v2, v3
	s_delay_alu instid0(VALU_DEP_1) | instskip(NEXT) | instid1(VALU_DEP_1)
	v_min_u32_e32 v2, 32, v2
	v_subrev_nc_u32_e32 v3, 29, v2
	v_sub_nc_u32_e32 v2, 30, v2
	s_delay_alu instid0(VALU_DEP_2) | instskip(NEXT) | instid1(VALU_DEP_1)
	v_lshlrev_b64_e32 v[114:115], v3, v[0:1]
	v_and_b32_e32 v3, 3, v114
; %bb.2615:                             ;   in Loop: Header=BB6_130 Depth=2
	s_or_b32 exec_lo, exec_lo, s27
	v_lshlrev_b32_e32 v0, 24, v0
	s_delay_alu instid0(VALU_DEP_1) | instskip(NEXT) | instid1(VALU_DEP_1)
	v_and_b32_e32 v0, 0x80000000, v0
	v_lshl_add_u32 v0, v2, 23, v0
	s_delay_alu instid0(VALU_DEP_1) | instskip(NEXT) | instid1(VALU_DEP_1)
	v_lshl_or_b32 v0, v3, 21, v0
                                        ; implicit-def: $vgpr3
	v_add_nc_u32_e32 v2, 0x38000000, v0
                                        ; implicit-def: $vgpr0
.LBB6_2616:                             ;   in Loop: Header=BB6_130 Depth=2
	s_and_not1_saveexec_b32 s27, s10
; %bb.2617:                             ;   in Loop: Header=BB6_130 Depth=2
	v_bfe_i32 v0, v0, 0, 8
	v_cmp_eq_u32_e32 vcc_lo, 0, v3
	s_delay_alu instid0(VALU_DEP_2) | instskip(NEXT) | instid1(VALU_DEP_1)
	v_cmp_lt_i16_e64 s10, -1, v0
	v_cndmask_b32_e64 v0, 0xff800000, v109, s10
	s_delay_alu instid0(VALU_DEP_1)
	v_cndmask_b32_e32 v2, 0x7f800001, v0, vcc_lo
; %bb.2618:                             ;   in Loop: Header=BB6_130 Depth=2
	s_or_b32 exec_lo, exec_lo, s27
.LBB6_2619:                             ;   in Loop: Header=BB6_130 Depth=2
	s_delay_alu instid0(SALU_CYCLE_1)
	s_or_b32 exec_lo, exec_lo, s26
.LBB6_2620:                             ;   in Loop: Header=BB6_130 Depth=2
	s_delay_alu instid0(SALU_CYCLE_1) | instskip(SKIP_2) | instid1(VALU_DEP_1)
	s_or_b32 exec_lo, exec_lo, s25
	v_lshrrev_b32_e32 v0, 16, v13
	s_mov_b32 s25, exec_lo
	v_and_b32_e32 v3, 0xff, v0
	s_delay_alu instid0(VALU_DEP_1)
	v_cmpx_ne_u16_e32 0, v3
	s_cbranch_execz .LBB6_2630
; %bb.2621:                             ;   in Loop: Header=BB6_130 Depth=2
	v_bfrev_b32_e32 v1, 1
	s_mov_b32 s26, exec_lo
	v_cmpx_ne_u16_e32 0x80, v3
	s_cbranch_execz .LBB6_2629
; %bb.2622:                             ;   in Loop: Header=BB6_130 Depth=2
	v_and_b32_e32 v1, 0x7c0000, v13
	v_bfe_u32 v3, v13, 16, 2
	s_delay_alu instid0(VALU_DEP_2) | instskip(SKIP_1) | instid1(SALU_CYCLE_1)
	v_cmp_ne_u32_e32 vcc_lo, 0x7c0000, v1
                                        ; implicit-def: $vgpr1
	s_and_saveexec_b32 s10, vcc_lo
	s_xor_b32 s10, exec_lo, s10
	s_cbranch_execz .LBB6_2626
; %bb.2623:                             ;   in Loop: Header=BB6_130 Depth=2
	v_bfe_u32 v1, v13, 18, 5
	s_mov_b32 s27, exec_lo
	s_delay_alu instid0(VALU_DEP_1)
	v_cmpx_eq_u32_e32 0, v1
; %bb.2624:                             ;   in Loop: Header=BB6_130 Depth=2
	v_clz_i32_u32_e32 v1, v3
	s_delay_alu instid0(VALU_DEP_1) | instskip(NEXT) | instid1(VALU_DEP_1)
	v_min_u32_e32 v1, 32, v1
	v_subrev_nc_u32_e32 v3, 29, v1
	s_delay_alu instid0(VALU_DEP_1) | instskip(NEXT) | instid1(VALU_DEP_1)
	v_lshlrev_b64_e32 v[114:115], v3, v[0:1]
	v_dual_sub_nc_u32 v1, 30, v1 :: v_dual_bitop2_b32 v3, 3, v114 bitop3:0x40
; %bb.2625:                             ;   in Loop: Header=BB6_130 Depth=2
	s_or_b32 exec_lo, exec_lo, s27
	v_lshlrev_b32_e32 v0, 24, v0
	s_delay_alu instid0(VALU_DEP_1) | instskip(NEXT) | instid1(VALU_DEP_1)
	v_and_b32_e32 v0, 0x80000000, v0
	v_lshl_add_u32 v0, v1, 23, v0
	s_delay_alu instid0(VALU_DEP_1) | instskip(NEXT) | instid1(VALU_DEP_1)
	v_lshl_or_b32 v0, v3, 21, v0
                                        ; implicit-def: $vgpr3
	v_add_nc_u32_e32 v1, 0x38000000, v0
                                        ; implicit-def: $vgpr0
.LBB6_2626:                             ;   in Loop: Header=BB6_130 Depth=2
	s_and_not1_saveexec_b32 s27, s10
; %bb.2627:                             ;   in Loop: Header=BB6_130 Depth=2
	v_bfe_i32 v0, v0, 0, 8
	v_cmp_eq_u32_e32 vcc_lo, 0, v3
	s_delay_alu instid0(VALU_DEP_2) | instskip(NEXT) | instid1(VALU_DEP_1)
	v_cmp_lt_i16_e64 s10, -1, v0
	v_cndmask_b32_e64 v0, 0xff800000, v109, s10
	s_delay_alu instid0(VALU_DEP_1)
	v_cndmask_b32_e32 v1, 0x7f800001, v0, vcc_lo
; %bb.2628:                             ;   in Loop: Header=BB6_130 Depth=2
	s_or_b32 exec_lo, exec_lo, s27
.LBB6_2629:                             ;   in Loop: Header=BB6_130 Depth=2
	s_delay_alu instid0(SALU_CYCLE_1)
	s_or_b32 exec_lo, exec_lo, s26
.LBB6_2630:                             ;   in Loop: Header=BB6_130 Depth=2
	s_delay_alu instid0(SALU_CYCLE_1) | instskip(NEXT) | instid1(VALU_DEP_1)
	s_or_b32 exec_lo, exec_lo, s25
	v_dual_mul_f32 v0, v2, v1 :: v_dual_mov_b32 v3, v5
                                        ; implicit-def: $vgpr113
	s_mov_b32 s10, exec_lo
	s_delay_alu instid0(VALU_DEP_1) | instskip(SKIP_2) | instid1(VALU_DEP_3)
	v_and_b32_e32 v2, 0x7f800000, v0
	v_and_b32_e32 v4, 0x7fffff, v0
	v_lshrrev_b32_e32 v1, 24, v0
	v_cmpx_ne_u64_e32 0x7f800000, v[2:3]
	s_xor_b32 s25, exec_lo, s10
	s_cbranch_execz .LBB6_2644
; %bb.2631:                             ;   in Loop: Header=BB6_130 Depth=2
	v_and_b32_e32 v2, 0x7fffffff, v0
	v_mov_b32_e32 v3, v5
	v_and_b32_e32 v114, 0x80, v1
                                        ; implicit-def: $vgpr113
	s_mov_b32 s10, exec_lo
	s_delay_alu instid0(VALU_DEP_2)
	v_cmpx_gt_u64_e32 0x47600001, v[2:3]
	s_xor_b32 s26, exec_lo, s10
	s_cbranch_execz .LBB6_2641
; %bb.2632:                             ;   in Loop: Header=BB6_130 Depth=2
	v_mov_b32_e32 v113, 0
	s_mov_b32 s27, exec_lo
	v_cmpx_ne_u32_e32 0, v0
	s_cbranch_execz .LBB6_2640
; %bb.2633:                             ;   in Loop: Header=BB6_130 Depth=2
	v_bfe_u32 v113, v0, 23, 8
	v_or_b32_e32 v1, 0x800000, v4
	s_delay_alu instid0(VALU_DEP_2) | instskip(SKIP_2) | instid1(VALU_DEP_2)
	v_cmp_gt_u32_e64 s10, 0x72, v113
	v_sub_nc_u32_e32 v0, 0x71, v113
	v_cmp_eq_u32_e32 vcc_lo, 0, v113
	v_cndmask_b32_e64 v0, 0, v0, s10
	s_delay_alu instid0(VALU_DEP_1) | instskip(SKIP_1) | instid1(VALU_DEP_2)
	v_cndmask_b32_e64 v115, v0, 0x70, vcc_lo
	v_cndmask_b32_e32 v0, v1, v4, vcc_lo
	v_dual_mov_b32 v1, v5 :: v_dual_add_nc_u32 v2, 21, v115
	v_add_nc_u32_e32 v4, 20, v115
	s_delay_alu instid0(VALU_DEP_2) | instskip(NEXT) | instid1(VALU_DEP_2)
	v_lshlrev_b64_e64 v[2:3], v2, -1
	v_lshlrev_b64_e64 v[116:117], v4, 1
	s_delay_alu instid0(VALU_DEP_2) | instskip(SKIP_1) | instid1(VALU_DEP_4)
	v_bfi_b32 v2, v2, 0, v0
	v_lshrrev_b64 v[0:1], v115, v[0:1]
	v_bfi_b32 v3, v3, 0, 0
	s_delay_alu instid0(VALU_DEP_1) | instskip(NEXT) | instid1(VALU_DEP_3)
	v_cmp_eq_u64_e64 s10, v[2:3], v[116:117]
	v_mov_b64_e32 v[2:3], v[0:1]
	s_and_saveexec_b32 s28, s10
; %bb.2634:                             ;   in Loop: Header=BB6_130 Depth=2
	v_bfe_u32 v2, v0, 21, 1
	v_mov_b32_e32 v3, v5
	s_delay_alu instid0(VALU_DEP_1) | instskip(NEXT) | instid1(VALU_DEP_1)
	v_add_nc_u64_e32 v[2:3], v[0:1], v[2:3]
	v_add_nc_u64_e32 v[2:3], -1, v[2:3]
; %bb.2635:                             ;   in Loop: Header=BB6_130 Depth=2
	s_or_b32 exec_lo, exec_lo, s28
	v_add_nc_u32_e32 v1, 0xffffff81, v113
	v_lshrrev_b32_e32 v3, 23, v0
	s_mov_b32 s10, exec_lo
	s_delay_alu instid0(VALU_DEP_2) | instskip(NEXT) | instid1(VALU_DEP_1)
	v_cndmask_b32_e64 v1, v1, 0xffffff82, vcc_lo
	v_add3_u32 v113, v115, v1, v3
	v_and_b32_e32 v1, 0x1fffff, v2
                                        ; implicit-def: $vgpr2
	s_delay_alu instid0(VALU_DEP_1) | instskip(NEXT) | instid1(VALU_DEP_1)
	v_dual_add_nc_u32 v3, 14, v113 :: v_dual_add_nc_u32 v4, v1, v0
                                        ; implicit-def: $vgpr0_vgpr1
	v_cmpx_ne_u32_e32 0, v3
	s_xor_b32 s10, exec_lo, s10
; %bb.2636:                             ;   in Loop: Header=BB6_130 Depth=2
	s_delay_alu instid0(VALU_DEP_2) | instskip(SKIP_1) | instid1(VALU_DEP_1)
	v_cmp_lt_u64_e32 vcc_lo, 0xffffff, v[4:5]
	v_add_nc_u32_e32 v0, 15, v113
	v_cndmask_b32_e32 v2, v3, v0, vcc_lo
	v_cndmask_b32_e64 v0, 0, 1, vcc_lo
	s_delay_alu instid0(VALU_DEP_1)
	v_lshrrev_b64 v[0:1], v0, v[4:5]
; %bb.2637:                             ;   in Loop: Header=BB6_130 Depth=2
	s_and_not1_saveexec_b32 s10, s10
; %bb.2638:                             ;   in Loop: Header=BB6_130 Depth=2
	v_mov_b64_e32 v[0:1], v[4:5]
	v_bfe_u32 v2, v4, 23, 1
; %bb.2639:                             ;   in Loop: Header=BB6_130 Depth=2
	s_or_b32 exec_lo, exec_lo, s10
	s_delay_alu instid0(VALU_DEP_2) | instskip(NEXT) | instid1(VALU_DEP_2)
	v_lshrrev_b64 v[0:1], 21, v[0:1]
	v_cmp_gt_i32_e32 vcc_lo, 32, v2
	v_min_i32_e32 v3, 31, v2
	v_cmp_eq_u32_e64 s10, 0, v2
	s_delay_alu instid0(VALU_DEP_2) | instskip(SKIP_1) | instid1(VALU_DEP_2)
	v_dual_cndmask_b32 v1, 0, v1, vcc_lo :: v_dual_lshlrev_b32 v3, 2, v3
	v_cndmask_b32_e32 v0, 3, v0, vcc_lo
	v_and_b32_e32 v3, 0xfc, v3
	s_delay_alu instid0(VALU_DEP_2) | instskip(NEXT) | instid1(VALU_DEP_2)
	v_cmp_eq_u64_e32 vcc_lo, 0, v[0:1]
	v_and_or_b32 v0, v0, 3, v3
	s_and_b32 s10, s10, vcc_lo
	s_delay_alu instid0(VALU_DEP_1) | instid1(SALU_CYCLE_1)
	v_cndmask_b32_e64 v0, v0, 0, s10
	s_delay_alu instid0(VALU_DEP_1)
	v_or_b32_e32 v113, v0, v114
.LBB6_2640:                             ;   in Loop: Header=BB6_130 Depth=2
	s_or_b32 exec_lo, exec_lo, s27
                                        ; implicit-def: $vgpr114
.LBB6_2641:                             ;   in Loop: Header=BB6_130 Depth=2
	s_and_not1_saveexec_b32 s10, s26
; %bb.2642:                             ;   in Loop: Header=BB6_130 Depth=2
	v_or_b32_e32 v113, 0x7b, v114
; %bb.2643:                             ;   in Loop: Header=BB6_130 Depth=2
	s_or_b32 exec_lo, exec_lo, s10
                                        ; implicit-def: $vgpr0
                                        ; implicit-def: $vgpr1
.LBB6_2644:                             ;   in Loop: Header=BB6_130 Depth=2
	s_and_not1_saveexec_b32 s10, s25
	s_cbranch_execz .LBB6_2650
; %bb.2645:                             ;   in Loop: Header=BB6_130 Depth=2
	s_mov_b32 s25, exec_lo
                                        ; implicit-def: $vgpr113
	v_cmpx_ne_u64_e32 0, v[4:5]
	s_xor_b32 s25, exec_lo, s25
; %bb.2646:                             ;   in Loop: Header=BB6_130 Depth=2
	v_or_b32_e32 v113, 0x7f, v1
                                        ; implicit-def: $vgpr0
; %bb.2647:                             ;   in Loop: Header=BB6_130 Depth=2
	s_and_not1_saveexec_b32 s25, s25
; %bb.2648:                             ;   in Loop: Header=BB6_130 Depth=2
	v_cmp_lt_i32_e32 vcc_lo, -1, v0
	v_cndmask_b32_e32 v113, 0xfc, v108, vcc_lo
; %bb.2649:                             ;   in Loop: Header=BB6_130 Depth=2
	s_or_b32 exec_lo, exec_lo, s25
.LBB6_2650:                             ;   in Loop: Header=BB6_130 Depth=2
	s_delay_alu instid0(SALU_CYCLE_1)
	s_or_b32 exec_lo, exec_lo, s10
	v_dual_mov_b32 v1, 0 :: v_dual_mov_b32 v2, 0
	s_mov_b32 s25, exec_lo
	v_cmpx_lt_u64_e64 s[12:13], v[16:17]
	s_cbranch_execz .LBB6_2660
; %bb.2651:                             ;   in Loop: Header=BB6_130 Depth=2
	v_lshrrev_b32_e32 v0, 24, v17
	v_bfrev_b32_e32 v2, 1
	s_mov_b32 s26, exec_lo
	s_delay_alu instid0(VALU_DEP_2)
	v_cmpx_ne_u32_e32 0x80, v0
	s_cbranch_execz .LBB6_2659
; %bb.2652:                             ;   in Loop: Header=BB6_130 Depth=2
	v_and_b32_e32 v2, 0x7c000000, v17
	v_bfe_u32 v3, v17, 24, 2
	s_delay_alu instid0(VALU_DEP_2) | instskip(SKIP_1) | instid1(SALU_CYCLE_1)
	v_cmp_ne_u32_e32 vcc_lo, 0x7c000000, v2
                                        ; implicit-def: $vgpr2
	s_and_saveexec_b32 s10, vcc_lo
	s_xor_b32 s10, exec_lo, s10
	s_cbranch_execz .LBB6_2656
; %bb.2653:                             ;   in Loop: Header=BB6_130 Depth=2
	v_bfe_u32 v2, v17, 26, 5
	s_mov_b32 s27, exec_lo
	s_delay_alu instid0(VALU_DEP_1)
	v_cmpx_eq_u32_e32 0, v2
; %bb.2654:                             ;   in Loop: Header=BB6_130 Depth=2
	v_clz_i32_u32_e32 v2, v3
	s_delay_alu instid0(VALU_DEP_1) | instskip(NEXT) | instid1(VALU_DEP_1)
	v_min_u32_e32 v2, 32, v2
	v_subrev_nc_u32_e32 v3, 29, v2
	v_sub_nc_u32_e32 v2, 30, v2
	s_delay_alu instid0(VALU_DEP_2) | instskip(NEXT) | instid1(VALU_DEP_1)
	v_lshlrev_b64_e32 v[114:115], v3, v[0:1]
	v_and_b32_e32 v3, 3, v114
; %bb.2655:                             ;   in Loop: Header=BB6_130 Depth=2
	s_or_b32 exec_lo, exec_lo, s27
	v_and_b32_e32 v0, 0x80000000, v17
                                        ; implicit-def: $vgpr16_vgpr17
	s_delay_alu instid0(VALU_DEP_1) | instskip(NEXT) | instid1(VALU_DEP_1)
	v_lshl_add_u32 v0, v2, 23, v0
	v_lshl_or_b32 v0, v3, 21, v0
                                        ; implicit-def: $vgpr3
	s_delay_alu instid0(VALU_DEP_1)
	v_add_nc_u32_e32 v2, 0x38000000, v0
.LBB6_2656:                             ;   in Loop: Header=BB6_130 Depth=2
	s_and_not1_saveexec_b32 s27, s10
; %bb.2657:                             ;   in Loop: Header=BB6_130 Depth=2
	v_cmp_lt_i64_e64 s10, -1, v[16:17]
	v_cmp_eq_u32_e32 vcc_lo, 0, v3
	s_delay_alu instid0(VALU_DEP_2) | instskip(NEXT) | instid1(VALU_DEP_1)
	v_cndmask_b32_e64 v0, 0xff800000, v109, s10
	v_cndmask_b32_e32 v2, 0x7f800001, v0, vcc_lo
; %bb.2658:                             ;   in Loop: Header=BB6_130 Depth=2
	s_or_b32 exec_lo, exec_lo, s27
.LBB6_2659:                             ;   in Loop: Header=BB6_130 Depth=2
	s_delay_alu instid0(SALU_CYCLE_1)
	s_or_b32 exec_lo, exec_lo, s26
.LBB6_2660:                             ;   in Loop: Header=BB6_130 Depth=2
	s_delay_alu instid0(SALU_CYCLE_1) | instskip(NEXT) | instid1(SALU_CYCLE_1)
	s_or_b32 exec_lo, exec_lo, s25
	s_mov_b32 s25, exec_lo
	v_cmpx_lt_u64_e64 s[12:13], v[12:13]
	s_cbranch_execz .LBB6_2670
; %bb.2661:                             ;   in Loop: Header=BB6_130 Depth=2
	v_lshrrev_b32_e32 v0, 24, v13
	v_bfrev_b32_e32 v1, 1
	s_mov_b32 s26, exec_lo
	s_delay_alu instid0(VALU_DEP_2)
	v_cmpx_ne_u32_e32 0x80, v0
	s_cbranch_execz .LBB6_2669
; %bb.2662:                             ;   in Loop: Header=BB6_130 Depth=2
	v_and_b32_e32 v1, 0x7c000000, v13
	v_bfe_u32 v3, v13, 24, 2
	s_delay_alu instid0(VALU_DEP_2) | instskip(SKIP_1) | instid1(SALU_CYCLE_1)
	v_cmp_ne_u32_e32 vcc_lo, 0x7c000000, v1
                                        ; implicit-def: $vgpr1
	s_and_saveexec_b32 s10, vcc_lo
	s_xor_b32 s10, exec_lo, s10
	s_cbranch_execz .LBB6_2666
; %bb.2663:                             ;   in Loop: Header=BB6_130 Depth=2
	v_bfe_u32 v1, v13, 26, 5
	s_mov_b32 s27, exec_lo
	s_delay_alu instid0(VALU_DEP_1)
	v_cmpx_eq_u32_e32 0, v1
; %bb.2664:                             ;   in Loop: Header=BB6_130 Depth=2
	v_clz_i32_u32_e32 v1, v3
	s_delay_alu instid0(VALU_DEP_1) | instskip(NEXT) | instid1(VALU_DEP_1)
	v_min_u32_e32 v3, 32, v1
	v_subrev_nc_u32_e32 v1, 29, v3
	s_delay_alu instid0(VALU_DEP_1) | instskip(NEXT) | instid1(VALU_DEP_1)
	v_lshlrev_b64_e32 v[0:1], v1, v[0:1]
	v_dual_sub_nc_u32 v1, 30, v3 :: v_dual_bitop2_b32 v3, 3, v0 bitop3:0x40
; %bb.2665:                             ;   in Loop: Header=BB6_130 Depth=2
	s_or_b32 exec_lo, exec_lo, s27
	v_and_b32_e32 v0, 0x80000000, v13
                                        ; implicit-def: $vgpr12_vgpr13
	s_delay_alu instid0(VALU_DEP_1) | instskip(NEXT) | instid1(VALU_DEP_1)
	v_lshl_add_u32 v0, v1, 23, v0
	v_lshl_or_b32 v0, v3, 21, v0
                                        ; implicit-def: $vgpr3
	s_delay_alu instid0(VALU_DEP_1)
	v_add_nc_u32_e32 v1, 0x38000000, v0
.LBB6_2666:                             ;   in Loop: Header=BB6_130 Depth=2
	s_and_not1_saveexec_b32 s27, s10
; %bb.2667:                             ;   in Loop: Header=BB6_130 Depth=2
	v_cmp_lt_i64_e64 s10, -1, v[12:13]
	v_cmp_eq_u32_e32 vcc_lo, 0, v3
	s_delay_alu instid0(VALU_DEP_2) | instskip(NEXT) | instid1(VALU_DEP_1)
	v_cndmask_b32_e64 v0, 0xff800000, v109, s10
	v_cndmask_b32_e32 v1, 0x7f800001, v0, vcc_lo
; %bb.2668:                             ;   in Loop: Header=BB6_130 Depth=2
	s_or_b32 exec_lo, exec_lo, s27
.LBB6_2669:                             ;   in Loop: Header=BB6_130 Depth=2
	s_delay_alu instid0(SALU_CYCLE_1)
	s_or_b32 exec_lo, exec_lo, s26
.LBB6_2670:                             ;   in Loop: Header=BB6_130 Depth=2
	s_delay_alu instid0(SALU_CYCLE_1) | instskip(NEXT) | instid1(VALU_DEP_1)
	s_or_b32 exec_lo, exec_lo, s25
	v_dual_mul_f32 v1, v2, v1 :: v_dual_mov_b32 v3, v5
                                        ; implicit-def: $vgpr0
	s_delay_alu instid0(VALU_DEP_1) | instskip(SKIP_1) | instid1(VALU_DEP_2)
	v_and_b32_e32 v2, 0x7f800000, v1
	v_and_b32_e32 v4, 0x7fffff, v1
	v_cmp_ne_u64_e32 vcc_lo, 0x7f800000, v[2:3]
	v_lshrrev_b32_e32 v2, 24, v1
	s_and_saveexec_b32 s10, vcc_lo
	s_delay_alu instid0(SALU_CYCLE_1)
	s_xor_b32 s25, exec_lo, s10
	s_cbranch_execz .LBB6_2684
; %bb.2671:                             ;   in Loop: Header=BB6_130 Depth=2
	v_and_b32_e32 v12, 0x7fffffff, v1
	v_mov_b32_e32 v13, v5
                                        ; implicit-def: $vgpr0
	s_delay_alu instid0(VALU_DEP_1) | instskip(SKIP_2) | instid1(SALU_CYCLE_1)
	v_cmp_gt_u64_e32 vcc_lo, 0x47600001, v[12:13]
	v_and_b32_e32 v12, 0x80, v2
	s_and_saveexec_b32 s10, vcc_lo
	s_xor_b32 s26, exec_lo, s10
	s_cbranch_execz .LBB6_2681
; %bb.2672:                             ;   in Loop: Header=BB6_130 Depth=2
	v_mov_b32_e32 v0, 0
	s_mov_b32 s27, exec_lo
	v_cmpx_ne_u32_e32 0, v1
	s_cbranch_execz .LBB6_2680
; %bb.2673:                             ;   in Loop: Header=BB6_130 Depth=2
	v_bfe_u32 v13, v1, 23, 8
	v_or_b32_e32 v1, 0x800000, v4
	s_delay_alu instid0(VALU_DEP_2) | instskip(SKIP_2) | instid1(VALU_DEP_2)
	v_cmp_gt_u32_e64 s10, 0x72, v13
	v_sub_nc_u32_e32 v0, 0x71, v13
	v_cmp_eq_u32_e32 vcc_lo, 0, v13
	v_cndmask_b32_e64 v0, 0, v0, s10
	s_delay_alu instid0(VALU_DEP_1) | instskip(SKIP_1) | instid1(VALU_DEP_2)
	v_cndmask_b32_e64 v16, v0, 0x70, vcc_lo
	v_cndmask_b32_e32 v0, v1, v4, vcc_lo
	v_dual_mov_b32 v1, v5 :: v_dual_add_nc_u32 v2, 21, v16
	v_add_nc_u32_e32 v4, 20, v16
	s_delay_alu instid0(VALU_DEP_2) | instskip(NEXT) | instid1(VALU_DEP_2)
	v_lshlrev_b64_e64 v[2:3], v2, -1
	v_lshlrev_b64_e64 v[114:115], v4, 1
	s_delay_alu instid0(VALU_DEP_2) | instskip(SKIP_1) | instid1(VALU_DEP_4)
	v_bfi_b32 v2, v2, 0, v0
	v_lshrrev_b64 v[0:1], v16, v[0:1]
	v_bfi_b32 v3, v3, 0, 0
	s_delay_alu instid0(VALU_DEP_1) | instskip(NEXT) | instid1(VALU_DEP_3)
	v_cmp_eq_u64_e64 s10, v[2:3], v[114:115]
	v_mov_b64_e32 v[2:3], v[0:1]
	s_and_saveexec_b32 s28, s10
; %bb.2674:                             ;   in Loop: Header=BB6_130 Depth=2
	v_bfe_u32 v2, v0, 21, 1
	v_mov_b32_e32 v3, v5
	s_delay_alu instid0(VALU_DEP_1) | instskip(NEXT) | instid1(VALU_DEP_1)
	v_add_nc_u64_e32 v[2:3], v[0:1], v[2:3]
	v_add_nc_u64_e32 v[2:3], -1, v[2:3]
; %bb.2675:                             ;   in Loop: Header=BB6_130 Depth=2
	s_or_b32 exec_lo, exec_lo, s28
	v_add_nc_u32_e32 v1, 0xffffff81, v13
	v_lshrrev_b32_e32 v3, 23, v0
	s_mov_b32 s10, exec_lo
	s_delay_alu instid0(VALU_DEP_2) | instskip(NEXT) | instid1(VALU_DEP_1)
	v_cndmask_b32_e64 v1, v1, 0xffffff82, vcc_lo
	v_add3_u32 v13, v16, v1, v3
	v_and_b32_e32 v1, 0x1fffff, v2
                                        ; implicit-def: $vgpr2
	s_delay_alu instid0(VALU_DEP_1) | instskip(NEXT) | instid1(VALU_DEP_1)
	v_dual_add_nc_u32 v3, 14, v13 :: v_dual_add_nc_u32 v4, v1, v0
                                        ; implicit-def: $vgpr0_vgpr1
	v_cmpx_ne_u32_e32 0, v3
	s_xor_b32 s10, exec_lo, s10
; %bb.2676:                             ;   in Loop: Header=BB6_130 Depth=2
	s_delay_alu instid0(VALU_DEP_2) | instskip(SKIP_1) | instid1(VALU_DEP_1)
	v_cmp_lt_u64_e32 vcc_lo, 0xffffff, v[4:5]
	v_add_nc_u32_e32 v0, 15, v13
	v_cndmask_b32_e32 v2, v3, v0, vcc_lo
	v_cndmask_b32_e64 v0, 0, 1, vcc_lo
	s_delay_alu instid0(VALU_DEP_1)
	v_lshrrev_b64 v[0:1], v0, v[4:5]
; %bb.2677:                             ;   in Loop: Header=BB6_130 Depth=2
	s_and_not1_saveexec_b32 s10, s10
; %bb.2678:                             ;   in Loop: Header=BB6_130 Depth=2
	v_mov_b64_e32 v[0:1], v[4:5]
	v_bfe_u32 v2, v4, 23, 1
; %bb.2679:                             ;   in Loop: Header=BB6_130 Depth=2
	s_or_b32 exec_lo, exec_lo, s10
	s_delay_alu instid0(VALU_DEP_2) | instskip(NEXT) | instid1(VALU_DEP_2)
	v_lshrrev_b64 v[0:1], 21, v[0:1]
	v_cmp_gt_i32_e32 vcc_lo, 32, v2
	v_min_i32_e32 v3, 31, v2
	v_cmp_eq_u32_e64 s10, 0, v2
	s_delay_alu instid0(VALU_DEP_2) | instskip(SKIP_1) | instid1(VALU_DEP_2)
	v_dual_cndmask_b32 v1, 0, v1, vcc_lo :: v_dual_lshlrev_b32 v3, 2, v3
	v_cndmask_b32_e32 v0, 3, v0, vcc_lo
	v_and_b32_e32 v3, 0xfc, v3
	s_delay_alu instid0(VALU_DEP_2) | instskip(NEXT) | instid1(VALU_DEP_2)
	v_cmp_eq_u64_e32 vcc_lo, 0, v[0:1]
	v_and_or_b32 v0, v0, 3, v3
	s_and_b32 s10, s10, vcc_lo
	s_delay_alu instid0(VALU_DEP_1) | instid1(SALU_CYCLE_1)
	v_cndmask_b32_e64 v0, v0, 0, s10
	s_delay_alu instid0(VALU_DEP_1)
	v_or_b32_e32 v0, v0, v12
.LBB6_2680:                             ;   in Loop: Header=BB6_130 Depth=2
	s_or_b32 exec_lo, exec_lo, s27
                                        ; implicit-def: $vgpr12
.LBB6_2681:                             ;   in Loop: Header=BB6_130 Depth=2
	s_and_not1_saveexec_b32 s10, s26
; %bb.2682:                             ;   in Loop: Header=BB6_130 Depth=2
	v_or_b32_e32 v0, 0x7b, v12
; %bb.2683:                             ;   in Loop: Header=BB6_130 Depth=2
	s_or_b32 exec_lo, exec_lo, s10
                                        ; implicit-def: $vgpr1
                                        ; implicit-def: $vgpr2
.LBB6_2684:                             ;   in Loop: Header=BB6_130 Depth=2
	s_and_not1_saveexec_b32 s10, s25
	s_cbranch_execz .LBB6_129
; %bb.2685:                             ;   in Loop: Header=BB6_130 Depth=2
	s_mov_b32 s25, exec_lo
                                        ; implicit-def: $vgpr0
	v_cmpx_ne_u64_e32 0, v[4:5]
	s_xor_b32 s25, exec_lo, s25
; %bb.2686:                             ;   in Loop: Header=BB6_130 Depth=2
	v_or_b32_e32 v0, 0x7f, v2
                                        ; implicit-def: $vgpr1
; %bb.2687:                             ;   in Loop: Header=BB6_130 Depth=2
	s_and_not1_saveexec_b32 s25, s25
	s_cbranch_execz .LBB6_128
; %bb.2688:                             ;   in Loop: Header=BB6_130 Depth=2
	v_cmp_lt_i32_e32 vcc_lo, -1, v1
	v_cndmask_b32_e32 v0, 0xfc, v108, vcc_lo
	s_branch .LBB6_128
.LBB6_2689:                             ;   in Loop: Header=BB6_49 Depth=1
	s_or_b32 exec_lo, exec_lo, s24
	s_clause 0x4
	scratch_load_b32 v58, off, s33 offset:340
	scratch_load_b64 v[100:101], off, s33 offset:308
	scratch_load_b64 v[102:103], off, s33 offset:316
	;; [unrolled: 1-line block ×4, first 2 shown]
	v_mov_b64_e32 v[72:73], v[60:61]
	v_dual_mov_b32 v56, v118 :: v_dual_mov_b32 v57, v119
	v_dual_mov_b32 v59, v40 :: v_dual_mov_b32 v74, v41
.LBB6_2690:                             ;   in Loop: Header=BB6_49 Depth=1
	s_wait_xcnt 0x0
	s_or_b32 exec_lo, exec_lo, s11
	v_and_b32_e32 v1, 0x3ffff800, v62
	v_mov_b32_e32 v4, 0
	s_mov_b32 s10, 0
	s_mov_b32 s24, exec_lo
                                        ; implicit-def: $vgpr3
                                        ; implicit-def: $vgpr7
                                        ; implicit-def: $vgpr0
	s_delay_alu instid0(VALU_DEP_2)
	v_cmpx_ne_u32_e64 v62, v1
	s_cbranch_execz .LBB6_3274
; %bb.2691:                             ;   in Loop: Header=BB6_49 Depth=1
	scratch_load_b32 v2, off, s33 offset:460 ; 4-byte Folded Reload
	v_lshlrev_b32_e32 v0, 5, v6
	v_and_b32_e32 v24, 0x1ff, v62
	v_bfe_u32 v4, v62, 9, 2
	s_mov_b32 s25, exec_lo
	s_delay_alu instid0(VALU_DEP_2) | instskip(NEXT) | instid1(VALU_DEP_2)
	v_cmp_lt_u32_e32 vcc_lo, 15, v24
	v_add_co_ci_u32_e64 v4, null, 0, v4, vcc_lo
	s_wait_loadcnt 0x0
	v_sub_nc_u32_e32 v0, v2, v0
	s_delay_alu instid0(VALU_DEP_1) | instskip(NEXT) | instid1(VALU_DEP_1)
	v_ashrrev_i32_e32 v2, 31, v0
	v_lshrrev_b32_e32 v2, 27, v2
	s_delay_alu instid0(VALU_DEP_1) | instskip(NEXT) | instid1(VALU_DEP_1)
	v_add_nc_u32_e32 v2, v0, v2
	v_and_b32_e32 v3, 0xffffffe0, v2
	s_delay_alu instid0(VALU_DEP_1) | instskip(SKIP_1) | instid1(VALU_DEP_2)
	v_dual_ashrrev_i32 v2, 5, v2 :: v_dual_sub_nc_u32 v22, v0, v3
	v_and_b32_e32 v3, 0x7ff, v62
	v_sub_nc_u32_e32 v23, v4, v2
	s_delay_alu instid0(VALU_DEP_3) | instskip(NEXT) | instid1(VALU_DEP_1)
	v_lshlrev_b32_e32 v0, 4, v22
	v_lshl_add_u32 v0, v2, 9, v0
	s_delay_alu instid0(VALU_DEP_1) | instskip(SKIP_1) | instid1(VALU_DEP_1)
	v_sub_nc_u32_e32 v25, v3, v0
	s_wait_xcnt 0x0
	v_cmpx_lt_i32_e32 15, v25
	s_cbranch_execz .LBB6_3271
; %bb.2692:                             ;   in Loop: Header=BB6_49 Depth=1
	s_trap 2
	ds_load_b64 v[6:7], v0
	v_add_nc_u32_e32 v0, v0, v1
	s_mov_b32 s26, 0
	s_delay_alu instid0(VALU_DEP_1) | instskip(NEXT) | instid1(VALU_DEP_1)
	v_ashrrev_i32_e32 v1, 31, v0
	v_add_nc_u64_e32 v[2:3], v[0:1], v[42:43]
	v_add_nc_u64_e32 v[20:21], v[0:1], v[44:45]
	s_wait_dscnt 0x0
	v_add_nc_u64_e32 v[18:19], v[6:7], v[0:1]
	s_branch .LBB6_2695
.LBB6_2693:                             ;   in Loop: Header=BB6_2695 Depth=2
	s_or_b32 exec_lo, exec_lo, s27
.LBB6_2694:                             ;   in Loop: Header=BB6_2695 Depth=2
	s_delay_alu instid0(SALU_CYCLE_1)
	s_or_b32 exec_lo, exec_lo, s11
	v_lshl_or_b32 v1, v31, 8, v30
	v_dual_lshlrev_b32 v4, 16, v32 :: v_dual_lshlrev_b32 v6, 24, v10
	v_dual_lshlrev_b32 v0, 24, v0 :: v_dual_lshlrev_b32 v16, 16, v34
	v_lshl_or_b32 v9, v9, 8, v8
	v_lshl_or_b32 v10, v27, 8, v26
	s_delay_alu instid0(VALU_DEP_4) | instskip(SKIP_1) | instid1(VALU_DEP_4)
	v_or3_b32 v7, v1, v4, v6
	v_dual_lshlrev_b32 v12, 16, v28 :: v_dual_lshlrev_b32 v13, 24, v29
	v_or3_b32 v9, v9, v16, v0
	scratch_load_b64 v[0:1], off, s33 offset:236 ; 8-byte Folded Reload
	v_lshl_or_b32 v11, v14, 8, v11
	v_dual_lshlrev_b32 v14, 16, v15 :: v_dual_lshlrev_b32 v15, 24, v33
	v_or3_b32 v6, v10, v12, v13
	v_sub_nc_u32_e32 v25, v25, v94
	v_add_nc_u64_e32 v[2:3], v[2:3], v[94:95]
	v_add_nc_u64_e32 v[18:19], v[18:19], v[94:95]
	v_or3_b32 v8, v11, v14, v15
	global_store_b128 v[20:21], v[6:9], off th:TH_STORE_NT
	s_wait_xcnt 0x0
	v_add_nc_u64_e32 v[20:21], v[20:21], v[94:95]
	s_wait_loadcnt 0x0
	v_sub_nc_u32_e32 v23, v23, v0
	v_cmp_gt_i32_e64 s10, 16, v25
	s_or_b32 s26, s10, s26
	s_delay_alu instid0(SALU_CYCLE_1)
	s_and_not1_b32 exec_lo, exec_lo, s26
	s_cbranch_execz .LBB6_3270
.LBB6_2695:                             ;   Parent Loop BB6_49 Depth=1
                                        ; =>  This Inner Loop Header: Depth=2
	global_load_b128 v[14:17], v[2:3], off th:TH_LOAD_NT
	global_load_b128 v[10:13], v[18:19], off th:TH_LOAD_NT
	s_wait_loadcnt 0x1
	v_and_b32_e32 v0, 0xff, v14
	s_delay_alu instid0(VALU_DEP_1)
	v_cmp_ne_u16_e64 s10, 0, v0
	v_mov_b32_e32 v0, 0
	s_wait_xcnt 0x0
	s_and_saveexec_b32 s11, s10
	s_cbranch_execz .LBB6_2705
; %bb.2696:                             ;   in Loop: Header=BB6_2695 Depth=2
	v_bfe_i32 v4, v14, 0, 8
	v_bfrev_b32_e32 v0, 1
	s_mov_b32 s27, exec_lo
	s_delay_alu instid0(VALU_DEP_2)
	v_cmpx_ne_u16_e32 0xff80, v4
	s_cbranch_execz .LBB6_2704
; %bb.2697:                             ;   in Loop: Header=BB6_2695 Depth=2
	v_and_b32_e32 v0, 0x7c, v14
	v_and_b32_e32 v1, 3, v14
	s_delay_alu instid0(VALU_DEP_2) | instskip(SKIP_1) | instid1(SALU_CYCLE_1)
	v_cmp_ne_u32_e64 s10, 0x7c, v0
                                        ; implicit-def: $vgpr0
	s_and_saveexec_b32 s28, s10
	s_xor_b32 s28, exec_lo, s28
	s_cbranch_execz .LBB6_2701
; %bb.2698:                             ;   in Loop: Header=BB6_2695 Depth=2
	v_bfe_u32 v0, v14, 2, 5
	s_mov_b32 s29, exec_lo
	s_delay_alu instid0(VALU_DEP_1)
	v_cmpx_eq_u32_e32 0, v0
; %bb.2699:                             ;   in Loop: Header=BB6_2695 Depth=2
	v_clz_i32_u32_e32 v0, v1
	s_delay_alu instid0(VALU_DEP_1) | instskip(NEXT) | instid1(VALU_DEP_1)
	v_min_u32_e32 v0, 32, v0
	v_subrev_nc_u32_e32 v1, 29, v0
	s_delay_alu instid0(VALU_DEP_1) | instskip(NEXT) | instid1(VALU_DEP_1)
	v_lshlrev_b64_e32 v[6:7], v1, v[14:15]
	v_dual_sub_nc_u32 v0, 30, v0 :: v_dual_bitop2_b32 v1, 3, v6 bitop3:0x40
; %bb.2700:                             ;   in Loop: Header=BB6_2695 Depth=2
	s_or_b32 exec_lo, exec_lo, s29
	v_lshlrev_b32_e32 v4, 24, v14
	s_delay_alu instid0(VALU_DEP_1) | instskip(NEXT) | instid1(VALU_DEP_1)
	v_and_b32_e32 v4, 0x80000000, v4
	v_lshl_add_u32 v0, v0, 23, v4
                                        ; implicit-def: $vgpr4
	s_delay_alu instid0(VALU_DEP_1) | instskip(NEXT) | instid1(VALU_DEP_1)
	v_lshl_or_b32 v0, v1, 21, v0
                                        ; implicit-def: $vgpr1
	v_add_nc_u32_e32 v0, 0x38000000, v0
.LBB6_2701:                             ;   in Loop: Header=BB6_2695 Depth=2
	s_and_not1_saveexec_b32 s28, s28
; %bb.2702:                             ;   in Loop: Header=BB6_2695 Depth=2
	v_cmp_lt_i16_e64 s10, -1, v4
	s_delay_alu instid0(VALU_DEP_1) | instskip(SKIP_1) | instid1(VALU_DEP_1)
	v_cndmask_b32_e64 v0, 0xff800000, v109, s10
	v_cmp_eq_u32_e64 s10, 0, v1
	v_cndmask_b32_e64 v0, 0x7f800001, v0, s10
; %bb.2703:                             ;   in Loop: Header=BB6_2695 Depth=2
	s_or_b32 exec_lo, exec_lo, s28
.LBB6_2704:                             ;   in Loop: Header=BB6_2695 Depth=2
	s_delay_alu instid0(SALU_CYCLE_1)
	s_or_b32 exec_lo, exec_lo, s27
.LBB6_2705:                             ;   in Loop: Header=BB6_2695 Depth=2
	s_delay_alu instid0(SALU_CYCLE_1) | instskip(SKIP_4) | instid1(VALU_DEP_1)
	s_or_b32 exec_lo, exec_lo, s11
	s_wait_loadcnt 0x0
	v_and_b32_e32 v4, 0xff, v10
	s_mov_b32 s27, 0
	s_mov_b32 s11, exec_lo
	v_cmpx_lt_i16_e32 0x7f, v4
	s_xor_b32 s11, exec_lo, s11
	s_cbranch_execz .LBB6_3246
; %bb.2706:                             ;   in Loop: Header=BB6_2695 Depth=2
	s_mov_b32 s27, -1
	s_mov_b32 s28, exec_lo
	v_cmpx_eq_u16_e32 0x80, v4
; %bb.2707:                             ;   in Loop: Header=BB6_2695 Depth=2
	s_xor_b32 s27, exec_lo, -1
; %bb.2708:                             ;   in Loop: Header=BB6_2695 Depth=2
	s_or_b32 exec_lo, exec_lo, s28
	s_delay_alu instid0(SALU_CYCLE_1)
	s_and_b32 s27, s27, exec_lo
                                        ; implicit-def: $vgpr4
	s_or_saveexec_b32 s11, s11
	v_bfrev_b32_e32 v1, 1
	s_xor_b32 exec_lo, exec_lo, s11
	s_cbranch_execnz .LBB6_3247
.LBB6_2709:                             ;   in Loop: Header=BB6_2695 Depth=2
	s_or_b32 exec_lo, exec_lo, s11
	s_and_saveexec_b32 s11, s27
	s_cbranch_execz .LBB6_2711
.LBB6_2710:                             ;   in Loop: Header=BB6_2695 Depth=2
	v_and_b32_e32 v1, 3, v10
	v_bfe_u32 v8, v10, 2, 5
	s_delay_alu instid0(VALU_DEP_2) | instskip(NEXT) | instid1(VALU_DEP_2)
	v_clz_i32_u32_e32 v4, v1
	v_cmp_eq_u32_e64 s10, 0, v8
	s_delay_alu instid0(VALU_DEP_2) | instskip(NEXT) | instid1(VALU_DEP_1)
	v_min_u32_e32 v4, 32, v4
	v_subrev_nc_u32_e32 v6, 29, v4
	s_delay_alu instid0(VALU_DEP_1) | instskip(SKIP_1) | instid1(VALU_DEP_1)
	v_lshlrev_b64_e32 v[6:7], v6, v[10:11]
	v_dual_lshlrev_b32 v7, 24, v10 :: v_dual_sub_nc_u32 v4, 30, v4
	v_and_b32_e32 v7, 0x80000000, v7
	s_delay_alu instid0(VALU_DEP_2) | instskip(SKIP_1) | instid1(VALU_DEP_2)
	v_dual_cndmask_b32 v4, v8, v4, s10 :: v_dual_bitop2_b32 v6, 3, v6 bitop3:0x40
	v_bfe_i32 v8, v10, 0, 8
	v_cndmask_b32_e64 v6, v1, v6, s10
	s_delay_alu instid0(VALU_DEP_3) | instskip(NEXT) | instid1(VALU_DEP_3)
	v_lshl_add_u32 v4, v4, 23, v7
	v_cmp_lt_i16_e64 s10, -1, v8
	s_delay_alu instid0(VALU_DEP_2) | instskip(NEXT) | instid1(VALU_DEP_2)
	v_lshl_or_b32 v4, v6, 21, v4
	v_cndmask_b32_e64 v7, 0xff800000, v109, s10
	v_and_b32_e32 v6, 0x7c, v10
	v_cmp_eq_u32_e64 s10, 0, v1
	s_delay_alu instid0(VALU_DEP_4) | instskip(NEXT) | instid1(VALU_DEP_2)
	v_add_nc_u32_e32 v4, 0x38000000, v4
	v_cndmask_b32_e64 v1, 0x7f800001, v7, s10
	s_delay_alu instid0(VALU_DEP_4) | instskip(NEXT) | instid1(VALU_DEP_1)
	v_cmp_eq_u32_e64 s10, 0x7c, v6
	v_cndmask_b32_e64 v1, v4, v1, s10
.LBB6_2711:                             ;   in Loop: Header=BB6_2695 Depth=2
	s_or_b32 exec_lo, exec_lo, s11
	s_delay_alu instid0(VALU_DEP_1) | instskip(SKIP_1) | instid1(VALU_DEP_1)
	v_dual_mul_f32 v0, v0, v1 :: v_dual_mov_b32 v7, v5
                                        ; implicit-def: $vgpr26
	s_mov_b32 s11, exec_lo
	v_and_b32_e32 v6, 0x7f800000, v0
	v_and_b32_e32 v4, 0x7fffff, v0
	v_lshrrev_b32_e32 v1, 24, v0
	s_delay_alu instid0(VALU_DEP_3)
	v_cmpx_ne_u64_e32 0x7f800000, v[6:7]
	s_xor_b32 s27, exec_lo, s11
	s_cbranch_execz .LBB6_2725
; %bb.2712:                             ;   in Loop: Header=BB6_2695 Depth=2
	v_and_b32_e32 v6, 0x7fffffff, v0
	v_mov_b32_e32 v7, v5
	v_and_b32_e32 v8, 0x80, v1
                                        ; implicit-def: $vgpr26
	s_mov_b32 s11, exec_lo
	s_delay_alu instid0(VALU_DEP_2)
	v_cmpx_gt_u64_e32 0x47600001, v[6:7]
	s_xor_b32 s28, exec_lo, s11
	s_cbranch_execz .LBB6_2722
; %bb.2713:                             ;   in Loop: Header=BB6_2695 Depth=2
	v_mov_b32_e32 v26, 0
	s_mov_b32 s29, exec_lo
	v_cmpx_ne_u32_e32 0, v0
	s_cbranch_execz .LBB6_2721
; %bb.2714:                             ;   in Loop: Header=BB6_2695 Depth=2
	v_bfe_u32 v9, v0, 23, 8
	v_or_b32_e32 v6, 0x800000, v4
	s_mov_b32 s40, exec_lo
	s_delay_alu instid0(VALU_DEP_2) | instskip(SKIP_1) | instid1(VALU_DEP_1)
	v_dual_mov_b32 v7, v5 :: v_dual_sub_nc_u32 v0, 0x71, v9
	v_cmp_gt_u32_e64 s10, 0x72, v9
	v_cndmask_b32_e64 v0, 0, v0, s10
	v_cmp_eq_u32_e64 s10, 0, v9
	s_delay_alu instid0(VALU_DEP_1) | instskip(NEXT) | instid1(VALU_DEP_1)
	v_cndmask_b32_e64 v26, v0, 0x70, s10
	v_dual_cndmask_b32 v6, v6, v4, s10 :: v_dual_add_nc_u32 v0, 21, v26
	v_add_nc_u32_e32 v27, 20, v26
	s_delay_alu instid0(VALU_DEP_2) | instskip(NEXT) | instid1(VALU_DEP_2)
	v_lshlrev_b64_e64 v[0:1], v0, -1
	v_lshlrev_b64_e64 v[28:29], v27, 1
	s_delay_alu instid0(VALU_DEP_2) | instskip(NEXT) | instid1(VALU_DEP_3)
	v_bfi_b32 v31, v1, 0, 0
	v_bfi_b32 v30, v0, 0, v6
	v_lshrrev_b64 v[0:1], v26, v[6:7]
	s_delay_alu instid0(VALU_DEP_1) | instskip(NEXT) | instid1(VALU_DEP_3)
	v_mov_b64_e32 v[6:7], v[0:1]
	v_cmpx_eq_u64_e64 v[30:31], v[28:29]
; %bb.2715:                             ;   in Loop: Header=BB6_2695 Depth=2
	v_bfe_u32 v6, v0, 21, 1
	v_mov_b32_e32 v7, v5
	s_delay_alu instid0(VALU_DEP_1) | instskip(NEXT) | instid1(VALU_DEP_1)
	v_add_nc_u64_e32 v[6:7], v[0:1], v[6:7]
	v_add_nc_u64_e32 v[6:7], -1, v[6:7]
; %bb.2716:                             ;   in Loop: Header=BB6_2695 Depth=2
	s_or_b32 exec_lo, exec_lo, s40
	v_add_nc_u32_e32 v1, 0xffffff81, v9
	v_lshrrev_b32_e32 v4, 23, v0
	s_mov_b32 s11, exec_lo
	s_delay_alu instid0(VALU_DEP_2) | instskip(NEXT) | instid1(VALU_DEP_1)
	v_cndmask_b32_e64 v1, v1, 0xffffff82, s10
	v_add3_u32 v7, v26, v1, v4
	v_and_b32_e32 v1, 0x1fffff, v6
                                        ; implicit-def: $vgpr6
	s_delay_alu instid0(VALU_DEP_1) | instskip(NEXT) | instid1(VALU_DEP_1)
	v_dual_add_nc_u32 v9, 14, v7 :: v_dual_add_nc_u32 v4, v1, v0
                                        ; implicit-def: $vgpr0_vgpr1
	v_cmpx_ne_u32_e32 0, v9
	s_xor_b32 s11, exec_lo, s11
; %bb.2717:                             ;   in Loop: Header=BB6_2695 Depth=2
	s_delay_alu instid0(VALU_DEP_2) | instskip(SKIP_1) | instid1(VALU_DEP_1)
	v_cmp_lt_u64_e64 s10, 0xffffff, v[4:5]
	v_add_nc_u32_e32 v0, 15, v7
	v_cndmask_b32_e64 v6, v9, v0, s10
	v_cndmask_b32_e64 v0, 0, 1, s10
	s_delay_alu instid0(VALU_DEP_1)
	v_lshrrev_b64 v[0:1], v0, v[4:5]
; %bb.2718:                             ;   in Loop: Header=BB6_2695 Depth=2
	s_and_not1_saveexec_b32 s10, s11
; %bb.2719:                             ;   in Loop: Header=BB6_2695 Depth=2
	v_mov_b64_e32 v[0:1], v[4:5]
	v_bfe_u32 v6, v4, 23, 1
; %bb.2720:                             ;   in Loop: Header=BB6_2695 Depth=2
	s_or_b32 exec_lo, exec_lo, s10
	s_delay_alu instid0(VALU_DEP_2) | instskip(NEXT) | instid1(VALU_DEP_2)
	v_lshrrev_b64 v[0:1], 21, v[0:1]
	v_cmp_gt_i32_e64 s10, 32, v6
	v_min_i32_e32 v4, 31, v6
	v_cmp_eq_u32_e64 s11, 0, v6
	s_delay_alu instid0(VALU_DEP_2) | instskip(SKIP_1) | instid1(VALU_DEP_2)
	v_dual_cndmask_b32 v1, 0, v1, s10 :: v_dual_lshlrev_b32 v4, 2, v4
	v_cndmask_b32_e64 v0, 3, v0, s10
	v_and_b32_e32 v4, 0xfc, v4
	s_delay_alu instid0(VALU_DEP_2) | instskip(NEXT) | instid1(VALU_DEP_2)
	v_cmp_eq_u64_e64 s10, 0, v[0:1]
	v_and_or_b32 v0, v0, 3, v4
	s_and_b32 s10, s11, s10
	s_delay_alu instid0(VALU_DEP_1) | instid1(SALU_CYCLE_1)
	v_cndmask_b32_e64 v0, v0, 0, s10
	s_delay_alu instid0(VALU_DEP_1)
	v_or_b32_e32 v26, v0, v8
.LBB6_2721:                             ;   in Loop: Header=BB6_2695 Depth=2
	s_or_b32 exec_lo, exec_lo, s29
                                        ; implicit-def: $vgpr8
.LBB6_2722:                             ;   in Loop: Header=BB6_2695 Depth=2
	s_and_not1_saveexec_b32 s10, s28
; %bb.2723:                             ;   in Loop: Header=BB6_2695 Depth=2
	v_or_b32_e32 v26, 0x7b, v8
; %bb.2724:                             ;   in Loop: Header=BB6_2695 Depth=2
	s_or_b32 exec_lo, exec_lo, s10
                                        ; implicit-def: $vgpr0
                                        ; implicit-def: $vgpr1
.LBB6_2725:                             ;   in Loop: Header=BB6_2695 Depth=2
	s_and_not1_saveexec_b32 s11, s27
	s_cbranch_execz .LBB6_2731
; %bb.2726:                             ;   in Loop: Header=BB6_2695 Depth=2
	v_cmp_ne_u64_e64 s10, 0, v[4:5]
                                        ; implicit-def: $vgpr26
	s_and_saveexec_b32 s27, s10
	s_delay_alu instid0(SALU_CYCLE_1)
	s_xor_b32 s10, exec_lo, s27
; %bb.2727:                             ;   in Loop: Header=BB6_2695 Depth=2
	v_or_b32_e32 v26, 0x7f, v1
                                        ; implicit-def: $vgpr0
; %bb.2728:                             ;   in Loop: Header=BB6_2695 Depth=2
	s_and_not1_saveexec_b32 s27, s10
; %bb.2729:                             ;   in Loop: Header=BB6_2695 Depth=2
	v_cmp_lt_i32_e64 s10, -1, v0
	s_delay_alu instid0(VALU_DEP_1)
	v_cndmask_b32_e64 v26, 0xfc, v108, s10
; %bb.2730:                             ;   in Loop: Header=BB6_2695 Depth=2
	s_or_b32 exec_lo, exec_lo, s27
.LBB6_2731:                             ;   in Loop: Header=BB6_2695 Depth=2
	s_delay_alu instid0(SALU_CYCLE_1) | instskip(SKIP_3) | instid1(VALU_DEP_2)
	s_or_b32 exec_lo, exec_lo, s11
	v_lshrrev_b16 v0, 8, v14
	v_mov_b32_e32 v4, 0
	s_mov_b32 s11, exec_lo
	v_cmpx_ne_u16_e32 0, v0
	s_cbranch_execz .LBB6_2741
; %bb.2732:                             ;   in Loop: Header=BB6_2695 Depth=2
	v_bfrev_b32_e32 v4, 1
	s_mov_b32 s27, exec_lo
	v_cmpx_ne_u16_e32 0x80, v0
	s_cbranch_execz .LBB6_2740
; %bb.2733:                             ;   in Loop: Header=BB6_2695 Depth=2
	v_and_b32_e32 v6, 0xffff, v0
	s_delay_alu instid0(VALU_DEP_1) | instskip(SKIP_1) | instid1(VALU_DEP_2)
	v_and_b32_e32 v4, 0x7c, v6
	v_and_b32_e32 v1, 3, v6
	v_cmp_ne_u32_e64 s10, 0x7c, v4
                                        ; implicit-def: $vgpr4
	s_and_saveexec_b32 s28, s10
	s_delay_alu instid0(SALU_CYCLE_1)
	s_xor_b32 s28, exec_lo, s28
	s_cbranch_execz .LBB6_2737
; %bb.2734:                             ;   in Loop: Header=BB6_2695 Depth=2
	v_bfe_u32 v4, v6, 2, 5
	s_mov_b32 s29, exec_lo
	s_delay_alu instid0(VALU_DEP_1)
	v_cmpx_eq_u32_e32 0, v4
	s_cbranch_execz .LBB6_2736
; %bb.2735:                             ;   in Loop: Header=BB6_2695 Depth=2
	v_clz_i32_u32_e32 v1, v1
	s_delay_alu instid0(VALU_DEP_1) | instskip(SKIP_1) | instid1(VALU_DEP_2)
	v_min_u32_e32 v4, 32, v1
	v_mov_b32_e32 v1, v5
	v_subrev_nc_u32_e32 v6, 29, v4
	v_sub_nc_u32_e32 v4, 30, v4
	s_delay_alu instid0(VALU_DEP_2) | instskip(NEXT) | instid1(VALU_DEP_1)
	v_lshlrev_b64_e32 v[0:1], v6, v[0:1]
	v_and_b32_e32 v1, 3, v0
.LBB6_2736:                             ;   in Loop: Header=BB6_2695 Depth=2
	s_or_b32 exec_lo, exec_lo, s29
	v_lshlrev_b32_e32 v0, 16, v14
	s_delay_alu instid0(VALU_DEP_1) | instskip(NEXT) | instid1(VALU_DEP_1)
	v_and_b32_e32 v0, 0x80000000, v0
	v_lshl_add_u32 v0, v4, 23, v0
	s_delay_alu instid0(VALU_DEP_1) | instskip(NEXT) | instid1(VALU_DEP_1)
	v_lshl_or_b32 v0, v1, 21, v0
                                        ; implicit-def: $vgpr1
	v_add_nc_u32_e32 v4, 0x38000000, v0
.LBB6_2737:                             ;   in Loop: Header=BB6_2695 Depth=2
	s_and_not1_saveexec_b32 s28, s28
; %bb.2738:                             ;   in Loop: Header=BB6_2695 Depth=2
	v_cmp_lt_i16_e64 s10, -1, v14
	s_delay_alu instid0(VALU_DEP_1) | instskip(SKIP_1) | instid1(VALU_DEP_1)
	v_cndmask_b32_e64 v0, 0xff800000, v109, s10
	v_cmp_eq_u32_e64 s10, 0, v1
	v_cndmask_b32_e64 v4, 0x7f800001, v0, s10
; %bb.2739:                             ;   in Loop: Header=BB6_2695 Depth=2
	s_or_b32 exec_lo, exec_lo, s28
.LBB6_2740:                             ;   in Loop: Header=BB6_2695 Depth=2
	s_delay_alu instid0(SALU_CYCLE_1)
	s_or_b32 exec_lo, exec_lo, s27
.LBB6_2741:                             ;   in Loop: Header=BB6_2695 Depth=2
	s_delay_alu instid0(SALU_CYCLE_1) | instskip(SKIP_3) | instid1(VALU_DEP_1)
	s_or_b32 exec_lo, exec_lo, s11
	v_lshrrev_b16 v0, 8, v10
	s_mov_b32 s27, 0
	s_mov_b32 s11, exec_lo
	v_cmpx_lt_i16_e32 0x7f, v0
	s_xor_b32 s11, exec_lo, s11
	s_cbranch_execz .LBB6_3248
; %bb.2742:                             ;   in Loop: Header=BB6_2695 Depth=2
	s_mov_b32 s27, -1
	s_mov_b32 s28, exec_lo
	v_cmpx_eq_u16_e32 0x80, v0
; %bb.2743:                             ;   in Loop: Header=BB6_2695 Depth=2
	s_xor_b32 s27, exec_lo, -1
; %bb.2744:                             ;   in Loop: Header=BB6_2695 Depth=2
	s_or_b32 exec_lo, exec_lo, s28
	s_delay_alu instid0(SALU_CYCLE_1)
	s_and_b32 s27, s27, exec_lo
	s_or_saveexec_b32 s11, s11
	v_bfrev_b32_e32 v1, 1
	s_xor_b32 exec_lo, exec_lo, s11
	s_cbranch_execnz .LBB6_3249
.LBB6_2745:                             ;   in Loop: Header=BB6_2695 Depth=2
	s_or_b32 exec_lo, exec_lo, s11
	s_and_saveexec_b32 s11, s27
	s_cbranch_execz .LBB6_2747
.LBB6_2746:                             ;   in Loop: Header=BB6_2695 Depth=2
	v_and_b32_e32 v8, 0xffff, v0
	s_delay_alu instid0(VALU_DEP_1) | instskip(NEXT) | instid1(VALU_DEP_1)
	v_and_b32_e32 v9, 3, v8
	v_clz_i32_u32_e32 v1, v9
	s_delay_alu instid0(VALU_DEP_1) | instskip(SKIP_1) | instid1(VALU_DEP_2)
	v_min_u32_e32 v27, 32, v1
	v_mov_b32_e32 v1, v5
	v_subrev_nc_u32_e32 v6, 29, v27
	s_delay_alu instid0(VALU_DEP_1) | instskip(SKIP_2) | instid1(VALU_DEP_2)
	v_lshlrev_b64_e32 v[6:7], v6, v[0:1]
	v_bfe_u32 v1, v8, 2, 5
	v_dual_lshlrev_b32 v0, 24, v0 :: v_dual_sub_nc_u32 v7, 30, v27
	v_cmp_eq_u32_e64 s10, 0, v1
	s_delay_alu instid0(VALU_DEP_2) | instskip(NEXT) | instid1(VALU_DEP_2)
	v_and_b32_e32 v0, 0x80000000, v0
	v_dual_cndmask_b32 v1, v1, v7, s10 :: v_dual_bitop2_b32 v6, 3, v6 bitop3:0x40
	s_delay_alu instid0(VALU_DEP_1) | instskip(SKIP_1) | instid1(VALU_DEP_3)
	v_cndmask_b32_e64 v6, v9, v6, s10
	v_cmp_lt_i16_e64 s10, -1, v10
	v_lshl_add_u32 v0, v1, 23, v0
	s_delay_alu instid0(VALU_DEP_2) | instskip(SKIP_1) | instid1(VALU_DEP_3)
	v_cndmask_b32_e64 v1, 0xff800000, v109, s10
	v_cmp_eq_u32_e64 s10, 0, v9
	v_lshl_or_b32 v0, v6, 21, v0
	v_and_b32_e32 v6, 0x7c, v8
	s_delay_alu instid0(VALU_DEP_3) | instskip(NEXT) | instid1(VALU_DEP_3)
	v_cndmask_b32_e64 v1, 0x7f800001, v1, s10
	v_add_nc_u32_e32 v0, 0x38000000, v0
	s_delay_alu instid0(VALU_DEP_3) | instskip(NEXT) | instid1(VALU_DEP_1)
	v_cmp_eq_u32_e64 s10, 0x7c, v6
	v_cndmask_b32_e64 v1, v0, v1, s10
.LBB6_2747:                             ;   in Loop: Header=BB6_2695 Depth=2
	s_or_b32 exec_lo, exec_lo, s11
	s_delay_alu instid0(VALU_DEP_1) | instskip(SKIP_1) | instid1(VALU_DEP_1)
	v_dual_mul_f32 v0, v4, v1 :: v_dual_mov_b32 v7, v5
                                        ; implicit-def: $vgpr27
	s_mov_b32 s11, exec_lo
	v_and_b32_e32 v6, 0x7f800000, v0
	v_and_b32_e32 v4, 0x7fffff, v0
	v_lshrrev_b32_e32 v1, 24, v0
	s_delay_alu instid0(VALU_DEP_3)
	v_cmpx_ne_u64_e32 0x7f800000, v[6:7]
	s_xor_b32 s27, exec_lo, s11
	s_cbranch_execz .LBB6_2761
; %bb.2748:                             ;   in Loop: Header=BB6_2695 Depth=2
	v_and_b32_e32 v6, 0x7fffffff, v0
	v_mov_b32_e32 v7, v5
	v_and_b32_e32 v8, 0x80, v1
                                        ; implicit-def: $vgpr27
	s_mov_b32 s11, exec_lo
	s_delay_alu instid0(VALU_DEP_2)
	v_cmpx_gt_u64_e32 0x47600001, v[6:7]
	s_xor_b32 s28, exec_lo, s11
	s_cbranch_execz .LBB6_2758
; %bb.2749:                             ;   in Loop: Header=BB6_2695 Depth=2
	v_mov_b32_e32 v27, 0
	s_mov_b32 s29, exec_lo
	v_cmpx_ne_u32_e32 0, v0
	s_cbranch_execz .LBB6_2757
; %bb.2750:                             ;   in Loop: Header=BB6_2695 Depth=2
	v_bfe_u32 v9, v0, 23, 8
	v_or_b32_e32 v6, 0x800000, v4
	s_mov_b32 s40, exec_lo
	s_delay_alu instid0(VALU_DEP_2) | instskip(SKIP_1) | instid1(VALU_DEP_1)
	v_dual_mov_b32 v7, v5 :: v_dual_sub_nc_u32 v0, 0x71, v9
	v_cmp_gt_u32_e64 s10, 0x72, v9
	v_cndmask_b32_e64 v0, 0, v0, s10
	v_cmp_eq_u32_e64 s10, 0, v9
	s_delay_alu instid0(VALU_DEP_1) | instskip(NEXT) | instid1(VALU_DEP_1)
	v_cndmask_b32_e64 v27, v0, 0x70, s10
	v_dual_cndmask_b32 v6, v6, v4, s10 :: v_dual_add_nc_u32 v0, 21, v27
	v_add_nc_u32_e32 v28, 20, v27
	s_delay_alu instid0(VALU_DEP_2) | instskip(NEXT) | instid1(VALU_DEP_2)
	v_lshlrev_b64_e64 v[0:1], v0, -1
	v_lshlrev_b64_e64 v[28:29], v28, 1
	s_delay_alu instid0(VALU_DEP_2) | instskip(NEXT) | instid1(VALU_DEP_3)
	v_bfi_b32 v31, v1, 0, 0
	v_bfi_b32 v30, v0, 0, v6
	v_lshrrev_b64 v[0:1], v27, v[6:7]
	s_delay_alu instid0(VALU_DEP_1) | instskip(NEXT) | instid1(VALU_DEP_3)
	v_mov_b64_e32 v[6:7], v[0:1]
	v_cmpx_eq_u64_e64 v[30:31], v[28:29]
; %bb.2751:                             ;   in Loop: Header=BB6_2695 Depth=2
	v_bfe_u32 v6, v0, 21, 1
	v_mov_b32_e32 v7, v5
	s_delay_alu instid0(VALU_DEP_1) | instskip(NEXT) | instid1(VALU_DEP_1)
	v_add_nc_u64_e32 v[6:7], v[0:1], v[6:7]
	v_add_nc_u64_e32 v[6:7], -1, v[6:7]
; %bb.2752:                             ;   in Loop: Header=BB6_2695 Depth=2
	s_or_b32 exec_lo, exec_lo, s40
	v_add_nc_u32_e32 v1, 0xffffff81, v9
	v_lshrrev_b32_e32 v4, 23, v0
	s_mov_b32 s11, exec_lo
	s_delay_alu instid0(VALU_DEP_2) | instskip(NEXT) | instid1(VALU_DEP_1)
	v_cndmask_b32_e64 v1, v1, 0xffffff82, s10
	v_add3_u32 v7, v27, v1, v4
	v_and_b32_e32 v1, 0x1fffff, v6
                                        ; implicit-def: $vgpr6
	s_delay_alu instid0(VALU_DEP_1) | instskip(NEXT) | instid1(VALU_DEP_1)
	v_dual_add_nc_u32 v9, 14, v7 :: v_dual_add_nc_u32 v4, v1, v0
                                        ; implicit-def: $vgpr0_vgpr1
	v_cmpx_ne_u32_e32 0, v9
	s_xor_b32 s11, exec_lo, s11
; %bb.2753:                             ;   in Loop: Header=BB6_2695 Depth=2
	s_delay_alu instid0(VALU_DEP_2) | instskip(SKIP_1) | instid1(VALU_DEP_1)
	v_cmp_lt_u64_e64 s10, 0xffffff, v[4:5]
	v_add_nc_u32_e32 v0, 15, v7
	v_cndmask_b32_e64 v6, v9, v0, s10
	v_cndmask_b32_e64 v0, 0, 1, s10
	s_delay_alu instid0(VALU_DEP_1)
	v_lshrrev_b64 v[0:1], v0, v[4:5]
; %bb.2754:                             ;   in Loop: Header=BB6_2695 Depth=2
	s_and_not1_saveexec_b32 s10, s11
; %bb.2755:                             ;   in Loop: Header=BB6_2695 Depth=2
	v_mov_b64_e32 v[0:1], v[4:5]
	v_bfe_u32 v6, v4, 23, 1
; %bb.2756:                             ;   in Loop: Header=BB6_2695 Depth=2
	s_or_b32 exec_lo, exec_lo, s10
	s_delay_alu instid0(VALU_DEP_2) | instskip(NEXT) | instid1(VALU_DEP_2)
	v_lshrrev_b64 v[0:1], 21, v[0:1]
	v_cmp_gt_i32_e64 s10, 32, v6
	v_min_i32_e32 v4, 31, v6
	v_cmp_eq_u32_e64 s11, 0, v6
	s_delay_alu instid0(VALU_DEP_2) | instskip(SKIP_1) | instid1(VALU_DEP_2)
	v_dual_cndmask_b32 v1, 0, v1, s10 :: v_dual_lshlrev_b32 v4, 2, v4
	v_cndmask_b32_e64 v0, 3, v0, s10
	v_and_b32_e32 v4, 0xfc, v4
	s_delay_alu instid0(VALU_DEP_2) | instskip(NEXT) | instid1(VALU_DEP_2)
	v_cmp_eq_u64_e64 s10, 0, v[0:1]
	v_and_or_b32 v0, v0, 3, v4
	s_and_b32 s10, s11, s10
	s_delay_alu instid0(VALU_DEP_1) | instid1(SALU_CYCLE_1)
	v_cndmask_b32_e64 v0, v0, 0, s10
	s_delay_alu instid0(VALU_DEP_1)
	v_or_b32_e32 v27, v0, v8
.LBB6_2757:                             ;   in Loop: Header=BB6_2695 Depth=2
	s_or_b32 exec_lo, exec_lo, s29
                                        ; implicit-def: $vgpr8
.LBB6_2758:                             ;   in Loop: Header=BB6_2695 Depth=2
	s_and_not1_saveexec_b32 s10, s28
; %bb.2759:                             ;   in Loop: Header=BB6_2695 Depth=2
	v_or_b32_e32 v27, 0x7b, v8
; %bb.2760:                             ;   in Loop: Header=BB6_2695 Depth=2
	s_or_b32 exec_lo, exec_lo, s10
                                        ; implicit-def: $vgpr0
                                        ; implicit-def: $vgpr1
.LBB6_2761:                             ;   in Loop: Header=BB6_2695 Depth=2
	s_and_not1_saveexec_b32 s11, s27
	s_cbranch_execz .LBB6_2767
; %bb.2762:                             ;   in Loop: Header=BB6_2695 Depth=2
	v_cmp_ne_u64_e64 s10, 0, v[4:5]
                                        ; implicit-def: $vgpr27
	s_and_saveexec_b32 s27, s10
	s_delay_alu instid0(SALU_CYCLE_1)
	s_xor_b32 s10, exec_lo, s27
; %bb.2763:                             ;   in Loop: Header=BB6_2695 Depth=2
	v_or_b32_e32 v27, 0x7f, v1
                                        ; implicit-def: $vgpr0
; %bb.2764:                             ;   in Loop: Header=BB6_2695 Depth=2
	s_and_not1_saveexec_b32 s27, s10
; %bb.2765:                             ;   in Loop: Header=BB6_2695 Depth=2
	v_cmp_lt_i32_e64 s10, -1, v0
	s_delay_alu instid0(VALU_DEP_1)
	v_cndmask_b32_e64 v27, 0xfc, v108, s10
; %bb.2766:                             ;   in Loop: Header=BB6_2695 Depth=2
	s_or_b32 exec_lo, exec_lo, s27
.LBB6_2767:                             ;   in Loop: Header=BB6_2695 Depth=2
	s_delay_alu instid0(SALU_CYCLE_1) | instskip(SKIP_2) | instid1(VALU_DEP_1)
	s_or_b32 exec_lo, exec_lo, s11
	v_dual_mov_b32 v1, 0 :: v_dual_lshrrev_b32 v0, 16, v14
	s_mov_b32 s11, exec_lo
	v_and_b32_e32 v4, 0xff, v0
	s_delay_alu instid0(VALU_DEP_1)
	v_cmpx_ne_u16_e32 0, v4
	s_cbranch_execz .LBB6_2777
; %bb.2768:                             ;   in Loop: Header=BB6_2695 Depth=2
	v_bfrev_b32_e32 v1, 1
	s_mov_b32 s27, exec_lo
	v_cmpx_ne_u16_e32 0x80, v4
	s_cbranch_execz .LBB6_2776
; %bb.2769:                             ;   in Loop: Header=BB6_2695 Depth=2
	v_and_b32_e32 v1, 0x7c0000, v14
	v_bfe_u32 v4, v14, 16, 2
	s_delay_alu instid0(VALU_DEP_2) | instskip(SKIP_1) | instid1(SALU_CYCLE_1)
	v_cmp_ne_u32_e64 s10, 0x7c0000, v1
                                        ; implicit-def: $vgpr1
	s_and_saveexec_b32 s28, s10
	s_xor_b32 s28, exec_lo, s28
	s_cbranch_execz .LBB6_2773
; %bb.2770:                             ;   in Loop: Header=BB6_2695 Depth=2
	v_bfe_u32 v1, v14, 18, 5
	s_mov_b32 s29, exec_lo
	s_delay_alu instid0(VALU_DEP_1)
	v_cmpx_eq_u32_e32 0, v1
; %bb.2771:                             ;   in Loop: Header=BB6_2695 Depth=2
	v_clz_i32_u32_e32 v1, v4
	s_delay_alu instid0(VALU_DEP_1) | instskip(NEXT) | instid1(VALU_DEP_1)
	v_min_u32_e32 v1, 32, v1
	v_subrev_nc_u32_e32 v4, 29, v1
	s_delay_alu instid0(VALU_DEP_1) | instskip(NEXT) | instid1(VALU_DEP_1)
	v_lshlrev_b64_e32 v[6:7], v4, v[0:1]
	v_dual_sub_nc_u32 v1, 30, v1 :: v_dual_bitop2_b32 v4, 3, v6 bitop3:0x40
; %bb.2772:                             ;   in Loop: Header=BB6_2695 Depth=2
	s_or_b32 exec_lo, exec_lo, s29
	v_lshlrev_b32_e32 v0, 24, v0
	s_delay_alu instid0(VALU_DEP_1) | instskip(NEXT) | instid1(VALU_DEP_1)
	v_and_b32_e32 v0, 0x80000000, v0
	v_lshl_add_u32 v0, v1, 23, v0
	s_delay_alu instid0(VALU_DEP_1) | instskip(NEXT) | instid1(VALU_DEP_1)
	v_lshl_or_b32 v0, v4, 21, v0
                                        ; implicit-def: $vgpr4
	v_add_nc_u32_e32 v1, 0x38000000, v0
                                        ; implicit-def: $vgpr0
.LBB6_2773:                             ;   in Loop: Header=BB6_2695 Depth=2
	s_and_not1_saveexec_b32 s28, s28
; %bb.2774:                             ;   in Loop: Header=BB6_2695 Depth=2
	v_bfe_i32 v0, v0, 0, 8
	s_delay_alu instid0(VALU_DEP_1) | instskip(NEXT) | instid1(VALU_DEP_1)
	v_cmp_lt_i16_e64 s10, -1, v0
	v_cndmask_b32_e64 v0, 0xff800000, v109, s10
	v_cmp_eq_u32_e64 s10, 0, v4
	s_delay_alu instid0(VALU_DEP_1)
	v_cndmask_b32_e64 v1, 0x7f800001, v0, s10
; %bb.2775:                             ;   in Loop: Header=BB6_2695 Depth=2
	s_or_b32 exec_lo, exec_lo, s28
.LBB6_2776:                             ;   in Loop: Header=BB6_2695 Depth=2
	s_delay_alu instid0(SALU_CYCLE_1)
	s_or_b32 exec_lo, exec_lo, s27
.LBB6_2777:                             ;   in Loop: Header=BB6_2695 Depth=2
	s_delay_alu instid0(SALU_CYCLE_1) | instskip(SKIP_3) | instid1(VALU_DEP_1)
	s_or_b32 exec_lo, exec_lo, s11
	v_lshrrev_b32_e32 v0, 16, v10
	s_mov_b32 s27, 0
	s_mov_b32 s11, exec_lo
	v_and_b32_e32 v6, 0xff, v0
	s_delay_alu instid0(VALU_DEP_1)
	v_cmpx_lt_i16_e32 0x7f, v6
	s_xor_b32 s11, exec_lo, s11
	s_cbranch_execz .LBB6_3250
; %bb.2778:                             ;   in Loop: Header=BB6_2695 Depth=2
	s_mov_b32 s27, -1
	s_mov_b32 s28, exec_lo
	v_cmpx_eq_u16_e32 0x80, v6
; %bb.2779:                             ;   in Loop: Header=BB6_2695 Depth=2
	s_xor_b32 s27, exec_lo, -1
; %bb.2780:                             ;   in Loop: Header=BB6_2695 Depth=2
	s_or_b32 exec_lo, exec_lo, s28
	s_delay_alu instid0(SALU_CYCLE_1)
	s_and_b32 s27, s27, exec_lo
                                        ; implicit-def: $vgpr6
	s_or_saveexec_b32 s11, s11
	v_bfrev_b32_e32 v4, 1
	s_xor_b32 exec_lo, exec_lo, s11
	s_cbranch_execnz .LBB6_3251
.LBB6_2781:                             ;   in Loop: Header=BB6_2695 Depth=2
	s_or_b32 exec_lo, exec_lo, s11
	s_and_saveexec_b32 s11, s27
	s_cbranch_execz .LBB6_2783
.LBB6_2782:                             ;   in Loop: Header=BB6_2695 Depth=2
	v_and_b32_e32 v4, 3, v0
	v_bfe_u32 v9, v10, 18, 5
	s_delay_alu instid0(VALU_DEP_2) | instskip(NEXT) | instid1(VALU_DEP_2)
	v_clz_i32_u32_e32 v6, v4
	v_cmp_eq_u32_e64 s10, 0, v9
	s_delay_alu instid0(VALU_DEP_2) | instskip(NEXT) | instid1(VALU_DEP_1)
	v_min_u32_e32 v8, 32, v6
	v_subrev_nc_u32_e32 v6, 29, v8
	s_delay_alu instid0(VALU_DEP_1) | instskip(SKIP_3) | instid1(VALU_DEP_3)
	v_lshlrev_b64_e32 v[6:7], v6, v[0:1]
	v_lshlrev_b32_e32 v7, 24, v0
	v_sub_nc_u32_e32 v8, 30, v8
	v_bfe_i32 v0, v0, 0, 8
	v_and_b32_e32 v7, 0x80000000, v7
	s_delay_alu instid0(VALU_DEP_3) | instskip(NEXT) | instid1(VALU_DEP_1)
	v_dual_cndmask_b32 v8, v9, v8, s10 :: v_dual_bitop2_b32 v6, 3, v6 bitop3:0x40
	v_cndmask_b32_e64 v6, v4, v6, s10
	s_delay_alu instid0(VALU_DEP_2) | instskip(SKIP_1) | instid1(VALU_DEP_2)
	v_lshl_add_u32 v7, v8, 23, v7
	v_cmp_lt_i16_e64 s10, -1, v0
	v_lshl_or_b32 v6, v6, 21, v7
	s_delay_alu instid0(VALU_DEP_2) | instskip(SKIP_2) | instid1(VALU_DEP_4)
	v_cndmask_b32_e64 v0, 0xff800000, v109, s10
	v_and_b32_e32 v7, 0x7c0000, v10
	v_cmp_eq_u32_e64 s10, 0, v4
	v_add_nc_u32_e32 v4, 0x38000000, v6
	s_delay_alu instid0(VALU_DEP_2) | instskip(NEXT) | instid1(VALU_DEP_4)
	v_cndmask_b32_e64 v0, 0x7f800001, v0, s10
	v_cmp_eq_u32_e64 s10, 0x7c0000, v7
	s_delay_alu instid0(VALU_DEP_1)
	v_cndmask_b32_e64 v4, v4, v0, s10
.LBB6_2783:                             ;   in Loop: Header=BB6_2695 Depth=2
	s_or_b32 exec_lo, exec_lo, s11
	s_delay_alu instid0(VALU_DEP_1) | instskip(SKIP_2) | instid1(VALU_DEP_2)
	v_mul_f32_e32 v0, v1, v4
	v_mov_b32_e32 v7, v5
                                        ; implicit-def: $vgpr28
	s_mov_b32 s11, exec_lo
	v_and_b32_e32 v6, 0x7f800000, v0
	v_and_b32_e32 v4, 0x7fffff, v0
	v_lshrrev_b32_e32 v1, 24, v0
	s_delay_alu instid0(VALU_DEP_3)
	v_cmpx_ne_u64_e32 0x7f800000, v[6:7]
	s_xor_b32 s27, exec_lo, s11
	s_cbranch_execz .LBB6_2797
; %bb.2784:                             ;   in Loop: Header=BB6_2695 Depth=2
	v_and_b32_e32 v6, 0x7fffffff, v0
	v_mov_b32_e32 v7, v5
	v_and_b32_e32 v8, 0x80, v1
                                        ; implicit-def: $vgpr28
	s_mov_b32 s11, exec_lo
	s_delay_alu instid0(VALU_DEP_2)
	v_cmpx_gt_u64_e32 0x47600001, v[6:7]
	s_xor_b32 s28, exec_lo, s11
	s_cbranch_execz .LBB6_2794
; %bb.2785:                             ;   in Loop: Header=BB6_2695 Depth=2
	v_mov_b32_e32 v28, 0
	s_mov_b32 s29, exec_lo
	v_cmpx_ne_u32_e32 0, v0
	s_cbranch_execz .LBB6_2793
; %bb.2786:                             ;   in Loop: Header=BB6_2695 Depth=2
	v_bfe_u32 v9, v0, 23, 8
	v_or_b32_e32 v6, 0x800000, v4
	s_mov_b32 s40, exec_lo
	s_delay_alu instid0(VALU_DEP_2) | instskip(SKIP_1) | instid1(VALU_DEP_1)
	v_dual_mov_b32 v7, v5 :: v_dual_sub_nc_u32 v0, 0x71, v9
	v_cmp_gt_u32_e64 s10, 0x72, v9
	v_cndmask_b32_e64 v0, 0, v0, s10
	v_cmp_eq_u32_e64 s10, 0, v9
	s_delay_alu instid0(VALU_DEP_1) | instskip(SKIP_1) | instid1(VALU_DEP_2)
	v_cndmask_b32_e64 v28, v0, 0x70, s10
	v_cndmask_b32_e64 v6, v6, v4, s10
	v_dual_add_nc_u32 v0, 21, v28 :: v_dual_add_nc_u32 v29, 20, v28
	s_delay_alu instid0(VALU_DEP_1) | instskip(NEXT) | instid1(VALU_DEP_2)
	v_lshlrev_b64_e64 v[0:1], v0, -1
	v_lshlrev_b64_e64 v[30:31], v29, 1
	s_delay_alu instid0(VALU_DEP_2) | instskip(NEXT) | instid1(VALU_DEP_3)
	v_bfi_b32 v33, v1, 0, 0
	v_bfi_b32 v32, v0, 0, v6
	v_lshrrev_b64 v[0:1], v28, v[6:7]
	s_delay_alu instid0(VALU_DEP_1) | instskip(NEXT) | instid1(VALU_DEP_3)
	v_mov_b64_e32 v[6:7], v[0:1]
	v_cmpx_eq_u64_e64 v[32:33], v[30:31]
; %bb.2787:                             ;   in Loop: Header=BB6_2695 Depth=2
	v_bfe_u32 v6, v0, 21, 1
	v_mov_b32_e32 v7, v5
	s_delay_alu instid0(VALU_DEP_1) | instskip(NEXT) | instid1(VALU_DEP_1)
	v_add_nc_u64_e32 v[6:7], v[0:1], v[6:7]
	v_add_nc_u64_e32 v[6:7], -1, v[6:7]
; %bb.2788:                             ;   in Loop: Header=BB6_2695 Depth=2
	s_or_b32 exec_lo, exec_lo, s40
	v_add_nc_u32_e32 v1, 0xffffff81, v9
	v_lshrrev_b32_e32 v4, 23, v0
	s_mov_b32 s11, exec_lo
	s_delay_alu instid0(VALU_DEP_2) | instskip(NEXT) | instid1(VALU_DEP_1)
	v_cndmask_b32_e64 v1, v1, 0xffffff82, s10
	v_add3_u32 v7, v28, v1, v4
	v_and_b32_e32 v1, 0x1fffff, v6
                                        ; implicit-def: $vgpr6
	s_delay_alu instid0(VALU_DEP_1) | instskip(NEXT) | instid1(VALU_DEP_1)
	v_dual_add_nc_u32 v9, 14, v7 :: v_dual_add_nc_u32 v4, v1, v0
                                        ; implicit-def: $vgpr0_vgpr1
	v_cmpx_ne_u32_e32 0, v9
	s_xor_b32 s11, exec_lo, s11
; %bb.2789:                             ;   in Loop: Header=BB6_2695 Depth=2
	s_delay_alu instid0(VALU_DEP_2) | instskip(SKIP_1) | instid1(VALU_DEP_1)
	v_cmp_lt_u64_e64 s10, 0xffffff, v[4:5]
	v_add_nc_u32_e32 v0, 15, v7
	v_cndmask_b32_e64 v6, v9, v0, s10
	v_cndmask_b32_e64 v0, 0, 1, s10
	s_delay_alu instid0(VALU_DEP_1)
	v_lshrrev_b64 v[0:1], v0, v[4:5]
; %bb.2790:                             ;   in Loop: Header=BB6_2695 Depth=2
	s_and_not1_saveexec_b32 s10, s11
; %bb.2791:                             ;   in Loop: Header=BB6_2695 Depth=2
	v_mov_b64_e32 v[0:1], v[4:5]
	v_bfe_u32 v6, v4, 23, 1
; %bb.2792:                             ;   in Loop: Header=BB6_2695 Depth=2
	s_or_b32 exec_lo, exec_lo, s10
	s_delay_alu instid0(VALU_DEP_2) | instskip(NEXT) | instid1(VALU_DEP_2)
	v_lshrrev_b64 v[0:1], 21, v[0:1]
	v_cmp_gt_i32_e64 s10, 32, v6
	v_min_i32_e32 v4, 31, v6
	v_cmp_eq_u32_e64 s11, 0, v6
	s_delay_alu instid0(VALU_DEP_2) | instskip(SKIP_1) | instid1(VALU_DEP_2)
	v_dual_cndmask_b32 v1, 0, v1, s10 :: v_dual_lshlrev_b32 v4, 2, v4
	v_cndmask_b32_e64 v0, 3, v0, s10
	v_and_b32_e32 v4, 0xfc, v4
	s_delay_alu instid0(VALU_DEP_2) | instskip(NEXT) | instid1(VALU_DEP_2)
	v_cmp_eq_u64_e64 s10, 0, v[0:1]
	v_and_or_b32 v0, v0, 3, v4
	s_and_b32 s10, s11, s10
	s_delay_alu instid0(VALU_DEP_1) | instid1(SALU_CYCLE_1)
	v_cndmask_b32_e64 v0, v0, 0, s10
	s_delay_alu instid0(VALU_DEP_1)
	v_or_b32_e32 v28, v0, v8
.LBB6_2793:                             ;   in Loop: Header=BB6_2695 Depth=2
	s_or_b32 exec_lo, exec_lo, s29
                                        ; implicit-def: $vgpr8
.LBB6_2794:                             ;   in Loop: Header=BB6_2695 Depth=2
	s_and_not1_saveexec_b32 s10, s28
; %bb.2795:                             ;   in Loop: Header=BB6_2695 Depth=2
	v_or_b32_e32 v28, 0x7b, v8
; %bb.2796:                             ;   in Loop: Header=BB6_2695 Depth=2
	s_or_b32 exec_lo, exec_lo, s10
                                        ; implicit-def: $vgpr0
                                        ; implicit-def: $vgpr1
.LBB6_2797:                             ;   in Loop: Header=BB6_2695 Depth=2
	s_and_not1_saveexec_b32 s11, s27
	s_cbranch_execz .LBB6_2803
; %bb.2798:                             ;   in Loop: Header=BB6_2695 Depth=2
	v_cmp_ne_u64_e64 s10, 0, v[4:5]
                                        ; implicit-def: $vgpr28
	s_and_saveexec_b32 s27, s10
	s_delay_alu instid0(SALU_CYCLE_1)
	s_xor_b32 s10, exec_lo, s27
; %bb.2799:                             ;   in Loop: Header=BB6_2695 Depth=2
	v_or_b32_e32 v28, 0x7f, v1
                                        ; implicit-def: $vgpr0
; %bb.2800:                             ;   in Loop: Header=BB6_2695 Depth=2
	s_and_not1_saveexec_b32 s27, s10
; %bb.2801:                             ;   in Loop: Header=BB6_2695 Depth=2
	v_cmp_lt_i32_e64 s10, -1, v0
	s_delay_alu instid0(VALU_DEP_1)
	v_cndmask_b32_e64 v28, 0xfc, v108, s10
; %bb.2802:                             ;   in Loop: Header=BB6_2695 Depth=2
	s_or_b32 exec_lo, exec_lo, s27
.LBB6_2803:                             ;   in Loop: Header=BB6_2695 Depth=2
	s_delay_alu instid0(SALU_CYCLE_1)
	s_or_b32 exec_lo, exec_lo, s11
	v_mov_b32_e32 v1, 0
	s_mov_b32 s11, exec_lo
	v_cmpx_lt_u32_e32 0xffffff, v14
	s_cbranch_execz .LBB6_2813
; %bb.2804:                             ;   in Loop: Header=BB6_2695 Depth=2
	v_lshrrev_b32_e32 v0, 24, v14
	v_bfrev_b32_e32 v1, 1
	s_mov_b32 s27, exec_lo
	s_delay_alu instid0(VALU_DEP_2)
	v_cmpx_ne_u32_e32 0x80, v0
	s_cbranch_execz .LBB6_2812
; %bb.2805:                             ;   in Loop: Header=BB6_2695 Depth=2
	v_and_b32_e32 v1, 0x7c000000, v14
	v_bfe_u32 v4, v14, 24, 2
	s_delay_alu instid0(VALU_DEP_2) | instskip(SKIP_1) | instid1(SALU_CYCLE_1)
	v_cmp_ne_u32_e64 s10, 0x7c000000, v1
                                        ; implicit-def: $vgpr1
	s_and_saveexec_b32 s28, s10
	s_xor_b32 s28, exec_lo, s28
	s_cbranch_execz .LBB6_2809
; %bb.2806:                             ;   in Loop: Header=BB6_2695 Depth=2
	v_bfe_u32 v1, v14, 26, 5
	s_mov_b32 s29, exec_lo
	s_delay_alu instid0(VALU_DEP_1)
	v_cmpx_eq_u32_e32 0, v1
; %bb.2807:                             ;   in Loop: Header=BB6_2695 Depth=2
	v_clz_i32_u32_e32 v1, v4
	s_delay_alu instid0(VALU_DEP_1) | instskip(NEXT) | instid1(VALU_DEP_1)
	v_min_u32_e32 v4, 32, v1
	v_subrev_nc_u32_e32 v1, 29, v4
	s_delay_alu instid0(VALU_DEP_1) | instskip(SKIP_1) | instid1(VALU_DEP_2)
	v_lshlrev_b64_e32 v[0:1], v1, v[0:1]
	v_sub_nc_u32_e32 v1, 30, v4
	v_and_b32_e32 v4, 3, v0
; %bb.2808:                             ;   in Loop: Header=BB6_2695 Depth=2
	s_or_b32 exec_lo, exec_lo, s29
	v_and_b32_e32 v0, 0x80000000, v14
	s_delay_alu instid0(VALU_DEP_1) | instskip(NEXT) | instid1(VALU_DEP_1)
	v_lshl_add_u32 v0, v1, 23, v0
	v_lshl_or_b32 v0, v4, 21, v0
                                        ; implicit-def: $vgpr4
	s_delay_alu instid0(VALU_DEP_1)
	v_add_nc_u32_e32 v1, 0x38000000, v0
.LBB6_2809:                             ;   in Loop: Header=BB6_2695 Depth=2
	s_and_not1_saveexec_b32 s28, s28
; %bb.2810:                             ;   in Loop: Header=BB6_2695 Depth=2
	v_cmp_lt_i32_e64 s10, -1, v14
	s_delay_alu instid0(VALU_DEP_1) | instskip(SKIP_1) | instid1(VALU_DEP_1)
	v_cndmask_b32_e64 v0, 0xff800000, v109, s10
	v_cmp_eq_u32_e64 s10, 0, v4
	v_cndmask_b32_e64 v1, 0x7f800001, v0, s10
; %bb.2811:                             ;   in Loop: Header=BB6_2695 Depth=2
	s_or_b32 exec_lo, exec_lo, s28
.LBB6_2812:                             ;   in Loop: Header=BB6_2695 Depth=2
	s_delay_alu instid0(SALU_CYCLE_1)
	s_or_b32 exec_lo, exec_lo, s27
.LBB6_2813:                             ;   in Loop: Header=BB6_2695 Depth=2
	s_delay_alu instid0(SALU_CYCLE_1) | instskip(SKIP_3) | instid1(VALU_DEP_2)
	s_or_b32 exec_lo, exec_lo, s11
	v_bfe_u32 v4, v10, 24, 2
	v_bfe_u32 v9, v10, 26, 5
                                        ; implicit-def: $vgpr29
	s_mov_b32 s11, exec_lo
	v_clz_i32_u32_e32 v0, v4
	s_delay_alu instid0(VALU_DEP_2) | instskip(NEXT) | instid1(VALU_DEP_2)
	v_cmp_eq_u32_e64 s10, 0, v9
	v_min_u32_e32 v8, 32, v0
	v_lshrrev_b32_e32 v0, 24, v10
	s_delay_alu instid0(VALU_DEP_2) | instskip(NEXT) | instid1(VALU_DEP_1)
	v_subrev_nc_u32_e32 v6, 29, v8
	v_lshlrev_b64_e32 v[6:7], v6, v[0:1]
	v_sub_nc_u32_e32 v7, 30, v8
	v_and_b32_e32 v8, 0x80000000, v10
	s_delay_alu instid0(VALU_DEP_2) | instskip(NEXT) | instid1(VALU_DEP_1)
	v_dual_cndmask_b32 v7, v9, v7, s10 :: v_dual_bitop2_b32 v6, 3, v6 bitop3:0x40
	v_lshl_add_u32 v7, v7, 23, v8
	s_delay_alu instid0(VALU_DEP_2) | instskip(SKIP_1) | instid1(VALU_DEP_2)
	v_cndmask_b32_e64 v6, v4, v6, s10
	v_cmp_lt_i32_e64 s10, -1, v10
	v_lshl_or_b32 v6, v6, 21, v7
	s_delay_alu instid0(VALU_DEP_2) | instskip(SKIP_2) | instid1(VALU_DEP_4)
	v_cndmask_b32_e64 v8, 0xff800000, v109, s10
	v_and_b32_e32 v7, 0x7c000000, v10
	v_cmp_eq_u32_e64 s10, 0, v4
	v_add_nc_u32_e32 v6, 0x38000000, v6
	s_delay_alu instid0(VALU_DEP_2) | instskip(NEXT) | instid1(VALU_DEP_4)
	v_cndmask_b32_e64 v4, 0x7f800001, v8, s10
	v_cmp_eq_u32_e64 s10, 0x7c000000, v7
	s_delay_alu instid0(VALU_DEP_1) | instskip(SKIP_1) | instid1(VALU_DEP_1)
	v_dual_mov_b32 v7, v5 :: v_dual_cndmask_b32 v4, v6, v4, s10
	v_cmp_ne_u32_e64 s10, 0x80, v0
	v_cndmask_b32_e64 v0, 0x80000000, v4, s10
	v_cmp_lt_u32_e64 s10, 0xffffff, v10
	s_delay_alu instid0(VALU_DEP_1) | instskip(NEXT) | instid1(VALU_DEP_1)
	v_cndmask_b32_e64 v0, 0, v0, s10
	v_mul_f32_e32 v0, v0, v1
	s_delay_alu instid0(VALU_DEP_1) | instskip(SKIP_2) | instid1(VALU_DEP_3)
	v_and_b32_e32 v6, 0x7f800000, v0
	v_and_b32_e32 v4, 0x7fffff, v0
	v_lshrrev_b32_e32 v1, 24, v0
	v_cmpx_ne_u64_e32 0x7f800000, v[6:7]
	s_xor_b32 s27, exec_lo, s11
	s_cbranch_execz .LBB6_2827
; %bb.2814:                             ;   in Loop: Header=BB6_2695 Depth=2
	v_and_b32_e32 v6, 0x7fffffff, v0
	v_mov_b32_e32 v7, v5
	v_and_b32_e32 v8, 0x80, v1
                                        ; implicit-def: $vgpr29
	s_mov_b32 s11, exec_lo
	s_delay_alu instid0(VALU_DEP_2)
	v_cmpx_gt_u64_e32 0x47600001, v[6:7]
	s_xor_b32 s28, exec_lo, s11
	s_cbranch_execz .LBB6_2824
; %bb.2815:                             ;   in Loop: Header=BB6_2695 Depth=2
	v_mov_b32_e32 v29, 0
	s_mov_b32 s29, exec_lo
	v_cmpx_ne_u32_e32 0, v0
	s_cbranch_execz .LBB6_2823
; %bb.2816:                             ;   in Loop: Header=BB6_2695 Depth=2
	v_bfe_u32 v9, v0, 23, 8
	v_or_b32_e32 v6, 0x800000, v4
	s_mov_b32 s40, exec_lo
	s_delay_alu instid0(VALU_DEP_2) | instskip(SKIP_1) | instid1(VALU_DEP_1)
	v_dual_mov_b32 v7, v5 :: v_dual_sub_nc_u32 v0, 0x71, v9
	v_cmp_gt_u32_e64 s10, 0x72, v9
	v_cndmask_b32_e64 v0, 0, v0, s10
	v_cmp_eq_u32_e64 s10, 0, v9
	s_delay_alu instid0(VALU_DEP_1) | instskip(NEXT) | instid1(VALU_DEP_1)
	v_cndmask_b32_e64 v29, v0, 0x70, s10
	v_dual_cndmask_b32 v6, v6, v4, s10 :: v_dual_add_nc_u32 v0, 21, v29
	v_add_nc_u32_e32 v30, 20, v29
	s_delay_alu instid0(VALU_DEP_2) | instskip(NEXT) | instid1(VALU_DEP_2)
	v_lshlrev_b64_e64 v[0:1], v0, -1
	v_lshlrev_b64_e64 v[30:31], v30, 1
	s_delay_alu instid0(VALU_DEP_2) | instskip(NEXT) | instid1(VALU_DEP_3)
	v_bfi_b32 v33, v1, 0, 0
	v_bfi_b32 v32, v0, 0, v6
	v_lshrrev_b64 v[0:1], v29, v[6:7]
	s_delay_alu instid0(VALU_DEP_1) | instskip(NEXT) | instid1(VALU_DEP_3)
	v_mov_b64_e32 v[6:7], v[0:1]
	v_cmpx_eq_u64_e64 v[32:33], v[30:31]
; %bb.2817:                             ;   in Loop: Header=BB6_2695 Depth=2
	v_bfe_u32 v6, v0, 21, 1
	v_mov_b32_e32 v7, v5
	s_delay_alu instid0(VALU_DEP_1) | instskip(NEXT) | instid1(VALU_DEP_1)
	v_add_nc_u64_e32 v[6:7], v[0:1], v[6:7]
	v_add_nc_u64_e32 v[6:7], -1, v[6:7]
; %bb.2818:                             ;   in Loop: Header=BB6_2695 Depth=2
	s_or_b32 exec_lo, exec_lo, s40
	v_add_nc_u32_e32 v1, 0xffffff81, v9
	v_lshrrev_b32_e32 v4, 23, v0
	s_mov_b32 s11, exec_lo
	s_delay_alu instid0(VALU_DEP_2) | instskip(NEXT) | instid1(VALU_DEP_1)
	v_cndmask_b32_e64 v1, v1, 0xffffff82, s10
	v_add3_u32 v7, v29, v1, v4
	v_and_b32_e32 v1, 0x1fffff, v6
                                        ; implicit-def: $vgpr6
	s_delay_alu instid0(VALU_DEP_1) | instskip(NEXT) | instid1(VALU_DEP_1)
	v_dual_add_nc_u32 v9, 14, v7 :: v_dual_add_nc_u32 v4, v1, v0
                                        ; implicit-def: $vgpr0_vgpr1
	v_cmpx_ne_u32_e32 0, v9
	s_xor_b32 s11, exec_lo, s11
; %bb.2819:                             ;   in Loop: Header=BB6_2695 Depth=2
	s_delay_alu instid0(VALU_DEP_2) | instskip(SKIP_1) | instid1(VALU_DEP_1)
	v_cmp_lt_u64_e64 s10, 0xffffff, v[4:5]
	v_add_nc_u32_e32 v0, 15, v7
	v_cndmask_b32_e64 v6, v9, v0, s10
	v_cndmask_b32_e64 v0, 0, 1, s10
	s_delay_alu instid0(VALU_DEP_1)
	v_lshrrev_b64 v[0:1], v0, v[4:5]
; %bb.2820:                             ;   in Loop: Header=BB6_2695 Depth=2
	s_and_not1_saveexec_b32 s10, s11
; %bb.2821:                             ;   in Loop: Header=BB6_2695 Depth=2
	v_mov_b64_e32 v[0:1], v[4:5]
	v_bfe_u32 v6, v4, 23, 1
; %bb.2822:                             ;   in Loop: Header=BB6_2695 Depth=2
	s_or_b32 exec_lo, exec_lo, s10
	s_delay_alu instid0(VALU_DEP_2) | instskip(NEXT) | instid1(VALU_DEP_2)
	v_lshrrev_b64 v[0:1], 21, v[0:1]
	v_cmp_gt_i32_e64 s10, 32, v6
	v_min_i32_e32 v4, 31, v6
	v_cmp_eq_u32_e64 s11, 0, v6
	s_delay_alu instid0(VALU_DEP_2) | instskip(SKIP_1) | instid1(VALU_DEP_2)
	v_dual_cndmask_b32 v1, 0, v1, s10 :: v_dual_lshlrev_b32 v4, 2, v4
	v_cndmask_b32_e64 v0, 3, v0, s10
	v_and_b32_e32 v4, 0xfc, v4
	s_delay_alu instid0(VALU_DEP_2) | instskip(NEXT) | instid1(VALU_DEP_2)
	v_cmp_eq_u64_e64 s10, 0, v[0:1]
	v_and_or_b32 v0, v0, 3, v4
	s_and_b32 s10, s11, s10
	s_delay_alu instid0(VALU_DEP_1) | instid1(SALU_CYCLE_1)
	v_cndmask_b32_e64 v0, v0, 0, s10
	s_delay_alu instid0(VALU_DEP_1)
	v_or_b32_e32 v29, v0, v8
.LBB6_2823:                             ;   in Loop: Header=BB6_2695 Depth=2
	s_or_b32 exec_lo, exec_lo, s29
                                        ; implicit-def: $vgpr8
.LBB6_2824:                             ;   in Loop: Header=BB6_2695 Depth=2
	s_and_not1_saveexec_b32 s10, s28
; %bb.2825:                             ;   in Loop: Header=BB6_2695 Depth=2
	v_or_b32_e32 v29, 0x7b, v8
; %bb.2826:                             ;   in Loop: Header=BB6_2695 Depth=2
	s_or_b32 exec_lo, exec_lo, s10
                                        ; implicit-def: $vgpr0
                                        ; implicit-def: $vgpr1
.LBB6_2827:                             ;   in Loop: Header=BB6_2695 Depth=2
	s_and_not1_saveexec_b32 s11, s27
	s_cbranch_execz .LBB6_2833
; %bb.2828:                             ;   in Loop: Header=BB6_2695 Depth=2
	v_cmp_ne_u64_e64 s10, 0, v[4:5]
                                        ; implicit-def: $vgpr29
	s_and_saveexec_b32 s27, s10
	s_delay_alu instid0(SALU_CYCLE_1)
	s_xor_b32 s10, exec_lo, s27
; %bb.2829:                             ;   in Loop: Header=BB6_2695 Depth=2
	v_or_b32_e32 v29, 0x7f, v1
                                        ; implicit-def: $vgpr0
; %bb.2830:                             ;   in Loop: Header=BB6_2695 Depth=2
	s_and_not1_saveexec_b32 s27, s10
; %bb.2831:                             ;   in Loop: Header=BB6_2695 Depth=2
	v_cmp_lt_i32_e64 s10, -1, v0
	s_delay_alu instid0(VALU_DEP_1)
	v_cndmask_b32_e64 v29, 0xfc, v108, s10
; %bb.2832:                             ;   in Loop: Header=BB6_2695 Depth=2
	s_or_b32 exec_lo, exec_lo, s27
.LBB6_2833:                             ;   in Loop: Header=BB6_2695 Depth=2
	s_delay_alu instid0(SALU_CYCLE_1) | instskip(SKIP_3) | instid1(VALU_DEP_2)
	s_or_b32 exec_lo, exec_lo, s11
	v_and_b32_e32 v0, 0xff, v15
	v_dual_mov_b32 v4, v15 :: v_dual_mov_b32 v6, 0
	s_mov_b32 s11, exec_lo
	v_cmpx_ne_u16_e32 0, v0
	s_cbranch_execz .LBB6_2843
; %bb.2834:                             ;   in Loop: Header=BB6_2695 Depth=2
	v_bfrev_b32_e32 v6, 1
	s_mov_b32 s27, exec_lo
	v_cmpx_ne_u16_e32 0x80, v0
	s_cbranch_execz .LBB6_2842
; %bb.2835:                             ;   in Loop: Header=BB6_2695 Depth=2
	v_and_b32_e32 v1, 0x7c, v15
	v_and_b32_e32 v0, 3, v15
	s_mov_b32 s28, exec_lo
                                        ; implicit-def: $vgpr6
	s_delay_alu instid0(VALU_DEP_2)
	v_cmpx_ne_u32_e32 0x7c, v1
	s_xor_b32 s28, exec_lo, s28
	s_cbranch_execz .LBB6_2839
; %bb.2836:                             ;   in Loop: Header=BB6_2695 Depth=2
	v_bfe_u32 v1, v15, 2, 5
	s_mov_b32 s29, exec_lo
	s_delay_alu instid0(VALU_DEP_1)
	v_cmpx_eq_u32_e32 0, v1
; %bb.2837:                             ;   in Loop: Header=BB6_2695 Depth=2
	v_clz_i32_u32_e32 v0, v0
	s_delay_alu instid0(VALU_DEP_1) | instskip(NEXT) | instid1(VALU_DEP_1)
	v_min_u32_e32 v6, 32, v0
	v_subrev_nc_u32_e32 v0, 29, v6
	s_delay_alu instid0(VALU_DEP_1) | instskip(NEXT) | instid1(VALU_DEP_1)
	v_lshlrev_b64_e32 v[0:1], v0, v[4:5]
	v_dual_sub_nc_u32 v1, 30, v6 :: v_dual_bitop2_b32 v0, 3, v0 bitop3:0x40
; %bb.2838:                             ;   in Loop: Header=BB6_2695 Depth=2
	s_or_b32 exec_lo, exec_lo, s29
	v_lshlrev_b32_e32 v6, 24, v15
	s_delay_alu instid0(VALU_DEP_1) | instskip(NEXT) | instid1(VALU_DEP_1)
	v_and_b32_e32 v6, 0x80000000, v6
	v_lshl_add_u32 v1, v1, 23, v6
	s_delay_alu instid0(VALU_DEP_1) | instskip(NEXT) | instid1(VALU_DEP_1)
	v_lshl_or_b32 v0, v0, 21, v1
	v_add_nc_u32_e32 v6, 0x38000000, v0
                                        ; implicit-def: $vgpr0
.LBB6_2839:                             ;   in Loop: Header=BB6_2695 Depth=2
	s_and_not1_saveexec_b32 s28, s28
; %bb.2840:                             ;   in Loop: Header=BB6_2695 Depth=2
	v_bfe_i32 v1, v15, 0, 8
	s_delay_alu instid0(VALU_DEP_1) | instskip(NEXT) | instid1(VALU_DEP_1)
	v_cmp_lt_i16_e64 s10, -1, v1
	v_cndmask_b32_e64 v1, 0xff800000, v109, s10
	v_cmp_eq_u32_e64 s10, 0, v0
	s_delay_alu instid0(VALU_DEP_1)
	v_cndmask_b32_e64 v6, 0x7f800001, v1, s10
; %bb.2841:                             ;   in Loop: Header=BB6_2695 Depth=2
	s_or_b32 exec_lo, exec_lo, s28
.LBB6_2842:                             ;   in Loop: Header=BB6_2695 Depth=2
	s_delay_alu instid0(SALU_CYCLE_1)
	s_or_b32 exec_lo, exec_lo, s27
.LBB6_2843:                             ;   in Loop: Header=BB6_2695 Depth=2
	s_delay_alu instid0(SALU_CYCLE_1) | instskip(SKIP_4) | instid1(VALU_DEP_2)
	s_or_b32 exec_lo, exec_lo, s11
	v_and_b32_e32 v1, 0xff, v11
	v_mov_b32_e32 v0, v11
	s_mov_b32 s27, 0
	s_mov_b32 s11, exec_lo
	v_cmpx_lt_i16_e32 0x7f, v1
	s_xor_b32 s11, exec_lo, s11
	s_cbranch_execz .LBB6_3252
; %bb.2844:                             ;   in Loop: Header=BB6_2695 Depth=2
	s_mov_b32 s27, -1
	s_mov_b32 s28, exec_lo
	v_cmpx_eq_u16_e32 0x80, v1
; %bb.2845:                             ;   in Loop: Header=BB6_2695 Depth=2
	s_xor_b32 s27, exec_lo, -1
; %bb.2846:                             ;   in Loop: Header=BB6_2695 Depth=2
	s_or_b32 exec_lo, exec_lo, s28
	s_delay_alu instid0(SALU_CYCLE_1)
	s_and_b32 s27, s27, exec_lo
                                        ; implicit-def: $vgpr1
	s_or_saveexec_b32 s11, s11
	v_bfrev_b32_e32 v7, 1
	s_xor_b32 exec_lo, exec_lo, s11
	s_cbranch_execnz .LBB6_3253
.LBB6_2847:                             ;   in Loop: Header=BB6_2695 Depth=2
	s_or_b32 exec_lo, exec_lo, s11
	v_mov_b32_e32 v1, v5
	s_and_saveexec_b32 s11, s27
	s_cbranch_execz .LBB6_2849
.LBB6_2848:                             ;   in Loop: Header=BB6_2695 Depth=2
	v_and_b32_e32 v7, 3, v11
	s_delay_alu instid0(VALU_DEP_1) | instskip(NEXT) | instid1(VALU_DEP_1)
	v_clz_i32_u32_e32 v8, v7
	v_min_u32_e32 v30, 32, v8
	s_delay_alu instid0(VALU_DEP_1) | instskip(NEXT) | instid1(VALU_DEP_1)
	v_subrev_nc_u32_e32 v8, 29, v30
	v_lshlrev_b64_e32 v[8:9], v8, v[0:1]
	v_bfe_u32 v9, v11, 2, 5
	v_dual_lshlrev_b32 v1, 24, v11 :: v_dual_sub_nc_u32 v30, 30, v30
	s_delay_alu instid0(VALU_DEP_2) | instskip(NEXT) | instid1(VALU_DEP_2)
	v_cmp_eq_u32_e64 s10, 0, v9
	v_and_b32_e32 v1, 0x80000000, v1
	s_delay_alu instid0(VALU_DEP_2) | instskip(SKIP_1) | instid1(VALU_DEP_2)
	v_dual_cndmask_b32 v9, v9, v30, s10 :: v_dual_bitop2_b32 v8, 3, v8 bitop3:0x40
	v_bfe_i32 v30, v11, 0, 8
	v_cndmask_b32_e64 v8, v7, v8, s10
	s_delay_alu instid0(VALU_DEP_3) | instskip(NEXT) | instid1(VALU_DEP_3)
	v_lshl_add_u32 v1, v9, 23, v1
	v_cmp_lt_i16_e64 s10, -1, v30
	s_delay_alu instid0(VALU_DEP_2) | instskip(NEXT) | instid1(VALU_DEP_2)
	v_lshl_or_b32 v1, v8, 21, v1
	v_cndmask_b32_e64 v9, 0xff800000, v109, s10
	v_and_b32_e32 v8, 0x7c, v11
	v_cmp_eq_u32_e64 s10, 0, v7
	s_delay_alu instid0(VALU_DEP_4) | instskip(NEXT) | instid1(VALU_DEP_2)
	v_add_nc_u32_e32 v1, 0x38000000, v1
	v_cndmask_b32_e64 v7, 0x7f800001, v9, s10
	s_delay_alu instid0(VALU_DEP_4) | instskip(NEXT) | instid1(VALU_DEP_1)
	v_cmp_eq_u32_e64 s10, 0x7c, v8
	v_cndmask_b32_e64 v7, v1, v7, s10
.LBB6_2849:                             ;   in Loop: Header=BB6_2695 Depth=2
	s_or_b32 exec_lo, exec_lo, s11
	s_delay_alu instid0(VALU_DEP_1) | instskip(NEXT) | instid1(VALU_DEP_1)
	v_dual_mul_f32 v8, v6, v7 :: v_dual_mov_b32 v31, v5
	v_dual_mov_b32 v7, v5 :: v_dual_lshrrev_b32 v1, 24, v8
	v_and_b32_e32 v30, 0x7f800000, v8
	v_and_b32_e32 v6, 0x7fffff, v8
	s_delay_alu instid0(VALU_DEP_2) | instskip(SKIP_1) | instid1(SALU_CYCLE_1)
	v_cmp_ne_u64_e64 s10, 0x7f800000, v[30:31]
                                        ; implicit-def: $vgpr30
	s_and_saveexec_b32 s11, s10
	s_xor_b32 s27, exec_lo, s11
	s_cbranch_execz .LBB6_2863
; %bb.2850:                             ;   in Loop: Header=BB6_2695 Depth=2
	v_and_b32_e32 v30, 0x7fffffff, v8
	v_mov_b32_e32 v31, v5
	v_and_b32_e32 v1, 0x80, v1
	s_delay_alu instid0(VALU_DEP_2) | instskip(SKIP_1) | instid1(SALU_CYCLE_1)
	v_cmp_gt_u64_e64 s10, 0x47600001, v[30:31]
                                        ; implicit-def: $vgpr30
	s_and_saveexec_b32 s11, s10
	s_xor_b32 s28, exec_lo, s11
	s_cbranch_execz .LBB6_2860
; %bb.2851:                             ;   in Loop: Header=BB6_2695 Depth=2
	v_mov_b32_e32 v30, 0
	s_mov_b32 s29, exec_lo
	v_cmpx_ne_u32_e32 0, v8
	s_cbranch_execz .LBB6_2859
; %bb.2852:                             ;   in Loop: Header=BB6_2695 Depth=2
	v_bfe_u32 v30, v8, 23, 8
	v_or_b32_e32 v32, 0x800000, v6
	s_delay_alu instid0(VALU_DEP_2) | instskip(SKIP_1) | instid1(VALU_DEP_1)
	v_sub_nc_u32_e32 v8, 0x71, v30
	v_cmp_gt_u32_e64 s10, 0x72, v30
	v_cndmask_b32_e64 v8, 0, v8, s10
	v_cmp_eq_u32_e64 s10, 0, v30
	s_delay_alu instid0(VALU_DEP_1) | instskip(NEXT) | instid1(VALU_DEP_1)
	v_cndmask_b32_e64 v31, v8, 0x70, s10
	v_dual_cndmask_b32 v6, v32, v6, s10 :: v_dual_add_nc_u32 v8, 21, v31
	v_add_nc_u32_e32 v33, 20, v31
	s_delay_alu instid0(VALU_DEP_2) | instskip(NEXT) | instid1(VALU_DEP_2)
	v_lshlrev_b64_e64 v[8:9], v8, -1
	v_lshlrev_b64_e64 v[32:33], v33, 1
	s_delay_alu instid0(VALU_DEP_2) | instskip(SKIP_1) | instid1(VALU_DEP_4)
	v_bfi_b32 v8, v8, 0, v6
	v_lshrrev_b64 v[6:7], v31, v[6:7]
	v_bfi_b32 v9, v9, 0, 0
	s_delay_alu instid0(VALU_DEP_1) | instskip(NEXT) | instid1(VALU_DEP_3)
	v_cmp_eq_u64_e64 s11, v[8:9], v[32:33]
	v_mov_b64_e32 v[8:9], v[6:7]
	s_and_saveexec_b32 s40, s11
; %bb.2853:                             ;   in Loop: Header=BB6_2695 Depth=2
	v_bfe_u32 v8, v6, 21, 1
	v_mov_b32_e32 v9, v5
	s_delay_alu instid0(VALU_DEP_1) | instskip(NEXT) | instid1(VALU_DEP_1)
	v_add_nc_u64_e32 v[8:9], v[6:7], v[8:9]
	v_add_nc_u64_e32 v[8:9], -1, v[8:9]
; %bb.2854:                             ;   in Loop: Header=BB6_2695 Depth=2
	s_or_b32 exec_lo, exec_lo, s40
	v_add_nc_u32_e32 v7, 0xffffff81, v30
	v_lshrrev_b32_e32 v9, 23, v6
	s_mov_b32 s11, exec_lo
	s_delay_alu instid0(VALU_DEP_2) | instskip(NEXT) | instid1(VALU_DEP_1)
	v_cndmask_b32_e64 v7, v7, 0xffffff82, s10
	v_add3_u32 v9, v31, v7, v9
	v_and_b32_e32 v7, 0x1fffff, v8
                                        ; implicit-def: $vgpr8
	s_delay_alu instid0(VALU_DEP_1) | instskip(SKIP_1) | instid1(VALU_DEP_2)
	v_dual_add_nc_u32 v30, 14, v9 :: v_dual_add_nc_u32 v6, v7, v6
	v_mov_b32_e32 v7, v5
	v_cmpx_ne_u32_e32 0, v30
	s_xor_b32 s11, exec_lo, s11
; %bb.2855:                             ;   in Loop: Header=BB6_2695 Depth=2
	s_delay_alu instid0(VALU_DEP_2) | instskip(SKIP_1) | instid1(VALU_DEP_2)
	v_cmp_lt_u64_e64 s10, 0xffffff, v[6:7]
	v_add_nc_u32_e32 v8, 15, v9
	v_cndmask_b32_e64 v9, 0, 1, s10
	s_delay_alu instid0(VALU_DEP_2) | instskip(NEXT) | instid1(VALU_DEP_2)
	v_cndmask_b32_e64 v8, v30, v8, s10
	v_lshrrev_b64 v[6:7], v9, v[6:7]
; %bb.2856:                             ;   in Loop: Header=BB6_2695 Depth=2
	s_and_not1_saveexec_b32 s10, s11
; %bb.2857:                             ;   in Loop: Header=BB6_2695 Depth=2
	s_delay_alu instid0(VALU_DEP_1)
	v_bfe_u32 v8, v6, 23, 1
; %bb.2858:                             ;   in Loop: Header=BB6_2695 Depth=2
	s_or_b32 exec_lo, exec_lo, s10
	s_delay_alu instid0(VALU_DEP_2) | instskip(NEXT) | instid1(VALU_DEP_2)
	v_lshrrev_b64 v[6:7], 21, v[6:7]
	v_cmp_gt_i32_e64 s10, 32, v8
	v_min_i32_e32 v9, 31, v8
	v_cmp_eq_u32_e64 s11, 0, v8
	s_delay_alu instid0(VALU_DEP_2) | instskip(SKIP_1) | instid1(VALU_DEP_2)
	v_dual_cndmask_b32 v7, 0, v7, s10 :: v_dual_lshlrev_b32 v9, 2, v9
	v_cndmask_b32_e64 v6, 3, v6, s10
	v_and_b32_e32 v9, 0xfc, v9
	s_delay_alu instid0(VALU_DEP_2) | instskip(NEXT) | instid1(VALU_DEP_2)
	v_cmp_eq_u64_e64 s10, 0, v[6:7]
	v_and_or_b32 v6, v6, 3, v9
	s_and_b32 s10, s11, s10
	s_delay_alu instid0(VALU_DEP_1) | instid1(SALU_CYCLE_1)
	v_cndmask_b32_e64 v6, v6, 0, s10
	s_delay_alu instid0(VALU_DEP_1)
	v_or_b32_e32 v30, v6, v1
.LBB6_2859:                             ;   in Loop: Header=BB6_2695 Depth=2
	s_or_b32 exec_lo, exec_lo, s29
                                        ; implicit-def: $vgpr1
.LBB6_2860:                             ;   in Loop: Header=BB6_2695 Depth=2
	s_and_not1_saveexec_b32 s10, s28
; %bb.2861:                             ;   in Loop: Header=BB6_2695 Depth=2
	v_or_b32_e32 v30, 0x7b, v1
; %bb.2862:                             ;   in Loop: Header=BB6_2695 Depth=2
	s_or_b32 exec_lo, exec_lo, s10
                                        ; implicit-def: $vgpr8
                                        ; implicit-def: $vgpr6_vgpr7
                                        ; implicit-def: $vgpr1
.LBB6_2863:                             ;   in Loop: Header=BB6_2695 Depth=2
	s_and_not1_saveexec_b32 s11, s27
	s_cbranch_execz .LBB6_2869
; %bb.2864:                             ;   in Loop: Header=BB6_2695 Depth=2
	v_cmp_ne_u64_e64 s10, 0, v[6:7]
                                        ; implicit-def: $vgpr30
	s_and_saveexec_b32 s27, s10
	s_delay_alu instid0(SALU_CYCLE_1)
	s_xor_b32 s10, exec_lo, s27
; %bb.2865:                             ;   in Loop: Header=BB6_2695 Depth=2
	v_or_b32_e32 v30, 0x7f, v1
                                        ; implicit-def: $vgpr8
; %bb.2866:                             ;   in Loop: Header=BB6_2695 Depth=2
	s_and_not1_saveexec_b32 s27, s10
; %bb.2867:                             ;   in Loop: Header=BB6_2695 Depth=2
	v_cmp_lt_i32_e64 s10, -1, v8
	s_delay_alu instid0(VALU_DEP_1)
	v_cndmask_b32_e64 v30, 0xfc, v108, s10
; %bb.2868:                             ;   in Loop: Header=BB6_2695 Depth=2
	s_or_b32 exec_lo, exec_lo, s27
.LBB6_2869:                             ;   in Loop: Header=BB6_2695 Depth=2
	s_delay_alu instid0(SALU_CYCLE_1) | instskip(SKIP_3) | instid1(VALU_DEP_2)
	s_or_b32 exec_lo, exec_lo, s11
	v_lshrrev_b16 v6, 8, v4
	v_mov_b32_e32 v1, 0
	s_mov_b32 s11, exec_lo
	v_cmpx_ne_u16_e32 0, v6
	s_cbranch_execz .LBB6_2879
; %bb.2870:                             ;   in Loop: Header=BB6_2695 Depth=2
	v_bfrev_b32_e32 v1, 1
	s_mov_b32 s27, exec_lo
	v_cmpx_ne_u16_e32 0x80, v6
	s_cbranch_execz .LBB6_2878
; %bb.2871:                             ;   in Loop: Header=BB6_2695 Depth=2
	v_and_b32_e32 v8, 0xffff, v6
	s_delay_alu instid0(VALU_DEP_1) | instskip(SKIP_1) | instid1(VALU_DEP_2)
	v_and_b32_e32 v1, 0x7c, v8
	v_and_b32_e32 v7, 3, v8
	v_cmp_ne_u32_e64 s10, 0x7c, v1
                                        ; implicit-def: $vgpr1
	s_and_saveexec_b32 s28, s10
	s_delay_alu instid0(SALU_CYCLE_1)
	s_xor_b32 s28, exec_lo, s28
	s_cbranch_execz .LBB6_2875
; %bb.2872:                             ;   in Loop: Header=BB6_2695 Depth=2
	v_bfe_u32 v1, v8, 2, 5
	s_mov_b32 s29, exec_lo
	s_delay_alu instid0(VALU_DEP_1)
	v_cmpx_eq_u32_e32 0, v1
	s_cbranch_execz .LBB6_2874
; %bb.2873:                             ;   in Loop: Header=BB6_2695 Depth=2
	v_clz_i32_u32_e32 v1, v7
	s_delay_alu instid0(VALU_DEP_1) | instskip(SKIP_1) | instid1(VALU_DEP_2)
	v_min_u32_e32 v1, 32, v1
	v_mov_b32_e32 v7, v5
	v_subrev_nc_u32_e32 v8, 29, v1
	v_sub_nc_u32_e32 v1, 30, v1
	s_delay_alu instid0(VALU_DEP_2) | instskip(NEXT) | instid1(VALU_DEP_1)
	v_lshlrev_b64_e32 v[6:7], v8, v[6:7]
	v_and_b32_e32 v7, 3, v6
.LBB6_2874:                             ;   in Loop: Header=BB6_2695 Depth=2
	s_or_b32 exec_lo, exec_lo, s29
	v_lshlrev_b32_e32 v4, 16, v4
	s_delay_alu instid0(VALU_DEP_1) | instskip(NEXT) | instid1(VALU_DEP_1)
	v_and_b32_e32 v4, 0x80000000, v4
	v_lshl_add_u32 v1, v1, 23, v4
	s_delay_alu instid0(VALU_DEP_1) | instskip(NEXT) | instid1(VALU_DEP_1)
	v_lshl_or_b32 v1, v7, 21, v1
                                        ; implicit-def: $vgpr7
	v_add_nc_u32_e32 v1, 0x38000000, v1
.LBB6_2875:                             ;   in Loop: Header=BB6_2695 Depth=2
	s_and_not1_saveexec_b32 s28, s28
; %bb.2876:                             ;   in Loop: Header=BB6_2695 Depth=2
	v_cmp_lt_i16_e64 s10, -1, v4
	s_delay_alu instid0(VALU_DEP_1) | instskip(SKIP_1) | instid1(VALU_DEP_1)
	v_cndmask_b32_e64 v1, 0xff800000, v109, s10
	v_cmp_eq_u32_e64 s10, 0, v7
	v_cndmask_b32_e64 v1, 0x7f800001, v1, s10
; %bb.2877:                             ;   in Loop: Header=BB6_2695 Depth=2
	s_or_b32 exec_lo, exec_lo, s28
.LBB6_2878:                             ;   in Loop: Header=BB6_2695 Depth=2
	s_delay_alu instid0(SALU_CYCLE_1)
	s_or_b32 exec_lo, exec_lo, s27
.LBB6_2879:                             ;   in Loop: Header=BB6_2695 Depth=2
	s_delay_alu instid0(SALU_CYCLE_1) | instskip(SKIP_3) | instid1(VALU_DEP_1)
	s_or_b32 exec_lo, exec_lo, s11
	v_lshrrev_b16 v6, 8, v0
	s_mov_b32 s27, 0
	s_mov_b32 s11, exec_lo
	v_cmpx_lt_i16_e32 0x7f, v6
	s_xor_b32 s11, exec_lo, s11
	s_cbranch_execz .LBB6_3254
; %bb.2880:                             ;   in Loop: Header=BB6_2695 Depth=2
	s_mov_b32 s27, -1
	s_mov_b32 s28, exec_lo
	v_cmpx_eq_u16_e32 0x80, v6
; %bb.2881:                             ;   in Loop: Header=BB6_2695 Depth=2
	s_xor_b32 s27, exec_lo, -1
; %bb.2882:                             ;   in Loop: Header=BB6_2695 Depth=2
	s_or_b32 exec_lo, exec_lo, s28
	s_delay_alu instid0(SALU_CYCLE_1)
	s_and_b32 s27, s27, exec_lo
	s_or_saveexec_b32 s11, s11
	v_bfrev_b32_e32 v4, 1
	s_xor_b32 exec_lo, exec_lo, s11
	s_cbranch_execnz .LBB6_3255
.LBB6_2883:                             ;   in Loop: Header=BB6_2695 Depth=2
	s_or_b32 exec_lo, exec_lo, s11
	s_and_saveexec_b32 s11, s27
	s_cbranch_execz .LBB6_2885
.LBB6_2884:                             ;   in Loop: Header=BB6_2695 Depth=2
	v_and_b32_e32 v4, 0xffff, v6
	s_delay_alu instid0(VALU_DEP_1) | instskip(NEXT) | instid1(VALU_DEP_1)
	v_and_b32_e32 v31, 3, v4
	v_clz_i32_u32_e32 v7, v31
	s_delay_alu instid0(VALU_DEP_1) | instskip(SKIP_1) | instid1(VALU_DEP_2)
	v_min_u32_e32 v32, 32, v7
	v_mov_b32_e32 v7, v5
	v_subrev_nc_u32_e32 v8, 29, v32
	s_delay_alu instid0(VALU_DEP_1) | instskip(SKIP_3) | instid1(VALU_DEP_3)
	v_lshlrev_b64_e32 v[8:9], v8, v[6:7]
	v_bfe_u32 v7, v4, 2, 5
	v_dual_lshlrev_b32 v6, 24, v6 :: v_dual_sub_nc_u32 v9, 30, v32
	v_and_b32_e32 v4, 0x7c, v4
	v_cmp_eq_u32_e64 s10, 0, v7
	s_delay_alu instid0(VALU_DEP_3) | instskip(NEXT) | instid1(VALU_DEP_2)
	v_and_b32_e32 v6, 0x80000000, v6
	v_dual_cndmask_b32 v7, v7, v9, s10 :: v_dual_bitop2_b32 v8, 3, v8 bitop3:0x40
	s_delay_alu instid0(VALU_DEP_1) | instskip(SKIP_1) | instid1(VALU_DEP_3)
	v_cndmask_b32_e64 v8, v31, v8, s10
	v_cmp_lt_i16_e64 s10, -1, v0
	v_lshl_add_u32 v6, v7, 23, v6
	s_delay_alu instid0(VALU_DEP_2) | instskip(SKIP_1) | instid1(VALU_DEP_3)
	v_cndmask_b32_e64 v0, 0xff800000, v109, s10
	v_cmp_eq_u32_e64 s10, 0, v31
	v_lshl_or_b32 v6, v8, 21, v6
	s_delay_alu instid0(VALU_DEP_2) | instskip(NEXT) | instid1(VALU_DEP_2)
	v_cndmask_b32_e64 v0, 0x7f800001, v0, s10
	v_add_nc_u32_e32 v6, 0x38000000, v6
	v_cmp_eq_u32_e64 s10, 0x7c, v4
	s_delay_alu instid0(VALU_DEP_1)
	v_cndmask_b32_e64 v4, v6, v0, s10
.LBB6_2885:                             ;   in Loop: Header=BB6_2695 Depth=2
	s_or_b32 exec_lo, exec_lo, s11
	s_delay_alu instid0(VALU_DEP_1) | instskip(SKIP_2) | instid1(VALU_DEP_2)
	v_mul_f32_e32 v0, v1, v4
	v_mov_b32_e32 v7, v5
                                        ; implicit-def: $vgpr31
	s_mov_b32 s11, exec_lo
	v_and_b32_e32 v6, 0x7f800000, v0
	v_and_b32_e32 v4, 0x7fffff, v0
	v_lshrrev_b32_e32 v1, 24, v0
	s_delay_alu instid0(VALU_DEP_3)
	v_cmpx_ne_u64_e32 0x7f800000, v[6:7]
	s_xor_b32 s27, exec_lo, s11
	s_cbranch_execz .LBB6_2899
; %bb.2886:                             ;   in Loop: Header=BB6_2695 Depth=2
	v_and_b32_e32 v6, 0x7fffffff, v0
	v_mov_b32_e32 v7, v5
	v_and_b32_e32 v8, 0x80, v1
                                        ; implicit-def: $vgpr31
	s_mov_b32 s11, exec_lo
	s_delay_alu instid0(VALU_DEP_2)
	v_cmpx_gt_u64_e32 0x47600001, v[6:7]
	s_xor_b32 s28, exec_lo, s11
	s_cbranch_execz .LBB6_2896
; %bb.2887:                             ;   in Loop: Header=BB6_2695 Depth=2
	v_mov_b32_e32 v31, 0
	s_mov_b32 s29, exec_lo
	v_cmpx_ne_u32_e32 0, v0
	s_cbranch_execz .LBB6_2895
; %bb.2888:                             ;   in Loop: Header=BB6_2695 Depth=2
	v_bfe_u32 v9, v0, 23, 8
	v_or_b32_e32 v6, 0x800000, v4
	s_mov_b32 s40, exec_lo
	s_delay_alu instid0(VALU_DEP_2) | instskip(SKIP_1) | instid1(VALU_DEP_1)
	v_dual_mov_b32 v7, v5 :: v_dual_sub_nc_u32 v0, 0x71, v9
	v_cmp_gt_u32_e64 s10, 0x72, v9
	v_cndmask_b32_e64 v0, 0, v0, s10
	v_cmp_eq_u32_e64 s10, 0, v9
	s_delay_alu instid0(VALU_DEP_1) | instskip(NEXT) | instid1(VALU_DEP_1)
	v_cndmask_b32_e64 v31, v0, 0x70, s10
	v_dual_cndmask_b32 v6, v6, v4, s10 :: v_dual_add_nc_u32 v0, 21, v31
	v_add_nc_u32_e32 v32, 20, v31
	s_delay_alu instid0(VALU_DEP_2) | instskip(NEXT) | instid1(VALU_DEP_2)
	v_lshlrev_b64_e64 v[0:1], v0, -1
	v_lshlrev_b64_e64 v[32:33], v32, 1
	s_delay_alu instid0(VALU_DEP_2) | instskip(NEXT) | instid1(VALU_DEP_3)
	v_bfi_b32 v35, v1, 0, 0
	v_bfi_b32 v34, v0, 0, v6
	v_lshrrev_b64 v[0:1], v31, v[6:7]
	s_delay_alu instid0(VALU_DEP_1) | instskip(NEXT) | instid1(VALU_DEP_3)
	v_mov_b64_e32 v[6:7], v[0:1]
	v_cmpx_eq_u64_e64 v[34:35], v[32:33]
; %bb.2889:                             ;   in Loop: Header=BB6_2695 Depth=2
	v_bfe_u32 v6, v0, 21, 1
	v_mov_b32_e32 v7, v5
	s_delay_alu instid0(VALU_DEP_1) | instskip(NEXT) | instid1(VALU_DEP_1)
	v_add_nc_u64_e32 v[6:7], v[0:1], v[6:7]
	v_add_nc_u64_e32 v[6:7], -1, v[6:7]
; %bb.2890:                             ;   in Loop: Header=BB6_2695 Depth=2
	s_or_b32 exec_lo, exec_lo, s40
	v_add_nc_u32_e32 v1, 0xffffff81, v9
	v_lshrrev_b32_e32 v4, 23, v0
	s_mov_b32 s11, exec_lo
	s_delay_alu instid0(VALU_DEP_2) | instskip(NEXT) | instid1(VALU_DEP_1)
	v_cndmask_b32_e64 v1, v1, 0xffffff82, s10
	v_add3_u32 v7, v31, v1, v4
	v_and_b32_e32 v1, 0x1fffff, v6
                                        ; implicit-def: $vgpr6
	s_delay_alu instid0(VALU_DEP_1) | instskip(NEXT) | instid1(VALU_DEP_1)
	v_dual_add_nc_u32 v9, 14, v7 :: v_dual_add_nc_u32 v4, v1, v0
                                        ; implicit-def: $vgpr0_vgpr1
	v_cmpx_ne_u32_e32 0, v9
	s_xor_b32 s11, exec_lo, s11
; %bb.2891:                             ;   in Loop: Header=BB6_2695 Depth=2
	s_delay_alu instid0(VALU_DEP_2) | instskip(SKIP_1) | instid1(VALU_DEP_1)
	v_cmp_lt_u64_e64 s10, 0xffffff, v[4:5]
	v_add_nc_u32_e32 v0, 15, v7
	v_cndmask_b32_e64 v6, v9, v0, s10
	v_cndmask_b32_e64 v0, 0, 1, s10
	s_delay_alu instid0(VALU_DEP_1)
	v_lshrrev_b64 v[0:1], v0, v[4:5]
; %bb.2892:                             ;   in Loop: Header=BB6_2695 Depth=2
	s_and_not1_saveexec_b32 s10, s11
; %bb.2893:                             ;   in Loop: Header=BB6_2695 Depth=2
	v_mov_b64_e32 v[0:1], v[4:5]
	v_bfe_u32 v6, v4, 23, 1
; %bb.2894:                             ;   in Loop: Header=BB6_2695 Depth=2
	s_or_b32 exec_lo, exec_lo, s10
	s_delay_alu instid0(VALU_DEP_2) | instskip(NEXT) | instid1(VALU_DEP_2)
	v_lshrrev_b64 v[0:1], 21, v[0:1]
	v_cmp_gt_i32_e64 s10, 32, v6
	v_min_i32_e32 v4, 31, v6
	v_cmp_eq_u32_e64 s11, 0, v6
	s_delay_alu instid0(VALU_DEP_2) | instskip(SKIP_1) | instid1(VALU_DEP_2)
	v_dual_cndmask_b32 v1, 0, v1, s10 :: v_dual_lshlrev_b32 v4, 2, v4
	v_cndmask_b32_e64 v0, 3, v0, s10
	v_and_b32_e32 v4, 0xfc, v4
	s_delay_alu instid0(VALU_DEP_2) | instskip(NEXT) | instid1(VALU_DEP_2)
	v_cmp_eq_u64_e64 s10, 0, v[0:1]
	v_and_or_b32 v0, v0, 3, v4
	s_and_b32 s10, s11, s10
	s_delay_alu instid0(VALU_DEP_1) | instid1(SALU_CYCLE_1)
	v_cndmask_b32_e64 v0, v0, 0, s10
	s_delay_alu instid0(VALU_DEP_1)
	v_or_b32_e32 v31, v0, v8
.LBB6_2895:                             ;   in Loop: Header=BB6_2695 Depth=2
	s_or_b32 exec_lo, exec_lo, s29
                                        ; implicit-def: $vgpr8
.LBB6_2896:                             ;   in Loop: Header=BB6_2695 Depth=2
	s_and_not1_saveexec_b32 s10, s28
; %bb.2897:                             ;   in Loop: Header=BB6_2695 Depth=2
	v_or_b32_e32 v31, 0x7b, v8
; %bb.2898:                             ;   in Loop: Header=BB6_2695 Depth=2
	s_or_b32 exec_lo, exec_lo, s10
                                        ; implicit-def: $vgpr0
                                        ; implicit-def: $vgpr1
.LBB6_2899:                             ;   in Loop: Header=BB6_2695 Depth=2
	s_and_not1_saveexec_b32 s11, s27
	s_cbranch_execz .LBB6_2905
; %bb.2900:                             ;   in Loop: Header=BB6_2695 Depth=2
	v_cmp_ne_u64_e64 s10, 0, v[4:5]
                                        ; implicit-def: $vgpr31
	s_and_saveexec_b32 s27, s10
	s_delay_alu instid0(SALU_CYCLE_1)
	s_xor_b32 s10, exec_lo, s27
; %bb.2901:                             ;   in Loop: Header=BB6_2695 Depth=2
	v_or_b32_e32 v31, 0x7f, v1
                                        ; implicit-def: $vgpr0
; %bb.2902:                             ;   in Loop: Header=BB6_2695 Depth=2
	s_and_not1_saveexec_b32 s27, s10
; %bb.2903:                             ;   in Loop: Header=BB6_2695 Depth=2
	v_cmp_lt_i32_e64 s10, -1, v0
	s_delay_alu instid0(VALU_DEP_1)
	v_cndmask_b32_e64 v31, 0xfc, v108, s10
; %bb.2904:                             ;   in Loop: Header=BB6_2695 Depth=2
	s_or_b32 exec_lo, exec_lo, s27
.LBB6_2905:                             ;   in Loop: Header=BB6_2695 Depth=2
	s_delay_alu instid0(SALU_CYCLE_1) | instskip(SKIP_2) | instid1(VALU_DEP_1)
	s_or_b32 exec_lo, exec_lo, s11
	v_dual_mov_b32 v1, 0 :: v_dual_lshrrev_b32 v0, 16, v15
	s_mov_b32 s11, exec_lo
	v_and_b32_e32 v4, 0xff, v0
	s_delay_alu instid0(VALU_DEP_1)
	v_cmpx_ne_u16_e32 0, v4
	s_cbranch_execz .LBB6_2915
; %bb.2906:                             ;   in Loop: Header=BB6_2695 Depth=2
	v_bfrev_b32_e32 v1, 1
	s_mov_b32 s27, exec_lo
	v_cmpx_ne_u16_e32 0x80, v4
	s_cbranch_execz .LBB6_2914
; %bb.2907:                             ;   in Loop: Header=BB6_2695 Depth=2
	v_and_b32_e32 v1, 0x7c0000, v15
	v_bfe_u32 v4, v15, 16, 2
	s_delay_alu instid0(VALU_DEP_2) | instskip(SKIP_1) | instid1(SALU_CYCLE_1)
	v_cmp_ne_u32_e64 s10, 0x7c0000, v1
                                        ; implicit-def: $vgpr1
	s_and_saveexec_b32 s28, s10
	s_xor_b32 s28, exec_lo, s28
	s_cbranch_execz .LBB6_2911
; %bb.2908:                             ;   in Loop: Header=BB6_2695 Depth=2
	v_bfe_u32 v1, v15, 18, 5
	s_mov_b32 s29, exec_lo
	s_delay_alu instid0(VALU_DEP_1)
	v_cmpx_eq_u32_e32 0, v1
; %bb.2909:                             ;   in Loop: Header=BB6_2695 Depth=2
	v_clz_i32_u32_e32 v1, v4
	s_delay_alu instid0(VALU_DEP_1) | instskip(NEXT) | instid1(VALU_DEP_1)
	v_min_u32_e32 v1, 32, v1
	v_subrev_nc_u32_e32 v4, 29, v1
	s_delay_alu instid0(VALU_DEP_1) | instskip(NEXT) | instid1(VALU_DEP_1)
	v_lshlrev_b64_e32 v[6:7], v4, v[0:1]
	v_dual_sub_nc_u32 v1, 30, v1 :: v_dual_bitop2_b32 v4, 3, v6 bitop3:0x40
; %bb.2910:                             ;   in Loop: Header=BB6_2695 Depth=2
	s_or_b32 exec_lo, exec_lo, s29
	v_lshlrev_b32_e32 v0, 24, v0
	s_delay_alu instid0(VALU_DEP_1) | instskip(NEXT) | instid1(VALU_DEP_1)
	v_and_b32_e32 v0, 0x80000000, v0
	v_lshl_add_u32 v0, v1, 23, v0
	s_delay_alu instid0(VALU_DEP_1) | instskip(NEXT) | instid1(VALU_DEP_1)
	v_lshl_or_b32 v0, v4, 21, v0
                                        ; implicit-def: $vgpr4
	v_add_nc_u32_e32 v1, 0x38000000, v0
                                        ; implicit-def: $vgpr0
.LBB6_2911:                             ;   in Loop: Header=BB6_2695 Depth=2
	s_and_not1_saveexec_b32 s28, s28
; %bb.2912:                             ;   in Loop: Header=BB6_2695 Depth=2
	v_bfe_i32 v0, v0, 0, 8
	s_delay_alu instid0(VALU_DEP_1) | instskip(NEXT) | instid1(VALU_DEP_1)
	v_cmp_lt_i16_e64 s10, -1, v0
	v_cndmask_b32_e64 v0, 0xff800000, v109, s10
	v_cmp_eq_u32_e64 s10, 0, v4
	s_delay_alu instid0(VALU_DEP_1)
	v_cndmask_b32_e64 v1, 0x7f800001, v0, s10
; %bb.2913:                             ;   in Loop: Header=BB6_2695 Depth=2
	s_or_b32 exec_lo, exec_lo, s28
.LBB6_2914:                             ;   in Loop: Header=BB6_2695 Depth=2
	s_delay_alu instid0(SALU_CYCLE_1)
	s_or_b32 exec_lo, exec_lo, s27
.LBB6_2915:                             ;   in Loop: Header=BB6_2695 Depth=2
	s_delay_alu instid0(SALU_CYCLE_1) | instskip(SKIP_3) | instid1(VALU_DEP_1)
	s_or_b32 exec_lo, exec_lo, s11
	v_lshrrev_b32_e32 v0, 16, v11
	s_mov_b32 s27, 0
	s_mov_b32 s11, exec_lo
	v_and_b32_e32 v6, 0xff, v0
	s_delay_alu instid0(VALU_DEP_1)
	v_cmpx_lt_i16_e32 0x7f, v6
	s_xor_b32 s11, exec_lo, s11
	s_cbranch_execz .LBB6_3256
; %bb.2916:                             ;   in Loop: Header=BB6_2695 Depth=2
	s_mov_b32 s27, -1
	s_mov_b32 s28, exec_lo
	v_cmpx_eq_u16_e32 0x80, v6
; %bb.2917:                             ;   in Loop: Header=BB6_2695 Depth=2
	s_xor_b32 s27, exec_lo, -1
; %bb.2918:                             ;   in Loop: Header=BB6_2695 Depth=2
	s_or_b32 exec_lo, exec_lo, s28
	s_delay_alu instid0(SALU_CYCLE_1)
	s_and_b32 s27, s27, exec_lo
                                        ; implicit-def: $vgpr6
	s_or_saveexec_b32 s11, s11
	v_bfrev_b32_e32 v4, 1
	s_xor_b32 exec_lo, exec_lo, s11
	s_cbranch_execnz .LBB6_3257
.LBB6_2919:                             ;   in Loop: Header=BB6_2695 Depth=2
	s_or_b32 exec_lo, exec_lo, s11
	s_and_saveexec_b32 s11, s27
	s_cbranch_execz .LBB6_2921
.LBB6_2920:                             ;   in Loop: Header=BB6_2695 Depth=2
	v_and_b32_e32 v4, 3, v0
	v_bfe_u32 v9, v11, 18, 5
	s_delay_alu instid0(VALU_DEP_2) | instskip(NEXT) | instid1(VALU_DEP_2)
	v_clz_i32_u32_e32 v6, v4
	v_cmp_eq_u32_e64 s10, 0, v9
	s_delay_alu instid0(VALU_DEP_2) | instskip(NEXT) | instid1(VALU_DEP_1)
	v_min_u32_e32 v8, 32, v6
	v_subrev_nc_u32_e32 v6, 29, v8
	s_delay_alu instid0(VALU_DEP_1) | instskip(SKIP_3) | instid1(VALU_DEP_3)
	v_lshlrev_b64_e32 v[6:7], v6, v[0:1]
	v_lshlrev_b32_e32 v7, 24, v0
	v_sub_nc_u32_e32 v8, 30, v8
	v_bfe_i32 v0, v0, 0, 8
	v_and_b32_e32 v7, 0x80000000, v7
	s_delay_alu instid0(VALU_DEP_3) | instskip(NEXT) | instid1(VALU_DEP_1)
	v_dual_cndmask_b32 v8, v9, v8, s10 :: v_dual_bitop2_b32 v6, 3, v6 bitop3:0x40
	v_cndmask_b32_e64 v6, v4, v6, s10
	s_delay_alu instid0(VALU_DEP_2) | instskip(SKIP_1) | instid1(VALU_DEP_2)
	v_lshl_add_u32 v7, v8, 23, v7
	v_cmp_lt_i16_e64 s10, -1, v0
	v_lshl_or_b32 v6, v6, 21, v7
	s_delay_alu instid0(VALU_DEP_2) | instskip(SKIP_2) | instid1(VALU_DEP_4)
	v_cndmask_b32_e64 v0, 0xff800000, v109, s10
	v_and_b32_e32 v7, 0x7c0000, v11
	v_cmp_eq_u32_e64 s10, 0, v4
	v_add_nc_u32_e32 v4, 0x38000000, v6
	s_delay_alu instid0(VALU_DEP_2) | instskip(NEXT) | instid1(VALU_DEP_4)
	v_cndmask_b32_e64 v0, 0x7f800001, v0, s10
	v_cmp_eq_u32_e64 s10, 0x7c0000, v7
	s_delay_alu instid0(VALU_DEP_1)
	v_cndmask_b32_e64 v4, v4, v0, s10
.LBB6_2921:                             ;   in Loop: Header=BB6_2695 Depth=2
	s_or_b32 exec_lo, exec_lo, s11
	s_delay_alu instid0(VALU_DEP_1) | instskip(SKIP_2) | instid1(VALU_DEP_2)
	v_mul_f32_e32 v0, v1, v4
	v_mov_b32_e32 v7, v5
                                        ; implicit-def: $vgpr32
	s_mov_b32 s11, exec_lo
	v_and_b32_e32 v6, 0x7f800000, v0
	v_and_b32_e32 v4, 0x7fffff, v0
	v_lshrrev_b32_e32 v1, 24, v0
	s_delay_alu instid0(VALU_DEP_3)
	v_cmpx_ne_u64_e32 0x7f800000, v[6:7]
	s_xor_b32 s27, exec_lo, s11
	s_cbranch_execz .LBB6_2935
; %bb.2922:                             ;   in Loop: Header=BB6_2695 Depth=2
	v_and_b32_e32 v6, 0x7fffffff, v0
	v_mov_b32_e32 v7, v5
	v_and_b32_e32 v8, 0x80, v1
                                        ; implicit-def: $vgpr32
	s_mov_b32 s11, exec_lo
	s_delay_alu instid0(VALU_DEP_2)
	v_cmpx_gt_u64_e32 0x47600001, v[6:7]
	s_xor_b32 s28, exec_lo, s11
	s_cbranch_execz .LBB6_2932
; %bb.2923:                             ;   in Loop: Header=BB6_2695 Depth=2
	v_mov_b32_e32 v32, 0
	s_mov_b32 s29, exec_lo
	v_cmpx_ne_u32_e32 0, v0
	s_cbranch_execz .LBB6_2931
; %bb.2924:                             ;   in Loop: Header=BB6_2695 Depth=2
	v_bfe_u32 v9, v0, 23, 8
	v_or_b32_e32 v6, 0x800000, v4
	s_mov_b32 s40, exec_lo
	s_delay_alu instid0(VALU_DEP_2) | instskip(SKIP_1) | instid1(VALU_DEP_1)
	v_dual_mov_b32 v7, v5 :: v_dual_sub_nc_u32 v0, 0x71, v9
	v_cmp_gt_u32_e64 s10, 0x72, v9
	v_cndmask_b32_e64 v0, 0, v0, s10
	v_cmp_eq_u32_e64 s10, 0, v9
	s_delay_alu instid0(VALU_DEP_1) | instskip(SKIP_1) | instid1(VALU_DEP_2)
	v_cndmask_b32_e64 v32, v0, 0x70, s10
	v_cndmask_b32_e64 v6, v6, v4, s10
	v_dual_add_nc_u32 v0, 21, v32 :: v_dual_add_nc_u32 v33, 20, v32
	s_delay_alu instid0(VALU_DEP_1) | instskip(NEXT) | instid1(VALU_DEP_2)
	v_lshlrev_b64_e64 v[0:1], v0, -1
	v_lshlrev_b64_e64 v[34:35], v33, 1
	s_delay_alu instid0(VALU_DEP_2) | instskip(NEXT) | instid1(VALU_DEP_3)
	v_bfi_b32 v37, v1, 0, 0
	v_bfi_b32 v36, v0, 0, v6
	v_lshrrev_b64 v[0:1], v32, v[6:7]
	s_delay_alu instid0(VALU_DEP_1) | instskip(NEXT) | instid1(VALU_DEP_3)
	v_mov_b64_e32 v[6:7], v[0:1]
	v_cmpx_eq_u64_e64 v[36:37], v[34:35]
; %bb.2925:                             ;   in Loop: Header=BB6_2695 Depth=2
	v_bfe_u32 v6, v0, 21, 1
	v_mov_b32_e32 v7, v5
	s_delay_alu instid0(VALU_DEP_1) | instskip(NEXT) | instid1(VALU_DEP_1)
	v_add_nc_u64_e32 v[6:7], v[0:1], v[6:7]
	v_add_nc_u64_e32 v[6:7], -1, v[6:7]
; %bb.2926:                             ;   in Loop: Header=BB6_2695 Depth=2
	s_or_b32 exec_lo, exec_lo, s40
	v_add_nc_u32_e32 v1, 0xffffff81, v9
	v_lshrrev_b32_e32 v4, 23, v0
	s_mov_b32 s11, exec_lo
	s_delay_alu instid0(VALU_DEP_2) | instskip(NEXT) | instid1(VALU_DEP_1)
	v_cndmask_b32_e64 v1, v1, 0xffffff82, s10
	v_add3_u32 v7, v32, v1, v4
	v_and_b32_e32 v1, 0x1fffff, v6
                                        ; implicit-def: $vgpr6
	s_delay_alu instid0(VALU_DEP_1) | instskip(NEXT) | instid1(VALU_DEP_1)
	v_dual_add_nc_u32 v9, 14, v7 :: v_dual_add_nc_u32 v4, v1, v0
                                        ; implicit-def: $vgpr0_vgpr1
	v_cmpx_ne_u32_e32 0, v9
	s_xor_b32 s11, exec_lo, s11
; %bb.2927:                             ;   in Loop: Header=BB6_2695 Depth=2
	s_delay_alu instid0(VALU_DEP_2) | instskip(SKIP_1) | instid1(VALU_DEP_1)
	v_cmp_lt_u64_e64 s10, 0xffffff, v[4:5]
	v_add_nc_u32_e32 v0, 15, v7
	v_cndmask_b32_e64 v6, v9, v0, s10
	v_cndmask_b32_e64 v0, 0, 1, s10
	s_delay_alu instid0(VALU_DEP_1)
	v_lshrrev_b64 v[0:1], v0, v[4:5]
; %bb.2928:                             ;   in Loop: Header=BB6_2695 Depth=2
	s_and_not1_saveexec_b32 s10, s11
; %bb.2929:                             ;   in Loop: Header=BB6_2695 Depth=2
	v_mov_b64_e32 v[0:1], v[4:5]
	v_bfe_u32 v6, v4, 23, 1
; %bb.2930:                             ;   in Loop: Header=BB6_2695 Depth=2
	s_or_b32 exec_lo, exec_lo, s10
	s_delay_alu instid0(VALU_DEP_2) | instskip(NEXT) | instid1(VALU_DEP_2)
	v_lshrrev_b64 v[0:1], 21, v[0:1]
	v_cmp_gt_i32_e64 s10, 32, v6
	v_min_i32_e32 v4, 31, v6
	v_cmp_eq_u32_e64 s11, 0, v6
	s_delay_alu instid0(VALU_DEP_2) | instskip(SKIP_1) | instid1(VALU_DEP_2)
	v_dual_cndmask_b32 v1, 0, v1, s10 :: v_dual_lshlrev_b32 v4, 2, v4
	v_cndmask_b32_e64 v0, 3, v0, s10
	v_and_b32_e32 v4, 0xfc, v4
	s_delay_alu instid0(VALU_DEP_2) | instskip(NEXT) | instid1(VALU_DEP_2)
	v_cmp_eq_u64_e64 s10, 0, v[0:1]
	v_and_or_b32 v0, v0, 3, v4
	s_and_b32 s10, s11, s10
	s_delay_alu instid0(VALU_DEP_1) | instid1(SALU_CYCLE_1)
	v_cndmask_b32_e64 v0, v0, 0, s10
	s_delay_alu instid0(VALU_DEP_1)
	v_or_b32_e32 v32, v0, v8
.LBB6_2931:                             ;   in Loop: Header=BB6_2695 Depth=2
	s_or_b32 exec_lo, exec_lo, s29
                                        ; implicit-def: $vgpr8
.LBB6_2932:                             ;   in Loop: Header=BB6_2695 Depth=2
	s_and_not1_saveexec_b32 s10, s28
; %bb.2933:                             ;   in Loop: Header=BB6_2695 Depth=2
	v_or_b32_e32 v32, 0x7b, v8
; %bb.2934:                             ;   in Loop: Header=BB6_2695 Depth=2
	s_or_b32 exec_lo, exec_lo, s10
                                        ; implicit-def: $vgpr0
                                        ; implicit-def: $vgpr1
.LBB6_2935:                             ;   in Loop: Header=BB6_2695 Depth=2
	s_and_not1_saveexec_b32 s11, s27
	s_cbranch_execz .LBB6_2941
; %bb.2936:                             ;   in Loop: Header=BB6_2695 Depth=2
	v_cmp_ne_u64_e64 s10, 0, v[4:5]
                                        ; implicit-def: $vgpr32
	s_and_saveexec_b32 s27, s10
	s_delay_alu instid0(SALU_CYCLE_1)
	s_xor_b32 s10, exec_lo, s27
; %bb.2937:                             ;   in Loop: Header=BB6_2695 Depth=2
	v_or_b32_e32 v32, 0x7f, v1
                                        ; implicit-def: $vgpr0
; %bb.2938:                             ;   in Loop: Header=BB6_2695 Depth=2
	s_and_not1_saveexec_b32 s27, s10
; %bb.2939:                             ;   in Loop: Header=BB6_2695 Depth=2
	v_cmp_lt_i32_e64 s10, -1, v0
	s_delay_alu instid0(VALU_DEP_1)
	v_cndmask_b32_e64 v32, 0xfc, v108, s10
; %bb.2940:                             ;   in Loop: Header=BB6_2695 Depth=2
	s_or_b32 exec_lo, exec_lo, s27
.LBB6_2941:                             ;   in Loop: Header=BB6_2695 Depth=2
	s_delay_alu instid0(SALU_CYCLE_1)
	s_or_b32 exec_lo, exec_lo, s11
	v_mov_b32_e32 v1, 0
	s_mov_b32 s11, exec_lo
	v_cmpx_lt_u64_e64 s[12:13], v[14:15]
	s_cbranch_execz .LBB6_2951
; %bb.2942:                             ;   in Loop: Header=BB6_2695 Depth=2
	v_lshrrev_b32_e32 v0, 24, v15
	v_bfrev_b32_e32 v1, 1
	s_mov_b32 s27, exec_lo
	s_delay_alu instid0(VALU_DEP_2)
	v_cmpx_ne_u32_e32 0x80, v0
	s_cbranch_execz .LBB6_2950
; %bb.2943:                             ;   in Loop: Header=BB6_2695 Depth=2
	v_and_b32_e32 v1, 0x7c000000, v15
	v_bfe_u32 v4, v15, 24, 2
	s_delay_alu instid0(VALU_DEP_2) | instskip(SKIP_1) | instid1(SALU_CYCLE_1)
	v_cmp_ne_u32_e64 s10, 0x7c000000, v1
                                        ; implicit-def: $vgpr1
	s_and_saveexec_b32 s28, s10
	s_xor_b32 s28, exec_lo, s28
	s_cbranch_execz .LBB6_2947
; %bb.2944:                             ;   in Loop: Header=BB6_2695 Depth=2
	v_bfe_u32 v1, v15, 26, 5
	s_mov_b32 s29, exec_lo
	s_delay_alu instid0(VALU_DEP_1)
	v_cmpx_eq_u32_e32 0, v1
; %bb.2945:                             ;   in Loop: Header=BB6_2695 Depth=2
	v_clz_i32_u32_e32 v1, v4
	s_delay_alu instid0(VALU_DEP_1) | instskip(NEXT) | instid1(VALU_DEP_1)
	v_min_u32_e32 v4, 32, v1
	v_subrev_nc_u32_e32 v1, 29, v4
	s_delay_alu instid0(VALU_DEP_1) | instskip(SKIP_1) | instid1(VALU_DEP_2)
	v_lshlrev_b64_e32 v[0:1], v1, v[0:1]
	v_sub_nc_u32_e32 v1, 30, v4
	v_and_b32_e32 v4, 3, v0
; %bb.2946:                             ;   in Loop: Header=BB6_2695 Depth=2
	s_or_b32 exec_lo, exec_lo, s29
	v_and_b32_e32 v0, 0x80000000, v15
	s_delay_alu instid0(VALU_DEP_1) | instskip(NEXT) | instid1(VALU_DEP_1)
	v_lshl_add_u32 v0, v1, 23, v0
	v_lshl_or_b32 v0, v4, 21, v0
                                        ; implicit-def: $vgpr4
	s_delay_alu instid0(VALU_DEP_1)
	v_add_nc_u32_e32 v1, 0x38000000, v0
.LBB6_2947:                             ;   in Loop: Header=BB6_2695 Depth=2
	s_and_not1_saveexec_b32 s28, s28
; %bb.2948:                             ;   in Loop: Header=BB6_2695 Depth=2
	v_cmp_lt_i64_e64 s10, -1, v[14:15]
	s_delay_alu instid0(VALU_DEP_1) | instskip(SKIP_1) | instid1(VALU_DEP_1)
	v_cndmask_b32_e64 v0, 0xff800000, v109, s10
	v_cmp_eq_u32_e64 s10, 0, v4
	v_cndmask_b32_e64 v1, 0x7f800001, v0, s10
; %bb.2949:                             ;   in Loop: Header=BB6_2695 Depth=2
	s_or_b32 exec_lo, exec_lo, s28
.LBB6_2950:                             ;   in Loop: Header=BB6_2695 Depth=2
	s_delay_alu instid0(SALU_CYCLE_1)
	s_or_b32 exec_lo, exec_lo, s27
.LBB6_2951:                             ;   in Loop: Header=BB6_2695 Depth=2
	s_delay_alu instid0(SALU_CYCLE_1) | instskip(SKIP_3) | instid1(VALU_DEP_2)
	s_or_b32 exec_lo, exec_lo, s11
	v_bfe_u32 v4, v11, 24, 2
	v_bfe_u32 v9, v11, 26, 5
	s_mov_b32 s11, exec_lo
	v_clz_i32_u32_e32 v0, v4
	s_delay_alu instid0(VALU_DEP_2) | instskip(NEXT) | instid1(VALU_DEP_2)
	v_cmp_eq_u32_e64 s10, 0, v9
	v_min_u32_e32 v8, 32, v0
	v_lshrrev_b32_e32 v0, 24, v11
	s_delay_alu instid0(VALU_DEP_2) | instskip(NEXT) | instid1(VALU_DEP_1)
	v_subrev_nc_u32_e32 v6, 29, v8
	v_lshlrev_b64_e32 v[6:7], v6, v[0:1]
	v_sub_nc_u32_e32 v7, 30, v8
	v_and_b32_e32 v8, 0x80000000, v11
	s_delay_alu instid0(VALU_DEP_2) | instskip(NEXT) | instid1(VALU_DEP_1)
	v_dual_cndmask_b32 v7, v9, v7, s10 :: v_dual_bitop2_b32 v6, 3, v6 bitop3:0x40
	v_lshl_add_u32 v7, v7, 23, v8
	s_delay_alu instid0(VALU_DEP_2) | instskip(SKIP_1) | instid1(VALU_DEP_2)
	v_cndmask_b32_e64 v6, v4, v6, s10
	v_cmp_lt_i64_e64 s10, -1, v[10:11]
	v_lshl_or_b32 v6, v6, 21, v7
	v_and_b32_e32 v7, 0x7c000000, v11
	s_delay_alu instid0(VALU_DEP_3) | instskip(SKIP_1) | instid1(VALU_DEP_4)
	v_cndmask_b32_e64 v8, 0xff800000, v109, s10
	v_cmp_eq_u32_e64 s10, 0, v4
	v_add_nc_u32_e32 v6, 0x38000000, v6
	s_delay_alu instid0(VALU_DEP_2) | instskip(SKIP_1) | instid1(VALU_DEP_1)
	v_cndmask_b32_e64 v4, 0x7f800001, v8, s10
	v_cmp_eq_u32_e64 s10, 0x7c000000, v7
	v_dual_mov_b32 v7, v5 :: v_dual_cndmask_b32 v4, v6, v4, s10
	v_cmp_ne_u32_e64 s10, 0x80, v0
	s_delay_alu instid0(VALU_DEP_1) | instskip(SKIP_1) | instid1(VALU_DEP_1)
	v_cndmask_b32_e64 v0, 0x80000000, v4, s10
	v_cmp_lt_u64_e64 s10, s[12:13], v[10:11]
                                        ; implicit-def: $vgpr10
	v_cndmask_b32_e64 v0, 0, v0, s10
	s_delay_alu instid0(VALU_DEP_1) | instskip(NEXT) | instid1(VALU_DEP_1)
	v_mul_f32_e32 v0, v0, v1
	v_and_b32_e32 v6, 0x7f800000, v0
	v_and_b32_e32 v4, 0x7fffff, v0
	v_lshrrev_b32_e32 v1, 24, v0
	s_delay_alu instid0(VALU_DEP_3)
	v_cmpx_ne_u64_e32 0x7f800000, v[6:7]
	s_xor_b32 s27, exec_lo, s11
	s_cbranch_execz .LBB6_2965
; %bb.2952:                             ;   in Loop: Header=BB6_2695 Depth=2
	v_and_b32_e32 v6, 0x7fffffff, v0
	v_mov_b32_e32 v7, v5
	v_and_b32_e32 v8, 0x80, v1
                                        ; implicit-def: $vgpr10
	s_mov_b32 s11, exec_lo
	s_delay_alu instid0(VALU_DEP_2)
	v_cmpx_gt_u64_e32 0x47600001, v[6:7]
	s_xor_b32 s28, exec_lo, s11
	s_cbranch_execz .LBB6_2962
; %bb.2953:                             ;   in Loop: Header=BB6_2695 Depth=2
	v_mov_b32_e32 v10, 0
	s_mov_b32 s29, exec_lo
	v_cmpx_ne_u32_e32 0, v0
	s_cbranch_execz .LBB6_2961
; %bb.2954:                             ;   in Loop: Header=BB6_2695 Depth=2
	v_bfe_u32 v9, v0, 23, 8
	v_or_b32_e32 v6, 0x800000, v4
	s_mov_b32 s40, exec_lo
	s_delay_alu instid0(VALU_DEP_2) | instskip(SKIP_1) | instid1(VALU_DEP_1)
	v_dual_mov_b32 v7, v5 :: v_dual_sub_nc_u32 v0, 0x71, v9
	v_cmp_gt_u32_e64 s10, 0x72, v9
	v_cndmask_b32_e64 v0, 0, v0, s10
	v_cmp_eq_u32_e64 s10, 0, v9
	s_delay_alu instid0(VALU_DEP_1) | instskip(NEXT) | instid1(VALU_DEP_1)
	v_cndmask_b32_e64 v10, v0, 0x70, s10
	v_dual_cndmask_b32 v6, v6, v4, s10 :: v_dual_add_nc_u32 v0, 21, v10
	v_add_nc_u32_e32 v11, 20, v10
	s_delay_alu instid0(VALU_DEP_2) | instskip(NEXT) | instid1(VALU_DEP_2)
	v_lshlrev_b64_e64 v[0:1], v0, -1
	v_lshlrev_b64_e64 v[14:15], v11, 1
	s_delay_alu instid0(VALU_DEP_2) | instskip(NEXT) | instid1(VALU_DEP_3)
	v_bfi_b32 v35, v1, 0, 0
	v_bfi_b32 v34, v0, 0, v6
	v_lshrrev_b64 v[0:1], v10, v[6:7]
	s_delay_alu instid0(VALU_DEP_1) | instskip(NEXT) | instid1(VALU_DEP_3)
	v_mov_b64_e32 v[6:7], v[0:1]
	v_cmpx_eq_u64_e64 v[34:35], v[14:15]
; %bb.2955:                             ;   in Loop: Header=BB6_2695 Depth=2
	v_bfe_u32 v6, v0, 21, 1
	v_mov_b32_e32 v7, v5
	s_delay_alu instid0(VALU_DEP_1) | instskip(NEXT) | instid1(VALU_DEP_1)
	v_add_nc_u64_e32 v[6:7], v[0:1], v[6:7]
	v_add_nc_u64_e32 v[6:7], -1, v[6:7]
; %bb.2956:                             ;   in Loop: Header=BB6_2695 Depth=2
	s_or_b32 exec_lo, exec_lo, s40
	v_add_nc_u32_e32 v1, 0xffffff81, v9
	v_lshrrev_b32_e32 v4, 23, v0
	s_mov_b32 s11, exec_lo
	s_delay_alu instid0(VALU_DEP_2) | instskip(NEXT) | instid1(VALU_DEP_1)
	v_cndmask_b32_e64 v1, v1, 0xffffff82, s10
	v_add3_u32 v7, v10, v1, v4
	v_and_b32_e32 v1, 0x1fffff, v6
                                        ; implicit-def: $vgpr6
	s_delay_alu instid0(VALU_DEP_1) | instskip(NEXT) | instid1(VALU_DEP_1)
	v_dual_add_nc_u32 v9, 14, v7 :: v_dual_add_nc_u32 v4, v1, v0
                                        ; implicit-def: $vgpr0_vgpr1
	v_cmpx_ne_u32_e32 0, v9
	s_xor_b32 s11, exec_lo, s11
; %bb.2957:                             ;   in Loop: Header=BB6_2695 Depth=2
	s_delay_alu instid0(VALU_DEP_2) | instskip(SKIP_1) | instid1(VALU_DEP_1)
	v_cmp_lt_u64_e64 s10, 0xffffff, v[4:5]
	v_add_nc_u32_e32 v0, 15, v7
	v_cndmask_b32_e64 v6, v9, v0, s10
	v_cndmask_b32_e64 v0, 0, 1, s10
	s_delay_alu instid0(VALU_DEP_1)
	v_lshrrev_b64 v[0:1], v0, v[4:5]
; %bb.2958:                             ;   in Loop: Header=BB6_2695 Depth=2
	s_and_not1_saveexec_b32 s10, s11
; %bb.2959:                             ;   in Loop: Header=BB6_2695 Depth=2
	v_mov_b64_e32 v[0:1], v[4:5]
	v_bfe_u32 v6, v4, 23, 1
; %bb.2960:                             ;   in Loop: Header=BB6_2695 Depth=2
	s_or_b32 exec_lo, exec_lo, s10
	s_delay_alu instid0(VALU_DEP_2) | instskip(NEXT) | instid1(VALU_DEP_2)
	v_lshrrev_b64 v[0:1], 21, v[0:1]
	v_cmp_gt_i32_e64 s10, 32, v6
	v_min_i32_e32 v4, 31, v6
	v_cmp_eq_u32_e64 s11, 0, v6
	s_delay_alu instid0(VALU_DEP_2) | instskip(SKIP_1) | instid1(VALU_DEP_2)
	v_dual_cndmask_b32 v1, 0, v1, s10 :: v_dual_lshlrev_b32 v4, 2, v4
	v_cndmask_b32_e64 v0, 3, v0, s10
	v_and_b32_e32 v4, 0xfc, v4
	s_delay_alu instid0(VALU_DEP_2) | instskip(NEXT) | instid1(VALU_DEP_2)
	v_cmp_eq_u64_e64 s10, 0, v[0:1]
	v_and_or_b32 v0, v0, 3, v4
	s_and_b32 s10, s11, s10
	s_delay_alu instid0(VALU_DEP_1) | instid1(SALU_CYCLE_1)
	v_cndmask_b32_e64 v0, v0, 0, s10
	s_delay_alu instid0(VALU_DEP_1)
	v_or_b32_e32 v10, v0, v8
.LBB6_2961:                             ;   in Loop: Header=BB6_2695 Depth=2
	s_or_b32 exec_lo, exec_lo, s29
                                        ; implicit-def: $vgpr8
.LBB6_2962:                             ;   in Loop: Header=BB6_2695 Depth=2
	s_and_not1_saveexec_b32 s10, s28
; %bb.2963:                             ;   in Loop: Header=BB6_2695 Depth=2
	v_or_b32_e32 v10, 0x7b, v8
; %bb.2964:                             ;   in Loop: Header=BB6_2695 Depth=2
	s_or_b32 exec_lo, exec_lo, s10
                                        ; implicit-def: $vgpr0
                                        ; implicit-def: $vgpr1
.LBB6_2965:                             ;   in Loop: Header=BB6_2695 Depth=2
	s_and_not1_saveexec_b32 s11, s27
	s_cbranch_execz .LBB6_2971
; %bb.2966:                             ;   in Loop: Header=BB6_2695 Depth=2
	v_cmp_ne_u64_e64 s10, 0, v[4:5]
                                        ; implicit-def: $vgpr10
	s_and_saveexec_b32 s27, s10
	s_delay_alu instid0(SALU_CYCLE_1)
	s_xor_b32 s10, exec_lo, s27
; %bb.2967:                             ;   in Loop: Header=BB6_2695 Depth=2
	v_or_b32_e32 v10, 0x7f, v1
                                        ; implicit-def: $vgpr0
; %bb.2968:                             ;   in Loop: Header=BB6_2695 Depth=2
	s_and_not1_saveexec_b32 s27, s10
; %bb.2969:                             ;   in Loop: Header=BB6_2695 Depth=2
	v_cmp_lt_i32_e64 s10, -1, v0
	s_delay_alu instid0(VALU_DEP_1)
	v_cndmask_b32_e64 v10, 0xfc, v108, s10
; %bb.2970:                             ;   in Loop: Header=BB6_2695 Depth=2
	s_or_b32 exec_lo, exec_lo, s27
.LBB6_2971:                             ;   in Loop: Header=BB6_2695 Depth=2
	s_delay_alu instid0(SALU_CYCLE_1) | instskip(SKIP_1) | instid1(VALU_DEP_1)
	s_or_b32 exec_lo, exec_lo, s11
	v_and_b32_e32 v0, 0xff, v16
	v_cmp_ne_u16_e64 s10, 0, v0
	v_mov_b32_e32 v0, 0
	s_and_saveexec_b32 s11, s10
	s_cbranch_execz .LBB6_2981
; %bb.2972:                             ;   in Loop: Header=BB6_2695 Depth=2
	v_bfe_i32 v4, v16, 0, 8
	v_bfrev_b32_e32 v0, 1
	s_mov_b32 s27, exec_lo
	s_delay_alu instid0(VALU_DEP_2)
	v_cmpx_ne_u16_e32 0xff80, v4
	s_cbranch_execz .LBB6_2980
; %bb.2973:                             ;   in Loop: Header=BB6_2695 Depth=2
	v_and_b32_e32 v0, 0x7c, v16
	v_and_b32_e32 v1, 3, v16
	s_delay_alu instid0(VALU_DEP_2) | instskip(SKIP_1) | instid1(SALU_CYCLE_1)
	v_cmp_ne_u32_e64 s10, 0x7c, v0
                                        ; implicit-def: $vgpr0
	s_and_saveexec_b32 s28, s10
	s_xor_b32 s28, exec_lo, s28
	s_cbranch_execz .LBB6_2977
; %bb.2974:                             ;   in Loop: Header=BB6_2695 Depth=2
	v_bfe_u32 v0, v16, 2, 5
	s_mov_b32 s29, exec_lo
	s_delay_alu instid0(VALU_DEP_1)
	v_cmpx_eq_u32_e32 0, v0
; %bb.2975:                             ;   in Loop: Header=BB6_2695 Depth=2
	v_clz_i32_u32_e32 v0, v1
	s_delay_alu instid0(VALU_DEP_1) | instskip(NEXT) | instid1(VALU_DEP_1)
	v_min_u32_e32 v0, 32, v0
	v_subrev_nc_u32_e32 v1, 29, v0
	s_delay_alu instid0(VALU_DEP_1) | instskip(NEXT) | instid1(VALU_DEP_1)
	v_lshlrev_b64_e32 v[6:7], v1, v[16:17]
	v_dual_sub_nc_u32 v0, 30, v0 :: v_dual_bitop2_b32 v1, 3, v6 bitop3:0x40
; %bb.2976:                             ;   in Loop: Header=BB6_2695 Depth=2
	s_or_b32 exec_lo, exec_lo, s29
	v_lshlrev_b32_e32 v4, 24, v16
	s_delay_alu instid0(VALU_DEP_1) | instskip(NEXT) | instid1(VALU_DEP_1)
	v_and_b32_e32 v4, 0x80000000, v4
	v_lshl_add_u32 v0, v0, 23, v4
                                        ; implicit-def: $vgpr4
	s_delay_alu instid0(VALU_DEP_1) | instskip(NEXT) | instid1(VALU_DEP_1)
	v_lshl_or_b32 v0, v1, 21, v0
                                        ; implicit-def: $vgpr1
	v_add_nc_u32_e32 v0, 0x38000000, v0
.LBB6_2977:                             ;   in Loop: Header=BB6_2695 Depth=2
	s_and_not1_saveexec_b32 s28, s28
; %bb.2978:                             ;   in Loop: Header=BB6_2695 Depth=2
	v_cmp_lt_i16_e64 s10, -1, v4
	s_delay_alu instid0(VALU_DEP_1) | instskip(SKIP_1) | instid1(VALU_DEP_1)
	v_cndmask_b32_e64 v0, 0xff800000, v109, s10
	v_cmp_eq_u32_e64 s10, 0, v1
	v_cndmask_b32_e64 v0, 0x7f800001, v0, s10
; %bb.2979:                             ;   in Loop: Header=BB6_2695 Depth=2
	s_or_b32 exec_lo, exec_lo, s28
.LBB6_2980:                             ;   in Loop: Header=BB6_2695 Depth=2
	s_delay_alu instid0(SALU_CYCLE_1)
	s_or_b32 exec_lo, exec_lo, s27
.LBB6_2981:                             ;   in Loop: Header=BB6_2695 Depth=2
	s_delay_alu instid0(SALU_CYCLE_1) | instskip(SKIP_3) | instid1(VALU_DEP_1)
	s_or_b32 exec_lo, exec_lo, s11
	v_and_b32_e32 v4, 0xff, v12
	s_mov_b32 s27, 0
	s_mov_b32 s11, exec_lo
	v_cmpx_lt_i16_e32 0x7f, v4
	s_xor_b32 s11, exec_lo, s11
	s_cbranch_execz .LBB6_3258
; %bb.2982:                             ;   in Loop: Header=BB6_2695 Depth=2
	s_mov_b32 s27, -1
	s_mov_b32 s28, exec_lo
	v_cmpx_eq_u16_e32 0x80, v4
; %bb.2983:                             ;   in Loop: Header=BB6_2695 Depth=2
	s_xor_b32 s27, exec_lo, -1
; %bb.2984:                             ;   in Loop: Header=BB6_2695 Depth=2
	s_or_b32 exec_lo, exec_lo, s28
	s_delay_alu instid0(SALU_CYCLE_1)
	s_and_b32 s27, s27, exec_lo
                                        ; implicit-def: $vgpr4
	s_or_saveexec_b32 s11, s11
	v_bfrev_b32_e32 v1, 1
	s_xor_b32 exec_lo, exec_lo, s11
	s_cbranch_execnz .LBB6_3259
.LBB6_2985:                             ;   in Loop: Header=BB6_2695 Depth=2
	s_or_b32 exec_lo, exec_lo, s11
	s_and_saveexec_b32 s11, s27
	s_cbranch_execz .LBB6_2987
.LBB6_2986:                             ;   in Loop: Header=BB6_2695 Depth=2
	v_and_b32_e32 v1, 3, v12
	v_bfe_u32 v8, v12, 2, 5
	s_delay_alu instid0(VALU_DEP_2) | instskip(NEXT) | instid1(VALU_DEP_2)
	v_clz_i32_u32_e32 v4, v1
	v_cmp_eq_u32_e64 s10, 0, v8
	s_delay_alu instid0(VALU_DEP_2) | instskip(NEXT) | instid1(VALU_DEP_1)
	v_min_u32_e32 v4, 32, v4
	v_subrev_nc_u32_e32 v6, 29, v4
	s_delay_alu instid0(VALU_DEP_1) | instskip(SKIP_2) | instid1(VALU_DEP_2)
	v_lshlrev_b64_e32 v[6:7], v6, v[12:13]
	v_lshlrev_b32_e32 v7, 24, v12
	v_sub_nc_u32_e32 v4, 30, v4
	v_and_b32_e32 v7, 0x80000000, v7
	s_delay_alu instid0(VALU_DEP_2) | instskip(SKIP_1) | instid1(VALU_DEP_2)
	v_dual_cndmask_b32 v4, v8, v4, s10 :: v_dual_bitop2_b32 v6, 3, v6 bitop3:0x40
	v_bfe_i32 v8, v12, 0, 8
	v_cndmask_b32_e64 v6, v1, v6, s10
	s_delay_alu instid0(VALU_DEP_3) | instskip(NEXT) | instid1(VALU_DEP_3)
	v_lshl_add_u32 v4, v4, 23, v7
	v_cmp_lt_i16_e64 s10, -1, v8
	s_delay_alu instid0(VALU_DEP_2) | instskip(NEXT) | instid1(VALU_DEP_2)
	v_lshl_or_b32 v4, v6, 21, v4
	v_cndmask_b32_e64 v7, 0xff800000, v109, s10
	v_and_b32_e32 v6, 0x7c, v12
	v_cmp_eq_u32_e64 s10, 0, v1
	s_delay_alu instid0(VALU_DEP_4) | instskip(NEXT) | instid1(VALU_DEP_2)
	v_add_nc_u32_e32 v4, 0x38000000, v4
	v_cndmask_b32_e64 v1, 0x7f800001, v7, s10
	s_delay_alu instid0(VALU_DEP_4) | instskip(NEXT) | instid1(VALU_DEP_1)
	v_cmp_eq_u32_e64 s10, 0x7c, v6
	v_cndmask_b32_e64 v1, v4, v1, s10
.LBB6_2987:                             ;   in Loop: Header=BB6_2695 Depth=2
	s_or_b32 exec_lo, exec_lo, s11
	s_delay_alu instid0(VALU_DEP_1) | instskip(SKIP_1) | instid1(VALU_DEP_1)
	v_dual_mul_f32 v0, v0, v1 :: v_dual_mov_b32 v7, v5
                                        ; implicit-def: $vgpr11
	s_mov_b32 s11, exec_lo
	v_and_b32_e32 v6, 0x7f800000, v0
	v_and_b32_e32 v4, 0x7fffff, v0
	v_lshrrev_b32_e32 v1, 24, v0
	s_delay_alu instid0(VALU_DEP_3)
	v_cmpx_ne_u64_e32 0x7f800000, v[6:7]
	s_xor_b32 s27, exec_lo, s11
	s_cbranch_execz .LBB6_3001
; %bb.2988:                             ;   in Loop: Header=BB6_2695 Depth=2
	v_and_b32_e32 v6, 0x7fffffff, v0
	v_mov_b32_e32 v7, v5
	v_and_b32_e32 v8, 0x80, v1
                                        ; implicit-def: $vgpr11
	s_mov_b32 s11, exec_lo
	s_delay_alu instid0(VALU_DEP_2)
	v_cmpx_gt_u64_e32 0x47600001, v[6:7]
	s_xor_b32 s28, exec_lo, s11
	s_cbranch_execz .LBB6_2998
; %bb.2989:                             ;   in Loop: Header=BB6_2695 Depth=2
	v_mov_b32_e32 v11, 0
	s_mov_b32 s29, exec_lo
	v_cmpx_ne_u32_e32 0, v0
	s_cbranch_execz .LBB6_2997
; %bb.2990:                             ;   in Loop: Header=BB6_2695 Depth=2
	v_bfe_u32 v9, v0, 23, 8
	v_or_b32_e32 v6, 0x800000, v4
	s_mov_b32 s40, exec_lo
	s_delay_alu instid0(VALU_DEP_2) | instskip(SKIP_1) | instid1(VALU_DEP_1)
	v_dual_mov_b32 v7, v5 :: v_dual_sub_nc_u32 v0, 0x71, v9
	v_cmp_gt_u32_e64 s10, 0x72, v9
	v_cndmask_b32_e64 v0, 0, v0, s10
	v_cmp_eq_u32_e64 s10, 0, v9
	s_delay_alu instid0(VALU_DEP_1) | instskip(NEXT) | instid1(VALU_DEP_1)
	v_cndmask_b32_e64 v11, v0, 0x70, s10
	v_dual_cndmask_b32 v6, v6, v4, s10 :: v_dual_add_nc_u32 v0, 21, v11
	v_add_nc_u32_e32 v14, 20, v11
	s_delay_alu instid0(VALU_DEP_2) | instskip(NEXT) | instid1(VALU_DEP_2)
	v_lshlrev_b64_e64 v[0:1], v0, -1
	v_lshlrev_b64_e64 v[14:15], v14, 1
	s_delay_alu instid0(VALU_DEP_2) | instskip(NEXT) | instid1(VALU_DEP_3)
	v_bfi_b32 v35, v1, 0, 0
	v_bfi_b32 v34, v0, 0, v6
	v_lshrrev_b64 v[0:1], v11, v[6:7]
	s_delay_alu instid0(VALU_DEP_1) | instskip(NEXT) | instid1(VALU_DEP_3)
	v_mov_b64_e32 v[6:7], v[0:1]
	v_cmpx_eq_u64_e64 v[34:35], v[14:15]
; %bb.2991:                             ;   in Loop: Header=BB6_2695 Depth=2
	v_bfe_u32 v6, v0, 21, 1
	v_mov_b32_e32 v7, v5
	s_delay_alu instid0(VALU_DEP_1) | instskip(NEXT) | instid1(VALU_DEP_1)
	v_add_nc_u64_e32 v[6:7], v[0:1], v[6:7]
	v_add_nc_u64_e32 v[6:7], -1, v[6:7]
; %bb.2992:                             ;   in Loop: Header=BB6_2695 Depth=2
	s_or_b32 exec_lo, exec_lo, s40
	v_add_nc_u32_e32 v1, 0xffffff81, v9
	v_lshrrev_b32_e32 v4, 23, v0
	s_mov_b32 s11, exec_lo
	s_delay_alu instid0(VALU_DEP_2) | instskip(NEXT) | instid1(VALU_DEP_1)
	v_cndmask_b32_e64 v1, v1, 0xffffff82, s10
	v_add3_u32 v7, v11, v1, v4
	v_and_b32_e32 v1, 0x1fffff, v6
                                        ; implicit-def: $vgpr6
	s_delay_alu instid0(VALU_DEP_1) | instskip(NEXT) | instid1(VALU_DEP_1)
	v_dual_add_nc_u32 v9, 14, v7 :: v_dual_add_nc_u32 v4, v1, v0
                                        ; implicit-def: $vgpr0_vgpr1
	v_cmpx_ne_u32_e32 0, v9
	s_xor_b32 s11, exec_lo, s11
; %bb.2993:                             ;   in Loop: Header=BB6_2695 Depth=2
	s_delay_alu instid0(VALU_DEP_2) | instskip(SKIP_1) | instid1(VALU_DEP_1)
	v_cmp_lt_u64_e64 s10, 0xffffff, v[4:5]
	v_add_nc_u32_e32 v0, 15, v7
	v_cndmask_b32_e64 v6, v9, v0, s10
	v_cndmask_b32_e64 v0, 0, 1, s10
	s_delay_alu instid0(VALU_DEP_1)
	v_lshrrev_b64 v[0:1], v0, v[4:5]
; %bb.2994:                             ;   in Loop: Header=BB6_2695 Depth=2
	s_and_not1_saveexec_b32 s10, s11
; %bb.2995:                             ;   in Loop: Header=BB6_2695 Depth=2
	v_mov_b64_e32 v[0:1], v[4:5]
	v_bfe_u32 v6, v4, 23, 1
; %bb.2996:                             ;   in Loop: Header=BB6_2695 Depth=2
	s_or_b32 exec_lo, exec_lo, s10
	s_delay_alu instid0(VALU_DEP_2) | instskip(NEXT) | instid1(VALU_DEP_2)
	v_lshrrev_b64 v[0:1], 21, v[0:1]
	v_cmp_gt_i32_e64 s10, 32, v6
	v_min_i32_e32 v4, 31, v6
	v_cmp_eq_u32_e64 s11, 0, v6
	s_delay_alu instid0(VALU_DEP_2) | instskip(SKIP_1) | instid1(VALU_DEP_2)
	v_dual_cndmask_b32 v1, 0, v1, s10 :: v_dual_lshlrev_b32 v4, 2, v4
	v_cndmask_b32_e64 v0, 3, v0, s10
	v_and_b32_e32 v4, 0xfc, v4
	s_delay_alu instid0(VALU_DEP_2) | instskip(NEXT) | instid1(VALU_DEP_2)
	v_cmp_eq_u64_e64 s10, 0, v[0:1]
	v_and_or_b32 v0, v0, 3, v4
	s_and_b32 s10, s11, s10
	s_delay_alu instid0(VALU_DEP_1) | instid1(SALU_CYCLE_1)
	v_cndmask_b32_e64 v0, v0, 0, s10
	s_delay_alu instid0(VALU_DEP_1)
	v_or_b32_e32 v11, v0, v8
.LBB6_2997:                             ;   in Loop: Header=BB6_2695 Depth=2
	s_or_b32 exec_lo, exec_lo, s29
                                        ; implicit-def: $vgpr8
.LBB6_2998:                             ;   in Loop: Header=BB6_2695 Depth=2
	s_and_not1_saveexec_b32 s10, s28
; %bb.2999:                             ;   in Loop: Header=BB6_2695 Depth=2
	v_or_b32_e32 v11, 0x7b, v8
; %bb.3000:                             ;   in Loop: Header=BB6_2695 Depth=2
	s_or_b32 exec_lo, exec_lo, s10
                                        ; implicit-def: $vgpr0
                                        ; implicit-def: $vgpr1
.LBB6_3001:                             ;   in Loop: Header=BB6_2695 Depth=2
	s_and_not1_saveexec_b32 s11, s27
	s_cbranch_execz .LBB6_3007
; %bb.3002:                             ;   in Loop: Header=BB6_2695 Depth=2
	v_cmp_ne_u64_e64 s10, 0, v[4:5]
                                        ; implicit-def: $vgpr11
	s_and_saveexec_b32 s27, s10
	s_delay_alu instid0(SALU_CYCLE_1)
	s_xor_b32 s10, exec_lo, s27
; %bb.3003:                             ;   in Loop: Header=BB6_2695 Depth=2
	v_or_b32_e32 v11, 0x7f, v1
                                        ; implicit-def: $vgpr0
; %bb.3004:                             ;   in Loop: Header=BB6_2695 Depth=2
	s_and_not1_saveexec_b32 s27, s10
; %bb.3005:                             ;   in Loop: Header=BB6_2695 Depth=2
	v_cmp_lt_i32_e64 s10, -1, v0
	s_delay_alu instid0(VALU_DEP_1)
	v_cndmask_b32_e64 v11, 0xfc, v108, s10
; %bb.3006:                             ;   in Loop: Header=BB6_2695 Depth=2
	s_or_b32 exec_lo, exec_lo, s27
.LBB6_3007:                             ;   in Loop: Header=BB6_2695 Depth=2
	s_delay_alu instid0(SALU_CYCLE_1) | instskip(SKIP_3) | instid1(VALU_DEP_2)
	s_or_b32 exec_lo, exec_lo, s11
	v_lshrrev_b16 v0, 8, v16
	v_mov_b32_e32 v4, 0
	s_mov_b32 s11, exec_lo
	v_cmpx_ne_u16_e32 0, v0
	s_cbranch_execz .LBB6_3017
; %bb.3008:                             ;   in Loop: Header=BB6_2695 Depth=2
	v_bfrev_b32_e32 v4, 1
	s_mov_b32 s27, exec_lo
	v_cmpx_ne_u16_e32 0x80, v0
	s_cbranch_execz .LBB6_3016
; %bb.3009:                             ;   in Loop: Header=BB6_2695 Depth=2
	v_and_b32_e32 v6, 0xffff, v0
	s_delay_alu instid0(VALU_DEP_1) | instskip(SKIP_1) | instid1(VALU_DEP_2)
	v_and_b32_e32 v4, 0x7c, v6
	v_and_b32_e32 v1, 3, v6
	v_cmp_ne_u32_e64 s10, 0x7c, v4
                                        ; implicit-def: $vgpr4
	s_and_saveexec_b32 s28, s10
	s_delay_alu instid0(SALU_CYCLE_1)
	s_xor_b32 s28, exec_lo, s28
	s_cbranch_execz .LBB6_3013
; %bb.3010:                             ;   in Loop: Header=BB6_2695 Depth=2
	v_bfe_u32 v4, v6, 2, 5
	s_mov_b32 s29, exec_lo
	s_delay_alu instid0(VALU_DEP_1)
	v_cmpx_eq_u32_e32 0, v4
	s_cbranch_execz .LBB6_3012
; %bb.3011:                             ;   in Loop: Header=BB6_2695 Depth=2
	v_clz_i32_u32_e32 v1, v1
	s_delay_alu instid0(VALU_DEP_1) | instskip(SKIP_1) | instid1(VALU_DEP_2)
	v_min_u32_e32 v4, 32, v1
	v_mov_b32_e32 v1, v5
	v_subrev_nc_u32_e32 v6, 29, v4
	v_sub_nc_u32_e32 v4, 30, v4
	s_delay_alu instid0(VALU_DEP_2) | instskip(NEXT) | instid1(VALU_DEP_1)
	v_lshlrev_b64_e32 v[0:1], v6, v[0:1]
	v_and_b32_e32 v1, 3, v0
.LBB6_3012:                             ;   in Loop: Header=BB6_2695 Depth=2
	s_or_b32 exec_lo, exec_lo, s29
	v_lshlrev_b32_e32 v0, 16, v16
	s_delay_alu instid0(VALU_DEP_1) | instskip(NEXT) | instid1(VALU_DEP_1)
	v_and_b32_e32 v0, 0x80000000, v0
	v_lshl_add_u32 v0, v4, 23, v0
	s_delay_alu instid0(VALU_DEP_1) | instskip(NEXT) | instid1(VALU_DEP_1)
	v_lshl_or_b32 v0, v1, 21, v0
                                        ; implicit-def: $vgpr1
	v_add_nc_u32_e32 v4, 0x38000000, v0
.LBB6_3013:                             ;   in Loop: Header=BB6_2695 Depth=2
	s_and_not1_saveexec_b32 s28, s28
; %bb.3014:                             ;   in Loop: Header=BB6_2695 Depth=2
	v_cmp_lt_i16_e64 s10, -1, v16
	s_delay_alu instid0(VALU_DEP_1) | instskip(SKIP_1) | instid1(VALU_DEP_1)
	v_cndmask_b32_e64 v0, 0xff800000, v109, s10
	v_cmp_eq_u32_e64 s10, 0, v1
	v_cndmask_b32_e64 v4, 0x7f800001, v0, s10
; %bb.3015:                             ;   in Loop: Header=BB6_2695 Depth=2
	s_or_b32 exec_lo, exec_lo, s28
.LBB6_3016:                             ;   in Loop: Header=BB6_2695 Depth=2
	s_delay_alu instid0(SALU_CYCLE_1)
	s_or_b32 exec_lo, exec_lo, s27
.LBB6_3017:                             ;   in Loop: Header=BB6_2695 Depth=2
	s_delay_alu instid0(SALU_CYCLE_1) | instskip(SKIP_3) | instid1(VALU_DEP_1)
	s_or_b32 exec_lo, exec_lo, s11
	v_lshrrev_b16 v0, 8, v12
	s_mov_b32 s27, 0
	s_mov_b32 s11, exec_lo
	v_cmpx_lt_i16_e32 0x7f, v0
	s_xor_b32 s11, exec_lo, s11
	s_cbranch_execz .LBB6_3260
; %bb.3018:                             ;   in Loop: Header=BB6_2695 Depth=2
	s_mov_b32 s27, -1
	s_mov_b32 s28, exec_lo
	v_cmpx_eq_u16_e32 0x80, v0
; %bb.3019:                             ;   in Loop: Header=BB6_2695 Depth=2
	s_xor_b32 s27, exec_lo, -1
; %bb.3020:                             ;   in Loop: Header=BB6_2695 Depth=2
	s_or_b32 exec_lo, exec_lo, s28
	s_delay_alu instid0(SALU_CYCLE_1)
	s_and_b32 s27, s27, exec_lo
	s_or_saveexec_b32 s11, s11
	v_bfrev_b32_e32 v1, 1
	s_xor_b32 exec_lo, exec_lo, s11
	s_cbranch_execnz .LBB6_3261
.LBB6_3021:                             ;   in Loop: Header=BB6_2695 Depth=2
	s_or_b32 exec_lo, exec_lo, s11
	s_and_saveexec_b32 s11, s27
	s_cbranch_execz .LBB6_3023
.LBB6_3022:                             ;   in Loop: Header=BB6_2695 Depth=2
	v_and_b32_e32 v8, 0xffff, v0
	s_delay_alu instid0(VALU_DEP_1) | instskip(NEXT) | instid1(VALU_DEP_1)
	v_and_b32_e32 v9, 3, v8
	v_clz_i32_u32_e32 v1, v9
	s_delay_alu instid0(VALU_DEP_1) | instskip(SKIP_1) | instid1(VALU_DEP_2)
	v_min_u32_e32 v14, 32, v1
	v_mov_b32_e32 v1, v5
	v_subrev_nc_u32_e32 v6, 29, v14
	s_delay_alu instid0(VALU_DEP_1) | instskip(SKIP_2) | instid1(VALU_DEP_2)
	v_lshlrev_b64_e32 v[6:7], v6, v[0:1]
	v_bfe_u32 v1, v8, 2, 5
	v_dual_lshlrev_b32 v0, 24, v0 :: v_dual_sub_nc_u32 v7, 30, v14
	v_cmp_eq_u32_e64 s10, 0, v1
	s_delay_alu instid0(VALU_DEP_2) | instskip(NEXT) | instid1(VALU_DEP_2)
	v_and_b32_e32 v0, 0x80000000, v0
	v_dual_cndmask_b32 v1, v1, v7, s10 :: v_dual_bitop2_b32 v6, 3, v6 bitop3:0x40
	s_delay_alu instid0(VALU_DEP_1) | instskip(SKIP_1) | instid1(VALU_DEP_3)
	v_cndmask_b32_e64 v6, v9, v6, s10
	v_cmp_lt_i16_e64 s10, -1, v12
	v_lshl_add_u32 v0, v1, 23, v0
	s_delay_alu instid0(VALU_DEP_2) | instskip(SKIP_1) | instid1(VALU_DEP_3)
	v_cndmask_b32_e64 v1, 0xff800000, v109, s10
	v_cmp_eq_u32_e64 s10, 0, v9
	v_lshl_or_b32 v0, v6, 21, v0
	v_and_b32_e32 v6, 0x7c, v8
	s_delay_alu instid0(VALU_DEP_3) | instskip(NEXT) | instid1(VALU_DEP_3)
	v_cndmask_b32_e64 v1, 0x7f800001, v1, s10
	v_add_nc_u32_e32 v0, 0x38000000, v0
	s_delay_alu instid0(VALU_DEP_3) | instskip(NEXT) | instid1(VALU_DEP_1)
	v_cmp_eq_u32_e64 s10, 0x7c, v6
	v_cndmask_b32_e64 v1, v0, v1, s10
.LBB6_3023:                             ;   in Loop: Header=BB6_2695 Depth=2
	s_or_b32 exec_lo, exec_lo, s11
	s_delay_alu instid0(VALU_DEP_1) | instskip(SKIP_1) | instid1(VALU_DEP_1)
	v_dual_mul_f32 v0, v4, v1 :: v_dual_mov_b32 v7, v5
                                        ; implicit-def: $vgpr14
	s_mov_b32 s11, exec_lo
	v_and_b32_e32 v6, 0x7f800000, v0
	v_and_b32_e32 v4, 0x7fffff, v0
	v_lshrrev_b32_e32 v1, 24, v0
	s_delay_alu instid0(VALU_DEP_3)
	v_cmpx_ne_u64_e32 0x7f800000, v[6:7]
	s_xor_b32 s27, exec_lo, s11
	s_cbranch_execz .LBB6_3037
; %bb.3024:                             ;   in Loop: Header=BB6_2695 Depth=2
	v_and_b32_e32 v6, 0x7fffffff, v0
	v_mov_b32_e32 v7, v5
	v_and_b32_e32 v8, 0x80, v1
                                        ; implicit-def: $vgpr14
	s_mov_b32 s11, exec_lo
	s_delay_alu instid0(VALU_DEP_2)
	v_cmpx_gt_u64_e32 0x47600001, v[6:7]
	s_xor_b32 s28, exec_lo, s11
	s_cbranch_execz .LBB6_3034
; %bb.3025:                             ;   in Loop: Header=BB6_2695 Depth=2
	v_mov_b32_e32 v14, 0
	s_mov_b32 s29, exec_lo
	v_cmpx_ne_u32_e32 0, v0
	s_cbranch_execz .LBB6_3033
; %bb.3026:                             ;   in Loop: Header=BB6_2695 Depth=2
	v_bfe_u32 v9, v0, 23, 8
	v_or_b32_e32 v6, 0x800000, v4
	s_mov_b32 s40, exec_lo
	s_delay_alu instid0(VALU_DEP_2) | instskip(SKIP_1) | instid1(VALU_DEP_1)
	v_dual_mov_b32 v7, v5 :: v_dual_sub_nc_u32 v0, 0x71, v9
	v_cmp_gt_u32_e64 s10, 0x72, v9
	v_cndmask_b32_e64 v0, 0, v0, s10
	v_cmp_eq_u32_e64 s10, 0, v9
	s_delay_alu instid0(VALU_DEP_1) | instskip(NEXT) | instid1(VALU_DEP_1)
	v_cndmask_b32_e64 v14, v0, 0x70, s10
	v_dual_cndmask_b32 v6, v6, v4, s10 :: v_dual_add_nc_u32 v0, 21, v14
	v_add_nc_u32_e32 v15, 20, v14
	s_delay_alu instid0(VALU_DEP_2) | instskip(NEXT) | instid1(VALU_DEP_2)
	v_lshlrev_b64_e64 v[0:1], v0, -1
	v_lshlrev_b64_e64 v[34:35], v15, 1
	s_delay_alu instid0(VALU_DEP_2) | instskip(NEXT) | instid1(VALU_DEP_3)
	v_bfi_b32 v37, v1, 0, 0
	v_bfi_b32 v36, v0, 0, v6
	v_lshrrev_b64 v[0:1], v14, v[6:7]
	s_delay_alu instid0(VALU_DEP_1) | instskip(NEXT) | instid1(VALU_DEP_3)
	v_mov_b64_e32 v[6:7], v[0:1]
	v_cmpx_eq_u64_e64 v[36:37], v[34:35]
; %bb.3027:                             ;   in Loop: Header=BB6_2695 Depth=2
	v_bfe_u32 v6, v0, 21, 1
	v_mov_b32_e32 v7, v5
	s_delay_alu instid0(VALU_DEP_1) | instskip(NEXT) | instid1(VALU_DEP_1)
	v_add_nc_u64_e32 v[6:7], v[0:1], v[6:7]
	v_add_nc_u64_e32 v[6:7], -1, v[6:7]
; %bb.3028:                             ;   in Loop: Header=BB6_2695 Depth=2
	s_or_b32 exec_lo, exec_lo, s40
	v_add_nc_u32_e32 v1, 0xffffff81, v9
	v_lshrrev_b32_e32 v4, 23, v0
	s_mov_b32 s11, exec_lo
	s_delay_alu instid0(VALU_DEP_2) | instskip(NEXT) | instid1(VALU_DEP_1)
	v_cndmask_b32_e64 v1, v1, 0xffffff82, s10
	v_add3_u32 v7, v14, v1, v4
	v_and_b32_e32 v1, 0x1fffff, v6
                                        ; implicit-def: $vgpr6
	s_delay_alu instid0(VALU_DEP_1) | instskip(NEXT) | instid1(VALU_DEP_1)
	v_dual_add_nc_u32 v9, 14, v7 :: v_dual_add_nc_u32 v4, v1, v0
                                        ; implicit-def: $vgpr0_vgpr1
	v_cmpx_ne_u32_e32 0, v9
	s_xor_b32 s11, exec_lo, s11
; %bb.3029:                             ;   in Loop: Header=BB6_2695 Depth=2
	s_delay_alu instid0(VALU_DEP_2) | instskip(SKIP_1) | instid1(VALU_DEP_1)
	v_cmp_lt_u64_e64 s10, 0xffffff, v[4:5]
	v_add_nc_u32_e32 v0, 15, v7
	v_cndmask_b32_e64 v6, v9, v0, s10
	v_cndmask_b32_e64 v0, 0, 1, s10
	s_delay_alu instid0(VALU_DEP_1)
	v_lshrrev_b64 v[0:1], v0, v[4:5]
; %bb.3030:                             ;   in Loop: Header=BB6_2695 Depth=2
	s_and_not1_saveexec_b32 s10, s11
; %bb.3031:                             ;   in Loop: Header=BB6_2695 Depth=2
	v_mov_b64_e32 v[0:1], v[4:5]
	v_bfe_u32 v6, v4, 23, 1
; %bb.3032:                             ;   in Loop: Header=BB6_2695 Depth=2
	s_or_b32 exec_lo, exec_lo, s10
	s_delay_alu instid0(VALU_DEP_2) | instskip(NEXT) | instid1(VALU_DEP_2)
	v_lshrrev_b64 v[0:1], 21, v[0:1]
	v_cmp_gt_i32_e64 s10, 32, v6
	v_min_i32_e32 v4, 31, v6
	v_cmp_eq_u32_e64 s11, 0, v6
	s_delay_alu instid0(VALU_DEP_2) | instskip(SKIP_1) | instid1(VALU_DEP_2)
	v_dual_cndmask_b32 v1, 0, v1, s10 :: v_dual_lshlrev_b32 v4, 2, v4
	v_cndmask_b32_e64 v0, 3, v0, s10
	v_and_b32_e32 v4, 0xfc, v4
	s_delay_alu instid0(VALU_DEP_2) | instskip(NEXT) | instid1(VALU_DEP_2)
	v_cmp_eq_u64_e64 s10, 0, v[0:1]
	v_and_or_b32 v0, v0, 3, v4
	s_and_b32 s10, s11, s10
	s_delay_alu instid0(VALU_DEP_1) | instid1(SALU_CYCLE_1)
	v_cndmask_b32_e64 v0, v0, 0, s10
	s_delay_alu instid0(VALU_DEP_1)
	v_or_b32_e32 v14, v0, v8
.LBB6_3033:                             ;   in Loop: Header=BB6_2695 Depth=2
	s_or_b32 exec_lo, exec_lo, s29
                                        ; implicit-def: $vgpr8
.LBB6_3034:                             ;   in Loop: Header=BB6_2695 Depth=2
	s_and_not1_saveexec_b32 s10, s28
; %bb.3035:                             ;   in Loop: Header=BB6_2695 Depth=2
	v_or_b32_e32 v14, 0x7b, v8
; %bb.3036:                             ;   in Loop: Header=BB6_2695 Depth=2
	s_or_b32 exec_lo, exec_lo, s10
                                        ; implicit-def: $vgpr0
                                        ; implicit-def: $vgpr1
.LBB6_3037:                             ;   in Loop: Header=BB6_2695 Depth=2
	s_and_not1_saveexec_b32 s11, s27
	s_cbranch_execz .LBB6_3043
; %bb.3038:                             ;   in Loop: Header=BB6_2695 Depth=2
	v_cmp_ne_u64_e64 s10, 0, v[4:5]
                                        ; implicit-def: $vgpr14
	s_and_saveexec_b32 s27, s10
	s_delay_alu instid0(SALU_CYCLE_1)
	s_xor_b32 s10, exec_lo, s27
; %bb.3039:                             ;   in Loop: Header=BB6_2695 Depth=2
	v_or_b32_e32 v14, 0x7f, v1
                                        ; implicit-def: $vgpr0
; %bb.3040:                             ;   in Loop: Header=BB6_2695 Depth=2
	s_and_not1_saveexec_b32 s27, s10
; %bb.3041:                             ;   in Loop: Header=BB6_2695 Depth=2
	v_cmp_lt_i32_e64 s10, -1, v0
	s_delay_alu instid0(VALU_DEP_1)
	v_cndmask_b32_e64 v14, 0xfc, v108, s10
; %bb.3042:                             ;   in Loop: Header=BB6_2695 Depth=2
	s_or_b32 exec_lo, exec_lo, s27
.LBB6_3043:                             ;   in Loop: Header=BB6_2695 Depth=2
	s_delay_alu instid0(SALU_CYCLE_1) | instskip(SKIP_2) | instid1(VALU_DEP_1)
	s_or_b32 exec_lo, exec_lo, s11
	v_dual_mov_b32 v1, 0 :: v_dual_lshrrev_b32 v0, 16, v16
	s_mov_b32 s11, exec_lo
	v_and_b32_e32 v4, 0xff, v0
	s_delay_alu instid0(VALU_DEP_1)
	v_cmpx_ne_u16_e32 0, v4
	s_cbranch_execz .LBB6_3053
; %bb.3044:                             ;   in Loop: Header=BB6_2695 Depth=2
	v_bfrev_b32_e32 v1, 1
	s_mov_b32 s27, exec_lo
	v_cmpx_ne_u16_e32 0x80, v4
	s_cbranch_execz .LBB6_3052
; %bb.3045:                             ;   in Loop: Header=BB6_2695 Depth=2
	v_and_b32_e32 v1, 0x7c0000, v16
	v_bfe_u32 v4, v16, 16, 2
	s_delay_alu instid0(VALU_DEP_2) | instskip(SKIP_1) | instid1(SALU_CYCLE_1)
	v_cmp_ne_u32_e64 s10, 0x7c0000, v1
                                        ; implicit-def: $vgpr1
	s_and_saveexec_b32 s28, s10
	s_xor_b32 s28, exec_lo, s28
	s_cbranch_execz .LBB6_3049
; %bb.3046:                             ;   in Loop: Header=BB6_2695 Depth=2
	v_bfe_u32 v1, v16, 18, 5
	s_mov_b32 s29, exec_lo
	s_delay_alu instid0(VALU_DEP_1)
	v_cmpx_eq_u32_e32 0, v1
; %bb.3047:                             ;   in Loop: Header=BB6_2695 Depth=2
	v_clz_i32_u32_e32 v1, v4
	s_delay_alu instid0(VALU_DEP_1) | instskip(NEXT) | instid1(VALU_DEP_1)
	v_min_u32_e32 v1, 32, v1
	v_subrev_nc_u32_e32 v4, 29, v1
	s_delay_alu instid0(VALU_DEP_1) | instskip(NEXT) | instid1(VALU_DEP_1)
	v_lshlrev_b64_e32 v[6:7], v4, v[0:1]
	v_dual_sub_nc_u32 v1, 30, v1 :: v_dual_bitop2_b32 v4, 3, v6 bitop3:0x40
; %bb.3048:                             ;   in Loop: Header=BB6_2695 Depth=2
	s_or_b32 exec_lo, exec_lo, s29
	v_lshlrev_b32_e32 v0, 24, v0
	s_delay_alu instid0(VALU_DEP_1) | instskip(NEXT) | instid1(VALU_DEP_1)
	v_and_b32_e32 v0, 0x80000000, v0
	v_lshl_add_u32 v0, v1, 23, v0
	s_delay_alu instid0(VALU_DEP_1) | instskip(NEXT) | instid1(VALU_DEP_1)
	v_lshl_or_b32 v0, v4, 21, v0
                                        ; implicit-def: $vgpr4
	v_add_nc_u32_e32 v1, 0x38000000, v0
                                        ; implicit-def: $vgpr0
.LBB6_3049:                             ;   in Loop: Header=BB6_2695 Depth=2
	s_and_not1_saveexec_b32 s28, s28
; %bb.3050:                             ;   in Loop: Header=BB6_2695 Depth=2
	v_bfe_i32 v0, v0, 0, 8
	s_delay_alu instid0(VALU_DEP_1) | instskip(NEXT) | instid1(VALU_DEP_1)
	v_cmp_lt_i16_e64 s10, -1, v0
	v_cndmask_b32_e64 v0, 0xff800000, v109, s10
	v_cmp_eq_u32_e64 s10, 0, v4
	s_delay_alu instid0(VALU_DEP_1)
	v_cndmask_b32_e64 v1, 0x7f800001, v0, s10
; %bb.3051:                             ;   in Loop: Header=BB6_2695 Depth=2
	s_or_b32 exec_lo, exec_lo, s28
.LBB6_3052:                             ;   in Loop: Header=BB6_2695 Depth=2
	s_delay_alu instid0(SALU_CYCLE_1)
	s_or_b32 exec_lo, exec_lo, s27
.LBB6_3053:                             ;   in Loop: Header=BB6_2695 Depth=2
	s_delay_alu instid0(SALU_CYCLE_1) | instskip(SKIP_3) | instid1(VALU_DEP_1)
	s_or_b32 exec_lo, exec_lo, s11
	v_lshrrev_b32_e32 v0, 16, v12
	s_mov_b32 s27, 0
	s_mov_b32 s11, exec_lo
	v_and_b32_e32 v6, 0xff, v0
	s_delay_alu instid0(VALU_DEP_1)
	v_cmpx_lt_i16_e32 0x7f, v6
	s_xor_b32 s11, exec_lo, s11
	s_cbranch_execz .LBB6_3262
; %bb.3054:                             ;   in Loop: Header=BB6_2695 Depth=2
	s_mov_b32 s27, -1
	s_mov_b32 s28, exec_lo
	v_cmpx_eq_u16_e32 0x80, v6
; %bb.3055:                             ;   in Loop: Header=BB6_2695 Depth=2
	s_xor_b32 s27, exec_lo, -1
; %bb.3056:                             ;   in Loop: Header=BB6_2695 Depth=2
	s_or_b32 exec_lo, exec_lo, s28
	s_delay_alu instid0(SALU_CYCLE_1)
	s_and_b32 s27, s27, exec_lo
                                        ; implicit-def: $vgpr6
	s_or_saveexec_b32 s11, s11
	v_bfrev_b32_e32 v4, 1
	s_xor_b32 exec_lo, exec_lo, s11
	s_cbranch_execnz .LBB6_3263
.LBB6_3057:                             ;   in Loop: Header=BB6_2695 Depth=2
	s_or_b32 exec_lo, exec_lo, s11
	s_and_saveexec_b32 s11, s27
	s_cbranch_execz .LBB6_3059
.LBB6_3058:                             ;   in Loop: Header=BB6_2695 Depth=2
	v_and_b32_e32 v4, 3, v0
	v_bfe_u32 v9, v12, 18, 5
	s_delay_alu instid0(VALU_DEP_2) | instskip(NEXT) | instid1(VALU_DEP_2)
	v_clz_i32_u32_e32 v6, v4
	v_cmp_eq_u32_e64 s10, 0, v9
	s_delay_alu instid0(VALU_DEP_2) | instskip(NEXT) | instid1(VALU_DEP_1)
	v_min_u32_e32 v8, 32, v6
	v_subrev_nc_u32_e32 v6, 29, v8
	s_delay_alu instid0(VALU_DEP_1) | instskip(SKIP_3) | instid1(VALU_DEP_3)
	v_lshlrev_b64_e32 v[6:7], v6, v[0:1]
	v_lshlrev_b32_e32 v7, 24, v0
	v_sub_nc_u32_e32 v8, 30, v8
	v_bfe_i32 v0, v0, 0, 8
	v_and_b32_e32 v7, 0x80000000, v7
	s_delay_alu instid0(VALU_DEP_3) | instskip(NEXT) | instid1(VALU_DEP_1)
	v_dual_cndmask_b32 v8, v9, v8, s10 :: v_dual_bitop2_b32 v6, 3, v6 bitop3:0x40
	v_cndmask_b32_e64 v6, v4, v6, s10
	s_delay_alu instid0(VALU_DEP_2) | instskip(SKIP_1) | instid1(VALU_DEP_2)
	v_lshl_add_u32 v7, v8, 23, v7
	v_cmp_lt_i16_e64 s10, -1, v0
	v_lshl_or_b32 v6, v6, 21, v7
	s_delay_alu instid0(VALU_DEP_2) | instskip(SKIP_2) | instid1(VALU_DEP_4)
	v_cndmask_b32_e64 v0, 0xff800000, v109, s10
	v_and_b32_e32 v7, 0x7c0000, v12
	v_cmp_eq_u32_e64 s10, 0, v4
	v_add_nc_u32_e32 v4, 0x38000000, v6
	s_delay_alu instid0(VALU_DEP_2) | instskip(NEXT) | instid1(VALU_DEP_4)
	v_cndmask_b32_e64 v0, 0x7f800001, v0, s10
	v_cmp_eq_u32_e64 s10, 0x7c0000, v7
	s_delay_alu instid0(VALU_DEP_1)
	v_cndmask_b32_e64 v4, v4, v0, s10
.LBB6_3059:                             ;   in Loop: Header=BB6_2695 Depth=2
	s_or_b32 exec_lo, exec_lo, s11
	s_delay_alu instid0(VALU_DEP_1) | instskip(SKIP_2) | instid1(VALU_DEP_2)
	v_mul_f32_e32 v0, v1, v4
	v_mov_b32_e32 v7, v5
                                        ; implicit-def: $vgpr15
	s_mov_b32 s11, exec_lo
	v_and_b32_e32 v6, 0x7f800000, v0
	v_and_b32_e32 v4, 0x7fffff, v0
	v_lshrrev_b32_e32 v1, 24, v0
	s_delay_alu instid0(VALU_DEP_3)
	v_cmpx_ne_u64_e32 0x7f800000, v[6:7]
	s_xor_b32 s27, exec_lo, s11
	s_cbranch_execz .LBB6_3073
; %bb.3060:                             ;   in Loop: Header=BB6_2695 Depth=2
	v_and_b32_e32 v6, 0x7fffffff, v0
	v_mov_b32_e32 v7, v5
	v_and_b32_e32 v8, 0x80, v1
                                        ; implicit-def: $vgpr15
	s_mov_b32 s11, exec_lo
	s_delay_alu instid0(VALU_DEP_2)
	v_cmpx_gt_u64_e32 0x47600001, v[6:7]
	s_xor_b32 s28, exec_lo, s11
	s_cbranch_execz .LBB6_3070
; %bb.3061:                             ;   in Loop: Header=BB6_2695 Depth=2
	v_mov_b32_e32 v15, 0
	s_mov_b32 s29, exec_lo
	v_cmpx_ne_u32_e32 0, v0
	s_cbranch_execz .LBB6_3069
; %bb.3062:                             ;   in Loop: Header=BB6_2695 Depth=2
	v_bfe_u32 v9, v0, 23, 8
	v_or_b32_e32 v6, 0x800000, v4
	s_mov_b32 s40, exec_lo
	s_delay_alu instid0(VALU_DEP_2) | instskip(SKIP_1) | instid1(VALU_DEP_1)
	v_dual_mov_b32 v7, v5 :: v_dual_sub_nc_u32 v0, 0x71, v9
	v_cmp_gt_u32_e64 s10, 0x72, v9
	v_cndmask_b32_e64 v0, 0, v0, s10
	v_cmp_eq_u32_e64 s10, 0, v9
	s_delay_alu instid0(VALU_DEP_1) | instskip(NEXT) | instid1(VALU_DEP_1)
	v_cndmask_b32_e64 v15, v0, 0x70, s10
	v_dual_cndmask_b32 v6, v6, v4, s10 :: v_dual_add_nc_u32 v0, 21, v15
	v_add_nc_u32_e32 v33, 20, v15
	s_delay_alu instid0(VALU_DEP_2) | instskip(NEXT) | instid1(VALU_DEP_2)
	v_lshlrev_b64_e64 v[0:1], v0, -1
	v_lshlrev_b64_e64 v[34:35], v33, 1
	s_delay_alu instid0(VALU_DEP_2) | instskip(NEXT) | instid1(VALU_DEP_3)
	v_bfi_b32 v37, v1, 0, 0
	v_bfi_b32 v36, v0, 0, v6
	v_lshrrev_b64 v[0:1], v15, v[6:7]
	s_delay_alu instid0(VALU_DEP_1) | instskip(NEXT) | instid1(VALU_DEP_3)
	v_mov_b64_e32 v[6:7], v[0:1]
	v_cmpx_eq_u64_e64 v[36:37], v[34:35]
; %bb.3063:                             ;   in Loop: Header=BB6_2695 Depth=2
	v_bfe_u32 v6, v0, 21, 1
	v_mov_b32_e32 v7, v5
	s_delay_alu instid0(VALU_DEP_1) | instskip(NEXT) | instid1(VALU_DEP_1)
	v_add_nc_u64_e32 v[6:7], v[0:1], v[6:7]
	v_add_nc_u64_e32 v[6:7], -1, v[6:7]
; %bb.3064:                             ;   in Loop: Header=BB6_2695 Depth=2
	s_or_b32 exec_lo, exec_lo, s40
	v_add_nc_u32_e32 v1, 0xffffff81, v9
	v_lshrrev_b32_e32 v4, 23, v0
	s_mov_b32 s11, exec_lo
	s_delay_alu instid0(VALU_DEP_2) | instskip(NEXT) | instid1(VALU_DEP_1)
	v_cndmask_b32_e64 v1, v1, 0xffffff82, s10
	v_add3_u32 v7, v15, v1, v4
	v_and_b32_e32 v1, 0x1fffff, v6
                                        ; implicit-def: $vgpr6
	s_delay_alu instid0(VALU_DEP_1) | instskip(NEXT) | instid1(VALU_DEP_1)
	v_dual_add_nc_u32 v9, 14, v7 :: v_dual_add_nc_u32 v4, v1, v0
                                        ; implicit-def: $vgpr0_vgpr1
	v_cmpx_ne_u32_e32 0, v9
	s_xor_b32 s11, exec_lo, s11
; %bb.3065:                             ;   in Loop: Header=BB6_2695 Depth=2
	s_delay_alu instid0(VALU_DEP_2) | instskip(SKIP_1) | instid1(VALU_DEP_1)
	v_cmp_lt_u64_e64 s10, 0xffffff, v[4:5]
	v_add_nc_u32_e32 v0, 15, v7
	v_cndmask_b32_e64 v6, v9, v0, s10
	v_cndmask_b32_e64 v0, 0, 1, s10
	s_delay_alu instid0(VALU_DEP_1)
	v_lshrrev_b64 v[0:1], v0, v[4:5]
; %bb.3066:                             ;   in Loop: Header=BB6_2695 Depth=2
	s_and_not1_saveexec_b32 s10, s11
; %bb.3067:                             ;   in Loop: Header=BB6_2695 Depth=2
	v_mov_b64_e32 v[0:1], v[4:5]
	v_bfe_u32 v6, v4, 23, 1
; %bb.3068:                             ;   in Loop: Header=BB6_2695 Depth=2
	s_or_b32 exec_lo, exec_lo, s10
	s_delay_alu instid0(VALU_DEP_2) | instskip(NEXT) | instid1(VALU_DEP_2)
	v_lshrrev_b64 v[0:1], 21, v[0:1]
	v_cmp_gt_i32_e64 s10, 32, v6
	v_min_i32_e32 v4, 31, v6
	v_cmp_eq_u32_e64 s11, 0, v6
	s_delay_alu instid0(VALU_DEP_2) | instskip(SKIP_1) | instid1(VALU_DEP_2)
	v_dual_cndmask_b32 v1, 0, v1, s10 :: v_dual_lshlrev_b32 v4, 2, v4
	v_cndmask_b32_e64 v0, 3, v0, s10
	v_and_b32_e32 v4, 0xfc, v4
	s_delay_alu instid0(VALU_DEP_2) | instskip(NEXT) | instid1(VALU_DEP_2)
	v_cmp_eq_u64_e64 s10, 0, v[0:1]
	v_and_or_b32 v0, v0, 3, v4
	s_and_b32 s10, s11, s10
	s_delay_alu instid0(VALU_DEP_1) | instid1(SALU_CYCLE_1)
	v_cndmask_b32_e64 v0, v0, 0, s10
	s_delay_alu instid0(VALU_DEP_1)
	v_or_b32_e32 v15, v0, v8
.LBB6_3069:                             ;   in Loop: Header=BB6_2695 Depth=2
	s_or_b32 exec_lo, exec_lo, s29
                                        ; implicit-def: $vgpr8
.LBB6_3070:                             ;   in Loop: Header=BB6_2695 Depth=2
	s_and_not1_saveexec_b32 s10, s28
; %bb.3071:                             ;   in Loop: Header=BB6_2695 Depth=2
	v_or_b32_e32 v15, 0x7b, v8
; %bb.3072:                             ;   in Loop: Header=BB6_2695 Depth=2
	s_or_b32 exec_lo, exec_lo, s10
                                        ; implicit-def: $vgpr0
                                        ; implicit-def: $vgpr1
.LBB6_3073:                             ;   in Loop: Header=BB6_2695 Depth=2
	s_and_not1_saveexec_b32 s11, s27
	s_cbranch_execz .LBB6_3079
; %bb.3074:                             ;   in Loop: Header=BB6_2695 Depth=2
	v_cmp_ne_u64_e64 s10, 0, v[4:5]
                                        ; implicit-def: $vgpr15
	s_and_saveexec_b32 s27, s10
	s_delay_alu instid0(SALU_CYCLE_1)
	s_xor_b32 s10, exec_lo, s27
; %bb.3075:                             ;   in Loop: Header=BB6_2695 Depth=2
	v_or_b32_e32 v15, 0x7f, v1
                                        ; implicit-def: $vgpr0
; %bb.3076:                             ;   in Loop: Header=BB6_2695 Depth=2
	s_and_not1_saveexec_b32 s27, s10
; %bb.3077:                             ;   in Loop: Header=BB6_2695 Depth=2
	v_cmp_lt_i32_e64 s10, -1, v0
	s_delay_alu instid0(VALU_DEP_1)
	v_cndmask_b32_e64 v15, 0xfc, v108, s10
; %bb.3078:                             ;   in Loop: Header=BB6_2695 Depth=2
	s_or_b32 exec_lo, exec_lo, s27
.LBB6_3079:                             ;   in Loop: Header=BB6_2695 Depth=2
	s_delay_alu instid0(SALU_CYCLE_1)
	s_or_b32 exec_lo, exec_lo, s11
	v_mov_b32_e32 v1, 0
	s_mov_b32 s11, exec_lo
	v_cmpx_lt_u32_e32 0xffffff, v16
	s_cbranch_execz .LBB6_3089
; %bb.3080:                             ;   in Loop: Header=BB6_2695 Depth=2
	v_lshrrev_b32_e32 v0, 24, v16
	v_bfrev_b32_e32 v1, 1
	s_mov_b32 s27, exec_lo
	s_delay_alu instid0(VALU_DEP_2)
	v_cmpx_ne_u32_e32 0x80, v0
	s_cbranch_execz .LBB6_3088
; %bb.3081:                             ;   in Loop: Header=BB6_2695 Depth=2
	v_and_b32_e32 v1, 0x7c000000, v16
	v_bfe_u32 v4, v16, 24, 2
	s_delay_alu instid0(VALU_DEP_2) | instskip(SKIP_1) | instid1(SALU_CYCLE_1)
	v_cmp_ne_u32_e64 s10, 0x7c000000, v1
                                        ; implicit-def: $vgpr1
	s_and_saveexec_b32 s28, s10
	s_xor_b32 s28, exec_lo, s28
	s_cbranch_execz .LBB6_3085
; %bb.3082:                             ;   in Loop: Header=BB6_2695 Depth=2
	v_bfe_u32 v1, v16, 26, 5
	s_mov_b32 s29, exec_lo
	s_delay_alu instid0(VALU_DEP_1)
	v_cmpx_eq_u32_e32 0, v1
; %bb.3083:                             ;   in Loop: Header=BB6_2695 Depth=2
	v_clz_i32_u32_e32 v1, v4
	s_delay_alu instid0(VALU_DEP_1) | instskip(NEXT) | instid1(VALU_DEP_1)
	v_min_u32_e32 v4, 32, v1
	v_subrev_nc_u32_e32 v1, 29, v4
	s_delay_alu instid0(VALU_DEP_1) | instskip(SKIP_1) | instid1(VALU_DEP_2)
	v_lshlrev_b64_e32 v[0:1], v1, v[0:1]
	v_sub_nc_u32_e32 v1, 30, v4
	v_and_b32_e32 v4, 3, v0
; %bb.3084:                             ;   in Loop: Header=BB6_2695 Depth=2
	s_or_b32 exec_lo, exec_lo, s29
	v_and_b32_e32 v0, 0x80000000, v16
	s_delay_alu instid0(VALU_DEP_1) | instskip(NEXT) | instid1(VALU_DEP_1)
	v_lshl_add_u32 v0, v1, 23, v0
	v_lshl_or_b32 v0, v4, 21, v0
                                        ; implicit-def: $vgpr4
	s_delay_alu instid0(VALU_DEP_1)
	v_add_nc_u32_e32 v1, 0x38000000, v0
.LBB6_3085:                             ;   in Loop: Header=BB6_2695 Depth=2
	s_and_not1_saveexec_b32 s28, s28
; %bb.3086:                             ;   in Loop: Header=BB6_2695 Depth=2
	v_cmp_lt_i32_e64 s10, -1, v16
	s_delay_alu instid0(VALU_DEP_1) | instskip(SKIP_1) | instid1(VALU_DEP_1)
	v_cndmask_b32_e64 v0, 0xff800000, v109, s10
	v_cmp_eq_u32_e64 s10, 0, v4
	v_cndmask_b32_e64 v1, 0x7f800001, v0, s10
; %bb.3087:                             ;   in Loop: Header=BB6_2695 Depth=2
	s_or_b32 exec_lo, exec_lo, s28
.LBB6_3088:                             ;   in Loop: Header=BB6_2695 Depth=2
	s_delay_alu instid0(SALU_CYCLE_1)
	s_or_b32 exec_lo, exec_lo, s27
.LBB6_3089:                             ;   in Loop: Header=BB6_2695 Depth=2
	s_delay_alu instid0(SALU_CYCLE_1) | instskip(SKIP_3) | instid1(VALU_DEP_2)
	s_or_b32 exec_lo, exec_lo, s11
	v_bfe_u32 v4, v12, 24, 2
	v_bfe_u32 v9, v12, 26, 5
                                        ; implicit-def: $vgpr33
	s_mov_b32 s11, exec_lo
	v_clz_i32_u32_e32 v0, v4
	s_delay_alu instid0(VALU_DEP_2) | instskip(NEXT) | instid1(VALU_DEP_2)
	v_cmp_eq_u32_e64 s10, 0, v9
	v_min_u32_e32 v8, 32, v0
	v_lshrrev_b32_e32 v0, 24, v12
	s_delay_alu instid0(VALU_DEP_2) | instskip(NEXT) | instid1(VALU_DEP_1)
	v_subrev_nc_u32_e32 v6, 29, v8
	v_lshlrev_b64_e32 v[6:7], v6, v[0:1]
	v_sub_nc_u32_e32 v7, 30, v8
	v_and_b32_e32 v8, 0x80000000, v12
	s_delay_alu instid0(VALU_DEP_2) | instskip(NEXT) | instid1(VALU_DEP_1)
	v_dual_cndmask_b32 v7, v9, v7, s10 :: v_dual_bitop2_b32 v6, 3, v6 bitop3:0x40
	v_cndmask_b32_e64 v6, v4, v6, s10
	s_delay_alu instid0(VALU_DEP_2) | instskip(SKIP_1) | instid1(VALU_DEP_2)
	v_lshl_add_u32 v7, v7, 23, v8
	v_cmp_lt_i32_e64 s10, -1, v12
	v_lshl_or_b32 v6, v6, 21, v7
	s_delay_alu instid0(VALU_DEP_2) | instskip(SKIP_2) | instid1(VALU_DEP_4)
	v_cndmask_b32_e64 v8, 0xff800000, v109, s10
	v_and_b32_e32 v7, 0x7c000000, v12
	v_cmp_eq_u32_e64 s10, 0, v4
	v_add_nc_u32_e32 v6, 0x38000000, v6
	s_delay_alu instid0(VALU_DEP_2) | instskip(NEXT) | instid1(VALU_DEP_4)
	v_cndmask_b32_e64 v4, 0x7f800001, v8, s10
	v_cmp_eq_u32_e64 s10, 0x7c000000, v7
	s_delay_alu instid0(VALU_DEP_1) | instskip(SKIP_1) | instid1(VALU_DEP_1)
	v_dual_mov_b32 v7, v5 :: v_dual_cndmask_b32 v4, v6, v4, s10
	v_cmp_ne_u32_e64 s10, 0x80, v0
	v_cndmask_b32_e64 v0, 0x80000000, v4, s10
	v_cmp_lt_u32_e64 s10, 0xffffff, v12
	s_delay_alu instid0(VALU_DEP_1) | instskip(NEXT) | instid1(VALU_DEP_1)
	v_cndmask_b32_e64 v0, 0, v0, s10
	v_mul_f32_e32 v0, v0, v1
	s_delay_alu instid0(VALU_DEP_1) | instskip(SKIP_2) | instid1(VALU_DEP_3)
	v_and_b32_e32 v6, 0x7f800000, v0
	v_and_b32_e32 v4, 0x7fffff, v0
	v_lshrrev_b32_e32 v1, 24, v0
	v_cmpx_ne_u64_e32 0x7f800000, v[6:7]
	s_xor_b32 s27, exec_lo, s11
	s_cbranch_execz .LBB6_3103
; %bb.3090:                             ;   in Loop: Header=BB6_2695 Depth=2
	v_and_b32_e32 v6, 0x7fffffff, v0
	v_mov_b32_e32 v7, v5
	v_and_b32_e32 v8, 0x80, v1
                                        ; implicit-def: $vgpr33
	s_mov_b32 s11, exec_lo
	s_delay_alu instid0(VALU_DEP_2)
	v_cmpx_gt_u64_e32 0x47600001, v[6:7]
	s_xor_b32 s28, exec_lo, s11
	s_cbranch_execz .LBB6_3100
; %bb.3091:                             ;   in Loop: Header=BB6_2695 Depth=2
	v_mov_b32_e32 v33, 0
	s_mov_b32 s29, exec_lo
	v_cmpx_ne_u32_e32 0, v0
	s_cbranch_execz .LBB6_3099
; %bb.3092:                             ;   in Loop: Header=BB6_2695 Depth=2
	v_bfe_u32 v9, v0, 23, 8
	v_or_b32_e32 v6, 0x800000, v4
	s_mov_b32 s40, exec_lo
	s_delay_alu instid0(VALU_DEP_2) | instskip(SKIP_1) | instid1(VALU_DEP_1)
	v_dual_mov_b32 v7, v5 :: v_dual_sub_nc_u32 v0, 0x71, v9
	v_cmp_gt_u32_e64 s10, 0x72, v9
	v_cndmask_b32_e64 v0, 0, v0, s10
	v_cmp_eq_u32_e64 s10, 0, v9
	s_delay_alu instid0(VALU_DEP_1) | instskip(NEXT) | instid1(VALU_DEP_1)
	v_cndmask_b32_e64 v33, v0, 0x70, s10
	v_dual_cndmask_b32 v6, v6, v4, s10 :: v_dual_add_nc_u32 v0, 21, v33
	v_add_nc_u32_e32 v34, 20, v33
	s_delay_alu instid0(VALU_DEP_2) | instskip(NEXT) | instid1(VALU_DEP_2)
	v_lshlrev_b64_e64 v[0:1], v0, -1
	v_lshlrev_b64_e64 v[34:35], v34, 1
	s_delay_alu instid0(VALU_DEP_2) | instskip(NEXT) | instid1(VALU_DEP_3)
	v_bfi_b32 v37, v1, 0, 0
	v_bfi_b32 v36, v0, 0, v6
	v_lshrrev_b64 v[0:1], v33, v[6:7]
	s_delay_alu instid0(VALU_DEP_1) | instskip(NEXT) | instid1(VALU_DEP_3)
	v_mov_b64_e32 v[6:7], v[0:1]
	v_cmpx_eq_u64_e64 v[36:37], v[34:35]
; %bb.3093:                             ;   in Loop: Header=BB6_2695 Depth=2
	v_bfe_u32 v6, v0, 21, 1
	v_mov_b32_e32 v7, v5
	s_delay_alu instid0(VALU_DEP_1) | instskip(NEXT) | instid1(VALU_DEP_1)
	v_add_nc_u64_e32 v[6:7], v[0:1], v[6:7]
	v_add_nc_u64_e32 v[6:7], -1, v[6:7]
; %bb.3094:                             ;   in Loop: Header=BB6_2695 Depth=2
	s_or_b32 exec_lo, exec_lo, s40
	v_add_nc_u32_e32 v1, 0xffffff81, v9
	v_lshrrev_b32_e32 v4, 23, v0
	s_mov_b32 s11, exec_lo
	s_delay_alu instid0(VALU_DEP_2) | instskip(NEXT) | instid1(VALU_DEP_1)
	v_cndmask_b32_e64 v1, v1, 0xffffff82, s10
	v_add3_u32 v7, v33, v1, v4
	v_and_b32_e32 v1, 0x1fffff, v6
                                        ; implicit-def: $vgpr6
	s_delay_alu instid0(VALU_DEP_1) | instskip(NEXT) | instid1(VALU_DEP_1)
	v_dual_add_nc_u32 v9, 14, v7 :: v_dual_add_nc_u32 v4, v1, v0
                                        ; implicit-def: $vgpr0_vgpr1
	v_cmpx_ne_u32_e32 0, v9
	s_xor_b32 s11, exec_lo, s11
; %bb.3095:                             ;   in Loop: Header=BB6_2695 Depth=2
	s_delay_alu instid0(VALU_DEP_2) | instskip(SKIP_1) | instid1(VALU_DEP_1)
	v_cmp_lt_u64_e64 s10, 0xffffff, v[4:5]
	v_add_nc_u32_e32 v0, 15, v7
	v_cndmask_b32_e64 v6, v9, v0, s10
	v_cndmask_b32_e64 v0, 0, 1, s10
	s_delay_alu instid0(VALU_DEP_1)
	v_lshrrev_b64 v[0:1], v0, v[4:5]
; %bb.3096:                             ;   in Loop: Header=BB6_2695 Depth=2
	s_and_not1_saveexec_b32 s10, s11
; %bb.3097:                             ;   in Loop: Header=BB6_2695 Depth=2
	v_mov_b64_e32 v[0:1], v[4:5]
	v_bfe_u32 v6, v4, 23, 1
; %bb.3098:                             ;   in Loop: Header=BB6_2695 Depth=2
	s_or_b32 exec_lo, exec_lo, s10
	s_delay_alu instid0(VALU_DEP_2) | instskip(NEXT) | instid1(VALU_DEP_2)
	v_lshrrev_b64 v[0:1], 21, v[0:1]
	v_cmp_gt_i32_e64 s10, 32, v6
	v_min_i32_e32 v4, 31, v6
	v_cmp_eq_u32_e64 s11, 0, v6
	s_delay_alu instid0(VALU_DEP_2) | instskip(SKIP_1) | instid1(VALU_DEP_2)
	v_dual_cndmask_b32 v1, 0, v1, s10 :: v_dual_lshlrev_b32 v4, 2, v4
	v_cndmask_b32_e64 v0, 3, v0, s10
	v_and_b32_e32 v4, 0xfc, v4
	s_delay_alu instid0(VALU_DEP_2) | instskip(NEXT) | instid1(VALU_DEP_2)
	v_cmp_eq_u64_e64 s10, 0, v[0:1]
	v_and_or_b32 v0, v0, 3, v4
	s_and_b32 s10, s11, s10
	s_delay_alu instid0(VALU_DEP_1) | instid1(SALU_CYCLE_1)
	v_cndmask_b32_e64 v0, v0, 0, s10
	s_delay_alu instid0(VALU_DEP_1)
	v_or_b32_e32 v33, v0, v8
.LBB6_3099:                             ;   in Loop: Header=BB6_2695 Depth=2
	s_or_b32 exec_lo, exec_lo, s29
                                        ; implicit-def: $vgpr8
.LBB6_3100:                             ;   in Loop: Header=BB6_2695 Depth=2
	s_and_not1_saveexec_b32 s10, s28
; %bb.3101:                             ;   in Loop: Header=BB6_2695 Depth=2
	v_or_b32_e32 v33, 0x7b, v8
; %bb.3102:                             ;   in Loop: Header=BB6_2695 Depth=2
	s_or_b32 exec_lo, exec_lo, s10
                                        ; implicit-def: $vgpr0
                                        ; implicit-def: $vgpr1
.LBB6_3103:                             ;   in Loop: Header=BB6_2695 Depth=2
	s_and_not1_saveexec_b32 s11, s27
	s_cbranch_execz .LBB6_3109
; %bb.3104:                             ;   in Loop: Header=BB6_2695 Depth=2
	v_cmp_ne_u64_e64 s10, 0, v[4:5]
                                        ; implicit-def: $vgpr33
	s_and_saveexec_b32 s27, s10
	s_delay_alu instid0(SALU_CYCLE_1)
	s_xor_b32 s10, exec_lo, s27
; %bb.3105:                             ;   in Loop: Header=BB6_2695 Depth=2
	v_or_b32_e32 v33, 0x7f, v1
                                        ; implicit-def: $vgpr0
; %bb.3106:                             ;   in Loop: Header=BB6_2695 Depth=2
	s_and_not1_saveexec_b32 s27, s10
; %bb.3107:                             ;   in Loop: Header=BB6_2695 Depth=2
	v_cmp_lt_i32_e64 s10, -1, v0
	s_delay_alu instid0(VALU_DEP_1)
	v_cndmask_b32_e64 v33, 0xfc, v108, s10
; %bb.3108:                             ;   in Loop: Header=BB6_2695 Depth=2
	s_or_b32 exec_lo, exec_lo, s27
.LBB6_3109:                             ;   in Loop: Header=BB6_2695 Depth=2
	s_delay_alu instid0(SALU_CYCLE_1) | instskip(SKIP_3) | instid1(VALU_DEP_2)
	s_or_b32 exec_lo, exec_lo, s11
	v_and_b32_e32 v0, 0xff, v17
	v_dual_mov_b32 v4, v17 :: v_dual_mov_b32 v6, 0
	s_mov_b32 s11, exec_lo
	v_cmpx_ne_u16_e32 0, v0
	s_cbranch_execz .LBB6_3119
; %bb.3110:                             ;   in Loop: Header=BB6_2695 Depth=2
	v_bfrev_b32_e32 v6, 1
	s_mov_b32 s27, exec_lo
	v_cmpx_ne_u16_e32 0x80, v0
	s_cbranch_execz .LBB6_3118
; %bb.3111:                             ;   in Loop: Header=BB6_2695 Depth=2
	v_and_b32_e32 v1, 0x7c, v17
	v_and_b32_e32 v0, 3, v17
	s_mov_b32 s28, exec_lo
                                        ; implicit-def: $vgpr6
	s_delay_alu instid0(VALU_DEP_2)
	v_cmpx_ne_u32_e32 0x7c, v1
	s_xor_b32 s28, exec_lo, s28
	s_cbranch_execz .LBB6_3115
; %bb.3112:                             ;   in Loop: Header=BB6_2695 Depth=2
	v_bfe_u32 v1, v17, 2, 5
	s_mov_b32 s29, exec_lo
	s_delay_alu instid0(VALU_DEP_1)
	v_cmpx_eq_u32_e32 0, v1
; %bb.3113:                             ;   in Loop: Header=BB6_2695 Depth=2
	v_clz_i32_u32_e32 v0, v0
	s_delay_alu instid0(VALU_DEP_1) | instskip(NEXT) | instid1(VALU_DEP_1)
	v_min_u32_e32 v6, 32, v0
	v_subrev_nc_u32_e32 v0, 29, v6
	s_delay_alu instid0(VALU_DEP_1) | instskip(NEXT) | instid1(VALU_DEP_1)
	v_lshlrev_b64_e32 v[0:1], v0, v[4:5]
	v_dual_sub_nc_u32 v1, 30, v6 :: v_dual_bitop2_b32 v0, 3, v0 bitop3:0x40
; %bb.3114:                             ;   in Loop: Header=BB6_2695 Depth=2
	s_or_b32 exec_lo, exec_lo, s29
	v_lshlrev_b32_e32 v6, 24, v17
	s_delay_alu instid0(VALU_DEP_1) | instskip(NEXT) | instid1(VALU_DEP_1)
	v_and_b32_e32 v6, 0x80000000, v6
	v_lshl_add_u32 v1, v1, 23, v6
	s_delay_alu instid0(VALU_DEP_1) | instskip(NEXT) | instid1(VALU_DEP_1)
	v_lshl_or_b32 v0, v0, 21, v1
	v_add_nc_u32_e32 v6, 0x38000000, v0
                                        ; implicit-def: $vgpr0
.LBB6_3115:                             ;   in Loop: Header=BB6_2695 Depth=2
	s_and_not1_saveexec_b32 s28, s28
; %bb.3116:                             ;   in Loop: Header=BB6_2695 Depth=2
	v_bfe_i32 v1, v17, 0, 8
	s_delay_alu instid0(VALU_DEP_1) | instskip(NEXT) | instid1(VALU_DEP_1)
	v_cmp_lt_i16_e64 s10, -1, v1
	v_cndmask_b32_e64 v1, 0xff800000, v109, s10
	v_cmp_eq_u32_e64 s10, 0, v0
	s_delay_alu instid0(VALU_DEP_1)
	v_cndmask_b32_e64 v6, 0x7f800001, v1, s10
; %bb.3117:                             ;   in Loop: Header=BB6_2695 Depth=2
	s_or_b32 exec_lo, exec_lo, s28
.LBB6_3118:                             ;   in Loop: Header=BB6_2695 Depth=2
	s_delay_alu instid0(SALU_CYCLE_1)
	s_or_b32 exec_lo, exec_lo, s27
.LBB6_3119:                             ;   in Loop: Header=BB6_2695 Depth=2
	s_delay_alu instid0(SALU_CYCLE_1) | instskip(SKIP_4) | instid1(VALU_DEP_2)
	s_or_b32 exec_lo, exec_lo, s11
	v_and_b32_e32 v1, 0xff, v13
	v_mov_b32_e32 v0, v13
	s_mov_b32 s27, 0
	s_mov_b32 s11, exec_lo
	v_cmpx_lt_i16_e32 0x7f, v1
	s_xor_b32 s11, exec_lo, s11
	s_cbranch_execz .LBB6_3264
; %bb.3120:                             ;   in Loop: Header=BB6_2695 Depth=2
	s_mov_b32 s27, -1
	s_mov_b32 s28, exec_lo
	v_cmpx_eq_u16_e32 0x80, v1
; %bb.3121:                             ;   in Loop: Header=BB6_2695 Depth=2
	s_xor_b32 s27, exec_lo, -1
; %bb.3122:                             ;   in Loop: Header=BB6_2695 Depth=2
	s_or_b32 exec_lo, exec_lo, s28
	s_delay_alu instid0(SALU_CYCLE_1)
	s_and_b32 s27, s27, exec_lo
                                        ; implicit-def: $vgpr1
	s_or_saveexec_b32 s11, s11
	v_bfrev_b32_e32 v7, 1
	s_xor_b32 exec_lo, exec_lo, s11
	s_cbranch_execnz .LBB6_3265
.LBB6_3123:                             ;   in Loop: Header=BB6_2695 Depth=2
	s_or_b32 exec_lo, exec_lo, s11
	v_mov_b32_e32 v1, v5
	s_and_saveexec_b32 s11, s27
	s_cbranch_execz .LBB6_3125
.LBB6_3124:                             ;   in Loop: Header=BB6_2695 Depth=2
	v_and_b32_e32 v7, 3, v13
	s_delay_alu instid0(VALU_DEP_1) | instskip(NEXT) | instid1(VALU_DEP_1)
	v_clz_i32_u32_e32 v8, v7
	v_min_u32_e32 v34, 32, v8
	s_delay_alu instid0(VALU_DEP_1) | instskip(NEXT) | instid1(VALU_DEP_1)
	v_subrev_nc_u32_e32 v8, 29, v34
	v_lshlrev_b64_e32 v[8:9], v8, v[0:1]
	v_bfe_u32 v9, v13, 2, 5
	v_dual_lshlrev_b32 v1, 24, v13 :: v_dual_sub_nc_u32 v34, 30, v34
	s_delay_alu instid0(VALU_DEP_2) | instskip(NEXT) | instid1(VALU_DEP_2)
	v_cmp_eq_u32_e64 s10, 0, v9
	v_and_b32_e32 v1, 0x80000000, v1
	s_delay_alu instid0(VALU_DEP_2) | instskip(SKIP_1) | instid1(VALU_DEP_2)
	v_dual_cndmask_b32 v9, v9, v34, s10 :: v_dual_bitop2_b32 v8, 3, v8 bitop3:0x40
	v_bfe_i32 v34, v13, 0, 8
	v_cndmask_b32_e64 v8, v7, v8, s10
	s_delay_alu instid0(VALU_DEP_3) | instskip(NEXT) | instid1(VALU_DEP_3)
	v_lshl_add_u32 v1, v9, 23, v1
	v_cmp_lt_i16_e64 s10, -1, v34
	s_delay_alu instid0(VALU_DEP_2) | instskip(NEXT) | instid1(VALU_DEP_2)
	v_lshl_or_b32 v1, v8, 21, v1
	v_cndmask_b32_e64 v9, 0xff800000, v109, s10
	v_and_b32_e32 v8, 0x7c, v13
	v_cmp_eq_u32_e64 s10, 0, v7
	s_delay_alu instid0(VALU_DEP_4) | instskip(NEXT) | instid1(VALU_DEP_2)
	v_add_nc_u32_e32 v1, 0x38000000, v1
	v_cndmask_b32_e64 v7, 0x7f800001, v9, s10
	s_delay_alu instid0(VALU_DEP_4) | instskip(NEXT) | instid1(VALU_DEP_1)
	v_cmp_eq_u32_e64 s10, 0x7c, v8
	v_cndmask_b32_e64 v7, v1, v7, s10
.LBB6_3125:                             ;   in Loop: Header=BB6_2695 Depth=2
	s_or_b32 exec_lo, exec_lo, s11
	s_delay_alu instid0(VALU_DEP_1) | instskip(SKIP_2) | instid1(VALU_DEP_2)
	v_dual_mul_f32 v9, v6, v7 :: v_dual_mov_b32 v35, v5
	v_mov_b32_e32 v7, v5
                                        ; implicit-def: $vgpr8
	s_mov_b32 s11, exec_lo
	v_and_b32_e32 v34, 0x7f800000, v9
	v_and_b32_e32 v6, 0x7fffff, v9
	v_lshrrev_b32_e32 v1, 24, v9
	s_delay_alu instid0(VALU_DEP_3)
	v_cmpx_ne_u64_e32 0x7f800000, v[34:35]
	s_xor_b32 s27, exec_lo, s11
	s_cbranch_execz .LBB6_3139
; %bb.3126:                             ;   in Loop: Header=BB6_2695 Depth=2
	v_and_b32_e32 v34, 0x7fffffff, v9
	v_mov_b32_e32 v35, v5
	v_and_b32_e32 v1, 0x80, v1
                                        ; implicit-def: $vgpr8
	s_mov_b32 s11, exec_lo
	s_delay_alu instid0(VALU_DEP_2)
	v_cmpx_gt_u64_e32 0x47600001, v[34:35]
	s_xor_b32 s28, exec_lo, s11
	s_cbranch_execz .LBB6_3136
; %bb.3127:                             ;   in Loop: Header=BB6_2695 Depth=2
	v_mov_b32_e32 v8, 0
	s_mov_b32 s29, exec_lo
	v_cmpx_ne_u32_e32 0, v9
	s_cbranch_execz .LBB6_3135
; %bb.3128:                             ;   in Loop: Header=BB6_2695 Depth=2
	v_bfe_u32 v34, v9, 23, 8
	v_or_b32_e32 v36, 0x800000, v6
	s_delay_alu instid0(VALU_DEP_2) | instskip(SKIP_1) | instid1(VALU_DEP_1)
	v_sub_nc_u32_e32 v8, 0x71, v34
	v_cmp_gt_u32_e64 s10, 0x72, v34
	v_cndmask_b32_e64 v8, 0, v8, s10
	v_cmp_eq_u32_e64 s10, 0, v34
	s_delay_alu instid0(VALU_DEP_1) | instskip(NEXT) | instid1(VALU_DEP_1)
	v_cndmask_b32_e64 v35, v8, 0x70, s10
	v_dual_cndmask_b32 v6, v36, v6, s10 :: v_dual_add_nc_u32 v8, 21, v35
	v_add_nc_u32_e32 v37, 20, v35
	s_delay_alu instid0(VALU_DEP_2) | instskip(NEXT) | instid1(VALU_DEP_2)
	v_lshlrev_b64_e64 v[8:9], v8, -1
	v_lshlrev_b64_e64 v[36:37], v37, 1
	s_delay_alu instid0(VALU_DEP_2) | instskip(SKIP_1) | instid1(VALU_DEP_4)
	v_bfi_b32 v8, v8, 0, v6
	v_lshrrev_b64 v[6:7], v35, v[6:7]
	v_bfi_b32 v9, v9, 0, 0
	s_delay_alu instid0(VALU_DEP_1) | instskip(NEXT) | instid1(VALU_DEP_3)
	v_cmp_eq_u64_e64 s11, v[8:9], v[36:37]
	v_mov_b64_e32 v[8:9], v[6:7]
	s_and_saveexec_b32 s40, s11
; %bb.3129:                             ;   in Loop: Header=BB6_2695 Depth=2
	v_bfe_u32 v8, v6, 21, 1
	v_mov_b32_e32 v9, v5
	s_delay_alu instid0(VALU_DEP_1) | instskip(NEXT) | instid1(VALU_DEP_1)
	v_add_nc_u64_e32 v[8:9], v[6:7], v[8:9]
	v_add_nc_u64_e32 v[8:9], -1, v[8:9]
; %bb.3130:                             ;   in Loop: Header=BB6_2695 Depth=2
	s_or_b32 exec_lo, exec_lo, s40
	v_add_nc_u32_e32 v7, 0xffffff81, v34
	v_lshrrev_b32_e32 v9, 23, v6
	s_mov_b32 s11, exec_lo
	s_delay_alu instid0(VALU_DEP_2) | instskip(NEXT) | instid1(VALU_DEP_1)
	v_cndmask_b32_e64 v7, v7, 0xffffff82, s10
	v_add3_u32 v9, v35, v7, v9
	v_and_b32_e32 v7, 0x1fffff, v8
                                        ; implicit-def: $vgpr8
	s_delay_alu instid0(VALU_DEP_1) | instskip(SKIP_1) | instid1(VALU_DEP_2)
	v_dual_add_nc_u32 v34, 14, v9 :: v_dual_add_nc_u32 v6, v7, v6
	v_mov_b32_e32 v7, v5
	v_cmpx_ne_u32_e32 0, v34
	s_xor_b32 s11, exec_lo, s11
; %bb.3131:                             ;   in Loop: Header=BB6_2695 Depth=2
	s_delay_alu instid0(VALU_DEP_2) | instskip(SKIP_1) | instid1(VALU_DEP_2)
	v_cmp_lt_u64_e64 s10, 0xffffff, v[6:7]
	v_add_nc_u32_e32 v8, 15, v9
	v_cndmask_b32_e64 v9, 0, 1, s10
	s_delay_alu instid0(VALU_DEP_2) | instskip(NEXT) | instid1(VALU_DEP_2)
	v_cndmask_b32_e64 v8, v34, v8, s10
	v_lshrrev_b64 v[6:7], v9, v[6:7]
; %bb.3132:                             ;   in Loop: Header=BB6_2695 Depth=2
	s_and_not1_saveexec_b32 s10, s11
; %bb.3133:                             ;   in Loop: Header=BB6_2695 Depth=2
	s_delay_alu instid0(VALU_DEP_1)
	v_bfe_u32 v8, v6, 23, 1
; %bb.3134:                             ;   in Loop: Header=BB6_2695 Depth=2
	s_or_b32 exec_lo, exec_lo, s10
	s_delay_alu instid0(VALU_DEP_2) | instskip(NEXT) | instid1(VALU_DEP_2)
	v_lshrrev_b64 v[6:7], 21, v[6:7]
	v_cmp_gt_i32_e64 s10, 32, v8
	v_min_i32_e32 v9, 31, v8
	v_cmp_eq_u32_e64 s11, 0, v8
	s_delay_alu instid0(VALU_DEP_2) | instskip(SKIP_1) | instid1(VALU_DEP_2)
	v_dual_cndmask_b32 v7, 0, v7, s10 :: v_dual_lshlrev_b32 v9, 2, v9
	v_cndmask_b32_e64 v6, 3, v6, s10
	v_and_b32_e32 v9, 0xfc, v9
	s_delay_alu instid0(VALU_DEP_2) | instskip(NEXT) | instid1(VALU_DEP_2)
	v_cmp_eq_u64_e64 s10, 0, v[6:7]
	v_and_or_b32 v6, v6, 3, v9
	s_and_b32 s10, s11, s10
	s_delay_alu instid0(VALU_DEP_1) | instid1(SALU_CYCLE_1)
	v_cndmask_b32_e64 v6, v6, 0, s10
	s_delay_alu instid0(VALU_DEP_1)
	v_or_b32_e32 v8, v6, v1
.LBB6_3135:                             ;   in Loop: Header=BB6_2695 Depth=2
	s_or_b32 exec_lo, exec_lo, s29
                                        ; implicit-def: $vgpr1
.LBB6_3136:                             ;   in Loop: Header=BB6_2695 Depth=2
	s_and_not1_saveexec_b32 s10, s28
; %bb.3137:                             ;   in Loop: Header=BB6_2695 Depth=2
	v_or_b32_e32 v8, 0x7b, v1
; %bb.3138:                             ;   in Loop: Header=BB6_2695 Depth=2
	s_or_b32 exec_lo, exec_lo, s10
                                        ; implicit-def: $vgpr9
                                        ; implicit-def: $vgpr6_vgpr7
                                        ; implicit-def: $vgpr1
.LBB6_3139:                             ;   in Loop: Header=BB6_2695 Depth=2
	s_and_not1_saveexec_b32 s11, s27
	s_cbranch_execz .LBB6_3145
; %bb.3140:                             ;   in Loop: Header=BB6_2695 Depth=2
	v_cmp_ne_u64_e64 s10, 0, v[6:7]
                                        ; implicit-def: $vgpr8
	s_and_saveexec_b32 s27, s10
	s_delay_alu instid0(SALU_CYCLE_1)
	s_xor_b32 s10, exec_lo, s27
; %bb.3141:                             ;   in Loop: Header=BB6_2695 Depth=2
	v_or_b32_e32 v8, 0x7f, v1
                                        ; implicit-def: $vgpr9
; %bb.3142:                             ;   in Loop: Header=BB6_2695 Depth=2
	s_and_not1_saveexec_b32 s27, s10
; %bb.3143:                             ;   in Loop: Header=BB6_2695 Depth=2
	v_cmp_lt_i32_e64 s10, -1, v9
	s_delay_alu instid0(VALU_DEP_1)
	v_cndmask_b32_e64 v8, 0xfc, v108, s10
; %bb.3144:                             ;   in Loop: Header=BB6_2695 Depth=2
	s_or_b32 exec_lo, exec_lo, s27
.LBB6_3145:                             ;   in Loop: Header=BB6_2695 Depth=2
	s_delay_alu instid0(SALU_CYCLE_1) | instskip(SKIP_3) | instid1(VALU_DEP_2)
	s_or_b32 exec_lo, exec_lo, s11
	v_lshrrev_b16 v6, 8, v4
	v_mov_b32_e32 v1, 0
	s_mov_b32 s11, exec_lo
	v_cmpx_ne_u16_e32 0, v6
	s_cbranch_execz .LBB6_3155
; %bb.3146:                             ;   in Loop: Header=BB6_2695 Depth=2
	v_bfrev_b32_e32 v1, 1
	s_mov_b32 s27, exec_lo
	v_cmpx_ne_u16_e32 0x80, v6
	s_cbranch_execz .LBB6_3154
; %bb.3147:                             ;   in Loop: Header=BB6_2695 Depth=2
	v_and_b32_e32 v9, 0xffff, v6
	s_delay_alu instid0(VALU_DEP_1) | instskip(SKIP_1) | instid1(VALU_DEP_2)
	v_and_b32_e32 v1, 0x7c, v9
	v_and_b32_e32 v7, 3, v9
	v_cmp_ne_u32_e64 s10, 0x7c, v1
                                        ; implicit-def: $vgpr1
	s_and_saveexec_b32 s28, s10
	s_delay_alu instid0(SALU_CYCLE_1)
	s_xor_b32 s28, exec_lo, s28
	s_cbranch_execz .LBB6_3151
; %bb.3148:                             ;   in Loop: Header=BB6_2695 Depth=2
	v_bfe_u32 v1, v9, 2, 5
	s_mov_b32 s29, exec_lo
	s_delay_alu instid0(VALU_DEP_1)
	v_cmpx_eq_u32_e32 0, v1
	s_cbranch_execz .LBB6_3150
; %bb.3149:                             ;   in Loop: Header=BB6_2695 Depth=2
	v_clz_i32_u32_e32 v1, v7
	s_delay_alu instid0(VALU_DEP_1) | instskip(SKIP_1) | instid1(VALU_DEP_2)
	v_min_u32_e32 v1, 32, v1
	v_mov_b32_e32 v7, v5
	v_subrev_nc_u32_e32 v9, 29, v1
	v_sub_nc_u32_e32 v1, 30, v1
	s_delay_alu instid0(VALU_DEP_2) | instskip(NEXT) | instid1(VALU_DEP_1)
	v_lshlrev_b64_e32 v[6:7], v9, v[6:7]
	v_and_b32_e32 v7, 3, v6
.LBB6_3150:                             ;   in Loop: Header=BB6_2695 Depth=2
	s_or_b32 exec_lo, exec_lo, s29
	v_lshlrev_b32_e32 v4, 16, v4
	s_delay_alu instid0(VALU_DEP_1) | instskip(NEXT) | instid1(VALU_DEP_1)
	v_and_b32_e32 v4, 0x80000000, v4
	v_lshl_add_u32 v1, v1, 23, v4
	s_delay_alu instid0(VALU_DEP_1) | instskip(NEXT) | instid1(VALU_DEP_1)
	v_lshl_or_b32 v1, v7, 21, v1
                                        ; implicit-def: $vgpr7
	v_add_nc_u32_e32 v1, 0x38000000, v1
.LBB6_3151:                             ;   in Loop: Header=BB6_2695 Depth=2
	s_and_not1_saveexec_b32 s28, s28
; %bb.3152:                             ;   in Loop: Header=BB6_2695 Depth=2
	v_cmp_lt_i16_e64 s10, -1, v4
	s_delay_alu instid0(VALU_DEP_1) | instskip(SKIP_1) | instid1(VALU_DEP_1)
	v_cndmask_b32_e64 v1, 0xff800000, v109, s10
	v_cmp_eq_u32_e64 s10, 0, v7
	v_cndmask_b32_e64 v1, 0x7f800001, v1, s10
; %bb.3153:                             ;   in Loop: Header=BB6_2695 Depth=2
	s_or_b32 exec_lo, exec_lo, s28
.LBB6_3154:                             ;   in Loop: Header=BB6_2695 Depth=2
	s_delay_alu instid0(SALU_CYCLE_1)
	s_or_b32 exec_lo, exec_lo, s27
.LBB6_3155:                             ;   in Loop: Header=BB6_2695 Depth=2
	s_delay_alu instid0(SALU_CYCLE_1) | instskip(SKIP_3) | instid1(VALU_DEP_1)
	s_or_b32 exec_lo, exec_lo, s11
	v_lshrrev_b16 v6, 8, v0
	s_mov_b32 s27, 0
	s_mov_b32 s11, exec_lo
	v_cmpx_lt_i16_e32 0x7f, v6
	s_xor_b32 s11, exec_lo, s11
	s_cbranch_execz .LBB6_3266
; %bb.3156:                             ;   in Loop: Header=BB6_2695 Depth=2
	s_mov_b32 s27, -1
	s_mov_b32 s28, exec_lo
	v_cmpx_eq_u16_e32 0x80, v6
; %bb.3157:                             ;   in Loop: Header=BB6_2695 Depth=2
	s_xor_b32 s27, exec_lo, -1
; %bb.3158:                             ;   in Loop: Header=BB6_2695 Depth=2
	s_or_b32 exec_lo, exec_lo, s28
	s_delay_alu instid0(SALU_CYCLE_1)
	s_and_b32 s27, s27, exec_lo
	s_or_saveexec_b32 s11, s11
	v_bfrev_b32_e32 v4, 1
	s_xor_b32 exec_lo, exec_lo, s11
	s_cbranch_execnz .LBB6_3267
.LBB6_3159:                             ;   in Loop: Header=BB6_2695 Depth=2
	s_or_b32 exec_lo, exec_lo, s11
	s_and_saveexec_b32 s11, s27
	s_cbranch_execz .LBB6_3161
.LBB6_3160:                             ;   in Loop: Header=BB6_2695 Depth=2
	v_and_b32_e32 v4, 0xffff, v6
	s_delay_alu instid0(VALU_DEP_1) | instskip(NEXT) | instid1(VALU_DEP_1)
	v_and_b32_e32 v9, 3, v4
	v_clz_i32_u32_e32 v7, v9
	s_delay_alu instid0(VALU_DEP_1) | instskip(SKIP_1) | instid1(VALU_DEP_2)
	v_min_u32_e32 v36, 32, v7
	v_mov_b32_e32 v7, v5
	v_subrev_nc_u32_e32 v34, 29, v36
	s_delay_alu instid0(VALU_DEP_1) | instskip(SKIP_3) | instid1(VALU_DEP_3)
	v_lshlrev_b64_e32 v[34:35], v34, v[6:7]
	v_bfe_u32 v7, v4, 2, 5
	v_dual_lshlrev_b32 v6, 24, v6 :: v_dual_sub_nc_u32 v35, 30, v36
	v_and_b32_e32 v4, 0x7c, v4
	v_cmp_eq_u32_e64 s10, 0, v7
	s_delay_alu instid0(VALU_DEP_3) | instskip(NEXT) | instid1(VALU_DEP_2)
	v_and_b32_e32 v6, 0x80000000, v6
	v_dual_cndmask_b32 v7, v7, v35, s10 :: v_dual_bitop2_b32 v34, 3, v34 bitop3:0x40
	s_delay_alu instid0(VALU_DEP_1) | instskip(SKIP_1) | instid1(VALU_DEP_3)
	v_cndmask_b32_e64 v34, v9, v34, s10
	v_cmp_lt_i16_e64 s10, -1, v0
	v_lshl_add_u32 v6, v7, 23, v6
	s_delay_alu instid0(VALU_DEP_2) | instskip(SKIP_1) | instid1(VALU_DEP_3)
	v_cndmask_b32_e64 v0, 0xff800000, v109, s10
	v_cmp_eq_u32_e64 s10, 0, v9
	v_lshl_or_b32 v6, v34, 21, v6
	s_delay_alu instid0(VALU_DEP_2) | instskip(NEXT) | instid1(VALU_DEP_2)
	v_cndmask_b32_e64 v0, 0x7f800001, v0, s10
	v_add_nc_u32_e32 v6, 0x38000000, v6
	v_cmp_eq_u32_e64 s10, 0x7c, v4
	s_delay_alu instid0(VALU_DEP_1)
	v_cndmask_b32_e64 v4, v6, v0, s10
.LBB6_3161:                             ;   in Loop: Header=BB6_2695 Depth=2
	s_or_b32 exec_lo, exec_lo, s11
	s_delay_alu instid0(VALU_DEP_1) | instskip(SKIP_2) | instid1(VALU_DEP_2)
	v_mul_f32_e32 v0, v1, v4
	v_mov_b32_e32 v7, v5
                                        ; implicit-def: $vgpr9
	s_mov_b32 s11, exec_lo
	v_and_b32_e32 v6, 0x7f800000, v0
	v_and_b32_e32 v4, 0x7fffff, v0
	v_lshrrev_b32_e32 v1, 24, v0
	s_delay_alu instid0(VALU_DEP_3)
	v_cmpx_ne_u64_e32 0x7f800000, v[6:7]
	s_xor_b32 s27, exec_lo, s11
	s_cbranch_execz .LBB6_3175
; %bb.3162:                             ;   in Loop: Header=BB6_2695 Depth=2
	v_and_b32_e32 v6, 0x7fffffff, v0
	v_mov_b32_e32 v7, v5
	v_and_b32_e32 v34, 0x80, v1
                                        ; implicit-def: $vgpr9
	s_mov_b32 s11, exec_lo
	s_delay_alu instid0(VALU_DEP_2)
	v_cmpx_gt_u64_e32 0x47600001, v[6:7]
	s_xor_b32 s28, exec_lo, s11
	s_cbranch_execz .LBB6_3172
; %bb.3163:                             ;   in Loop: Header=BB6_2695 Depth=2
	v_mov_b32_e32 v9, 0
	s_mov_b32 s29, exec_lo
	v_cmpx_ne_u32_e32 0, v0
	s_cbranch_execz .LBB6_3171
; %bb.3164:                             ;   in Loop: Header=BB6_2695 Depth=2
	v_bfe_u32 v9, v0, 23, 8
	v_or_b32_e32 v6, 0x800000, v4
	s_mov_b32 s40, exec_lo
	s_delay_alu instid0(VALU_DEP_2) | instskip(SKIP_1) | instid1(VALU_DEP_1)
	v_dual_mov_b32 v7, v5 :: v_dual_sub_nc_u32 v0, 0x71, v9
	v_cmp_gt_u32_e64 s10, 0x72, v9
	v_cndmask_b32_e64 v0, 0, v0, s10
	v_cmp_eq_u32_e64 s10, 0, v9
	s_delay_alu instid0(VALU_DEP_1) | instskip(NEXT) | instid1(VALU_DEP_1)
	v_cndmask_b32_e64 v35, v0, 0x70, s10
	v_dual_cndmask_b32 v6, v6, v4, s10 :: v_dual_add_nc_u32 v0, 21, v35
	v_add_nc_u32_e32 v36, 20, v35
	s_delay_alu instid0(VALU_DEP_2) | instskip(NEXT) | instid1(VALU_DEP_2)
	v_lshlrev_b64_e64 v[0:1], v0, -1
	v_lshlrev_b64_e64 v[36:37], v36, 1
	s_delay_alu instid0(VALU_DEP_2) | instskip(NEXT) | instid1(VALU_DEP_3)
	v_bfi_b32 v39, v1, 0, 0
	v_bfi_b32 v38, v0, 0, v6
	v_lshrrev_b64 v[0:1], v35, v[6:7]
	s_delay_alu instid0(VALU_DEP_1) | instskip(NEXT) | instid1(VALU_DEP_3)
	v_mov_b64_e32 v[6:7], v[0:1]
	v_cmpx_eq_u64_e64 v[38:39], v[36:37]
; %bb.3165:                             ;   in Loop: Header=BB6_2695 Depth=2
	v_bfe_u32 v6, v0, 21, 1
	v_mov_b32_e32 v7, v5
	s_delay_alu instid0(VALU_DEP_1) | instskip(NEXT) | instid1(VALU_DEP_1)
	v_add_nc_u64_e32 v[6:7], v[0:1], v[6:7]
	v_add_nc_u64_e32 v[6:7], -1, v[6:7]
; %bb.3166:                             ;   in Loop: Header=BB6_2695 Depth=2
	s_or_b32 exec_lo, exec_lo, s40
	v_add_nc_u32_e32 v1, 0xffffff81, v9
	v_lshrrev_b32_e32 v4, 23, v0
	s_mov_b32 s11, exec_lo
	s_delay_alu instid0(VALU_DEP_2) | instskip(NEXT) | instid1(VALU_DEP_1)
	v_cndmask_b32_e64 v1, v1, 0xffffff82, s10
	v_add3_u32 v7, v35, v1, v4
	v_and_b32_e32 v1, 0x1fffff, v6
                                        ; implicit-def: $vgpr6
	s_delay_alu instid0(VALU_DEP_1) | instskip(NEXT) | instid1(VALU_DEP_1)
	v_dual_add_nc_u32 v9, 14, v7 :: v_dual_add_nc_u32 v4, v1, v0
                                        ; implicit-def: $vgpr0_vgpr1
	v_cmpx_ne_u32_e32 0, v9
	s_xor_b32 s11, exec_lo, s11
; %bb.3167:                             ;   in Loop: Header=BB6_2695 Depth=2
	s_delay_alu instid0(VALU_DEP_2) | instskip(SKIP_1) | instid1(VALU_DEP_1)
	v_cmp_lt_u64_e64 s10, 0xffffff, v[4:5]
	v_add_nc_u32_e32 v0, 15, v7
	v_cndmask_b32_e64 v6, v9, v0, s10
	v_cndmask_b32_e64 v0, 0, 1, s10
	s_delay_alu instid0(VALU_DEP_1)
	v_lshrrev_b64 v[0:1], v0, v[4:5]
; %bb.3168:                             ;   in Loop: Header=BB6_2695 Depth=2
	s_and_not1_saveexec_b32 s10, s11
; %bb.3169:                             ;   in Loop: Header=BB6_2695 Depth=2
	v_mov_b64_e32 v[0:1], v[4:5]
	v_bfe_u32 v6, v4, 23, 1
; %bb.3170:                             ;   in Loop: Header=BB6_2695 Depth=2
	s_or_b32 exec_lo, exec_lo, s10
	s_delay_alu instid0(VALU_DEP_2) | instskip(NEXT) | instid1(VALU_DEP_2)
	v_lshrrev_b64 v[0:1], 21, v[0:1]
	v_cmp_gt_i32_e64 s10, 32, v6
	v_min_i32_e32 v4, 31, v6
	v_cmp_eq_u32_e64 s11, 0, v6
	s_delay_alu instid0(VALU_DEP_2) | instskip(SKIP_1) | instid1(VALU_DEP_2)
	v_dual_cndmask_b32 v1, 0, v1, s10 :: v_dual_lshlrev_b32 v4, 2, v4
	v_cndmask_b32_e64 v0, 3, v0, s10
	v_and_b32_e32 v4, 0xfc, v4
	s_delay_alu instid0(VALU_DEP_2) | instskip(NEXT) | instid1(VALU_DEP_2)
	v_cmp_eq_u64_e64 s10, 0, v[0:1]
	v_and_or_b32 v0, v0, 3, v4
	s_and_b32 s10, s11, s10
	s_delay_alu instid0(VALU_DEP_1) | instid1(SALU_CYCLE_1)
	v_cndmask_b32_e64 v0, v0, 0, s10
	s_delay_alu instid0(VALU_DEP_1)
	v_or_b32_e32 v9, v0, v34
.LBB6_3171:                             ;   in Loop: Header=BB6_2695 Depth=2
	s_or_b32 exec_lo, exec_lo, s29
                                        ; implicit-def: $vgpr34
.LBB6_3172:                             ;   in Loop: Header=BB6_2695 Depth=2
	s_and_not1_saveexec_b32 s10, s28
; %bb.3173:                             ;   in Loop: Header=BB6_2695 Depth=2
	v_or_b32_e32 v9, 0x7b, v34
; %bb.3174:                             ;   in Loop: Header=BB6_2695 Depth=2
	s_or_b32 exec_lo, exec_lo, s10
                                        ; implicit-def: $vgpr0
                                        ; implicit-def: $vgpr1
.LBB6_3175:                             ;   in Loop: Header=BB6_2695 Depth=2
	s_and_not1_saveexec_b32 s11, s27
	s_cbranch_execz .LBB6_3181
; %bb.3176:                             ;   in Loop: Header=BB6_2695 Depth=2
	v_cmp_ne_u64_e64 s10, 0, v[4:5]
                                        ; implicit-def: $vgpr9
	s_and_saveexec_b32 s27, s10
	s_delay_alu instid0(SALU_CYCLE_1)
	s_xor_b32 s10, exec_lo, s27
; %bb.3177:                             ;   in Loop: Header=BB6_2695 Depth=2
	v_or_b32_e32 v9, 0x7f, v1
                                        ; implicit-def: $vgpr0
; %bb.3178:                             ;   in Loop: Header=BB6_2695 Depth=2
	s_and_not1_saveexec_b32 s27, s10
; %bb.3179:                             ;   in Loop: Header=BB6_2695 Depth=2
	v_cmp_lt_i32_e64 s10, -1, v0
	s_delay_alu instid0(VALU_DEP_1)
	v_cndmask_b32_e64 v9, 0xfc, v108, s10
; %bb.3180:                             ;   in Loop: Header=BB6_2695 Depth=2
	s_or_b32 exec_lo, exec_lo, s27
.LBB6_3181:                             ;   in Loop: Header=BB6_2695 Depth=2
	s_delay_alu instid0(SALU_CYCLE_1) | instskip(SKIP_2) | instid1(VALU_DEP_1)
	s_or_b32 exec_lo, exec_lo, s11
	v_dual_mov_b32 v1, 0 :: v_dual_lshrrev_b32 v0, 16, v17
	s_mov_b32 s11, exec_lo
	v_and_b32_e32 v4, 0xff, v0
	s_delay_alu instid0(VALU_DEP_1)
	v_cmpx_ne_u16_e32 0, v4
	s_cbranch_execz .LBB6_3191
; %bb.3182:                             ;   in Loop: Header=BB6_2695 Depth=2
	v_bfrev_b32_e32 v1, 1
	s_mov_b32 s27, exec_lo
	v_cmpx_ne_u16_e32 0x80, v4
	s_cbranch_execz .LBB6_3190
; %bb.3183:                             ;   in Loop: Header=BB6_2695 Depth=2
	v_and_b32_e32 v1, 0x7c0000, v17
	v_bfe_u32 v4, v17, 16, 2
	s_delay_alu instid0(VALU_DEP_2) | instskip(SKIP_1) | instid1(SALU_CYCLE_1)
	v_cmp_ne_u32_e64 s10, 0x7c0000, v1
                                        ; implicit-def: $vgpr1
	s_and_saveexec_b32 s28, s10
	s_xor_b32 s28, exec_lo, s28
	s_cbranch_execz .LBB6_3187
; %bb.3184:                             ;   in Loop: Header=BB6_2695 Depth=2
	v_bfe_u32 v1, v17, 18, 5
	s_mov_b32 s29, exec_lo
	s_delay_alu instid0(VALU_DEP_1)
	v_cmpx_eq_u32_e32 0, v1
; %bb.3185:                             ;   in Loop: Header=BB6_2695 Depth=2
	v_clz_i32_u32_e32 v1, v4
	s_delay_alu instid0(VALU_DEP_1) | instskip(NEXT) | instid1(VALU_DEP_1)
	v_min_u32_e32 v1, 32, v1
	v_subrev_nc_u32_e32 v4, 29, v1
	s_delay_alu instid0(VALU_DEP_1) | instskip(NEXT) | instid1(VALU_DEP_1)
	v_lshlrev_b64_e32 v[6:7], v4, v[0:1]
	v_dual_sub_nc_u32 v1, 30, v1 :: v_dual_bitop2_b32 v4, 3, v6 bitop3:0x40
; %bb.3186:                             ;   in Loop: Header=BB6_2695 Depth=2
	s_or_b32 exec_lo, exec_lo, s29
	v_lshlrev_b32_e32 v0, 24, v0
	s_delay_alu instid0(VALU_DEP_1) | instskip(NEXT) | instid1(VALU_DEP_1)
	v_and_b32_e32 v0, 0x80000000, v0
	v_lshl_add_u32 v0, v1, 23, v0
	s_delay_alu instid0(VALU_DEP_1) | instskip(NEXT) | instid1(VALU_DEP_1)
	v_lshl_or_b32 v0, v4, 21, v0
                                        ; implicit-def: $vgpr4
	v_add_nc_u32_e32 v1, 0x38000000, v0
                                        ; implicit-def: $vgpr0
.LBB6_3187:                             ;   in Loop: Header=BB6_2695 Depth=2
	s_and_not1_saveexec_b32 s28, s28
; %bb.3188:                             ;   in Loop: Header=BB6_2695 Depth=2
	v_bfe_i32 v0, v0, 0, 8
	s_delay_alu instid0(VALU_DEP_1) | instskip(NEXT) | instid1(VALU_DEP_1)
	v_cmp_lt_i16_e64 s10, -1, v0
	v_cndmask_b32_e64 v0, 0xff800000, v109, s10
	v_cmp_eq_u32_e64 s10, 0, v4
	s_delay_alu instid0(VALU_DEP_1)
	v_cndmask_b32_e64 v1, 0x7f800001, v0, s10
; %bb.3189:                             ;   in Loop: Header=BB6_2695 Depth=2
	s_or_b32 exec_lo, exec_lo, s28
.LBB6_3190:                             ;   in Loop: Header=BB6_2695 Depth=2
	s_delay_alu instid0(SALU_CYCLE_1)
	s_or_b32 exec_lo, exec_lo, s27
.LBB6_3191:                             ;   in Loop: Header=BB6_2695 Depth=2
	s_delay_alu instid0(SALU_CYCLE_1) | instskip(SKIP_3) | instid1(VALU_DEP_1)
	s_or_b32 exec_lo, exec_lo, s11
	v_lshrrev_b32_e32 v0, 16, v13
	s_mov_b32 s27, 0
	s_mov_b32 s11, exec_lo
	v_and_b32_e32 v6, 0xff, v0
	s_delay_alu instid0(VALU_DEP_1)
	v_cmpx_lt_i16_e32 0x7f, v6
	s_xor_b32 s11, exec_lo, s11
	s_cbranch_execz .LBB6_3268
; %bb.3192:                             ;   in Loop: Header=BB6_2695 Depth=2
	s_mov_b32 s27, -1
	s_mov_b32 s28, exec_lo
	v_cmpx_eq_u16_e32 0x80, v6
; %bb.3193:                             ;   in Loop: Header=BB6_2695 Depth=2
	s_xor_b32 s27, exec_lo, -1
; %bb.3194:                             ;   in Loop: Header=BB6_2695 Depth=2
	s_or_b32 exec_lo, exec_lo, s28
	s_delay_alu instid0(SALU_CYCLE_1)
	s_and_b32 s27, s27, exec_lo
                                        ; implicit-def: $vgpr6
	s_or_saveexec_b32 s11, s11
	v_bfrev_b32_e32 v4, 1
	s_xor_b32 exec_lo, exec_lo, s11
	s_cbranch_execnz .LBB6_3269
.LBB6_3195:                             ;   in Loop: Header=BB6_2695 Depth=2
	s_or_b32 exec_lo, exec_lo, s11
	s_and_saveexec_b32 s11, s27
	s_cbranch_execz .LBB6_3197
.LBB6_3196:                             ;   in Loop: Header=BB6_2695 Depth=2
	v_and_b32_e32 v4, 3, v0
	v_bfe_u32 v35, v13, 18, 5
	s_delay_alu instid0(VALU_DEP_2) | instskip(NEXT) | instid1(VALU_DEP_2)
	v_clz_i32_u32_e32 v6, v4
	v_cmp_eq_u32_e64 s10, 0, v35
	s_delay_alu instid0(VALU_DEP_2) | instskip(NEXT) | instid1(VALU_DEP_1)
	v_min_u32_e32 v34, 32, v6
	v_subrev_nc_u32_e32 v6, 29, v34
	v_sub_nc_u32_e32 v34, 30, v34
	s_delay_alu instid0(VALU_DEP_2) | instskip(NEXT) | instid1(VALU_DEP_2)
	v_lshlrev_b64_e32 v[6:7], v6, v[0:1]
	v_dual_lshlrev_b32 v7, 24, v0 :: v_dual_cndmask_b32 v34, v35, v34, s10
	v_bfe_i32 v0, v0, 0, 8
	s_delay_alu instid0(VALU_DEP_2) | instskip(NEXT) | instid1(VALU_DEP_4)
	v_and_b32_e32 v7, 0x80000000, v7
	v_and_b32_e32 v6, 3, v6
	s_delay_alu instid0(VALU_DEP_2) | instskip(NEXT) | instid1(VALU_DEP_2)
	v_lshl_add_u32 v7, v34, 23, v7
	v_cndmask_b32_e64 v6, v4, v6, s10
	v_cmp_lt_i16_e64 s10, -1, v0
	s_delay_alu instid0(VALU_DEP_2) | instskip(NEXT) | instid1(VALU_DEP_2)
	v_lshl_or_b32 v6, v6, 21, v7
	v_cndmask_b32_e64 v0, 0xff800000, v109, s10
	v_and_b32_e32 v7, 0x7c0000, v13
	v_cmp_eq_u32_e64 s10, 0, v4
	s_delay_alu instid0(VALU_DEP_4) | instskip(NEXT) | instid1(VALU_DEP_2)
	v_add_nc_u32_e32 v4, 0x38000000, v6
	v_cndmask_b32_e64 v0, 0x7f800001, v0, s10
	s_delay_alu instid0(VALU_DEP_4) | instskip(NEXT) | instid1(VALU_DEP_1)
	v_cmp_eq_u32_e64 s10, 0x7c0000, v7
	v_cndmask_b32_e64 v4, v4, v0, s10
.LBB6_3197:                             ;   in Loop: Header=BB6_2695 Depth=2
	s_or_b32 exec_lo, exec_lo, s11
	s_delay_alu instid0(VALU_DEP_1) | instskip(SKIP_2) | instid1(VALU_DEP_2)
	v_mul_f32_e32 v0, v1, v4
	v_mov_b32_e32 v7, v5
                                        ; implicit-def: $vgpr34
	s_mov_b32 s11, exec_lo
	v_and_b32_e32 v6, 0x7f800000, v0
	v_and_b32_e32 v4, 0x7fffff, v0
	v_lshrrev_b32_e32 v1, 24, v0
	s_delay_alu instid0(VALU_DEP_3)
	v_cmpx_ne_u64_e32 0x7f800000, v[6:7]
	s_xor_b32 s27, exec_lo, s11
	s_cbranch_execz .LBB6_3211
; %bb.3198:                             ;   in Loop: Header=BB6_2695 Depth=2
	v_and_b32_e32 v6, 0x7fffffff, v0
	v_mov_b32_e32 v7, v5
	v_and_b32_e32 v35, 0x80, v1
                                        ; implicit-def: $vgpr34
	s_mov_b32 s11, exec_lo
	s_delay_alu instid0(VALU_DEP_2)
	v_cmpx_gt_u64_e32 0x47600001, v[6:7]
	s_xor_b32 s28, exec_lo, s11
	s_cbranch_execz .LBB6_3208
; %bb.3199:                             ;   in Loop: Header=BB6_2695 Depth=2
	v_mov_b32_e32 v34, 0
	s_mov_b32 s29, exec_lo
	v_cmpx_ne_u32_e32 0, v0
	s_cbranch_execz .LBB6_3207
; %bb.3200:                             ;   in Loop: Header=BB6_2695 Depth=2
	v_bfe_u32 v34, v0, 23, 8
	v_or_b32_e32 v6, 0x800000, v4
	s_mov_b32 s40, exec_lo
	s_delay_alu instid0(VALU_DEP_2) | instskip(SKIP_1) | instid1(VALU_DEP_1)
	v_dual_mov_b32 v7, v5 :: v_dual_sub_nc_u32 v0, 0x71, v34
	v_cmp_gt_u32_e64 s10, 0x72, v34
	v_cndmask_b32_e64 v0, 0, v0, s10
	v_cmp_eq_u32_e64 s10, 0, v34
	s_delay_alu instid0(VALU_DEP_1) | instskip(SKIP_1) | instid1(VALU_DEP_2)
	v_cndmask_b32_e64 v36, v0, 0x70, s10
	v_cndmask_b32_e64 v6, v6, v4, s10
	v_dual_add_nc_u32 v0, 21, v36 :: v_dual_add_nc_u32 v37, 20, v36
	s_delay_alu instid0(VALU_DEP_1) | instskip(NEXT) | instid1(VALU_DEP_2)
	v_lshlrev_b64_e64 v[0:1], v0, -1
	v_lshlrev_b64_e64 v[38:39], v37, 1
	s_delay_alu instid0(VALU_DEP_2) | instskip(NEXT) | instid1(VALU_DEP_3)
	v_bfi_b32 v49, v1, 0, 0
	v_bfi_b32 v48, v0, 0, v6
	v_lshrrev_b64 v[0:1], v36, v[6:7]
	s_delay_alu instid0(VALU_DEP_1) | instskip(NEXT) | instid1(VALU_DEP_3)
	v_mov_b64_e32 v[6:7], v[0:1]
	v_cmpx_eq_u64_e64 v[48:49], v[38:39]
; %bb.3201:                             ;   in Loop: Header=BB6_2695 Depth=2
	v_bfe_u32 v6, v0, 21, 1
	v_mov_b32_e32 v7, v5
	s_delay_alu instid0(VALU_DEP_1) | instskip(NEXT) | instid1(VALU_DEP_1)
	v_add_nc_u64_e32 v[6:7], v[0:1], v[6:7]
	v_add_nc_u64_e32 v[6:7], -1, v[6:7]
; %bb.3202:                             ;   in Loop: Header=BB6_2695 Depth=2
	s_or_b32 exec_lo, exec_lo, s40
	v_add_nc_u32_e32 v1, 0xffffff81, v34
	v_lshrrev_b32_e32 v4, 23, v0
	s_mov_b32 s11, exec_lo
	s_delay_alu instid0(VALU_DEP_2) | instskip(NEXT) | instid1(VALU_DEP_1)
	v_cndmask_b32_e64 v1, v1, 0xffffff82, s10
	v_add3_u32 v7, v36, v1, v4
	v_and_b32_e32 v1, 0x1fffff, v6
                                        ; implicit-def: $vgpr6
	s_delay_alu instid0(VALU_DEP_1) | instskip(NEXT) | instid1(VALU_DEP_1)
	v_dual_add_nc_u32 v34, 14, v7 :: v_dual_add_nc_u32 v4, v1, v0
                                        ; implicit-def: $vgpr0_vgpr1
	v_cmpx_ne_u32_e32 0, v34
	s_xor_b32 s11, exec_lo, s11
; %bb.3203:                             ;   in Loop: Header=BB6_2695 Depth=2
	s_delay_alu instid0(VALU_DEP_2) | instskip(SKIP_1) | instid1(VALU_DEP_1)
	v_cmp_lt_u64_e64 s10, 0xffffff, v[4:5]
	v_add_nc_u32_e32 v0, 15, v7
	v_cndmask_b32_e64 v6, v34, v0, s10
	v_cndmask_b32_e64 v0, 0, 1, s10
	s_delay_alu instid0(VALU_DEP_1)
	v_lshrrev_b64 v[0:1], v0, v[4:5]
; %bb.3204:                             ;   in Loop: Header=BB6_2695 Depth=2
	s_and_not1_saveexec_b32 s10, s11
; %bb.3205:                             ;   in Loop: Header=BB6_2695 Depth=2
	v_mov_b64_e32 v[0:1], v[4:5]
	v_bfe_u32 v6, v4, 23, 1
; %bb.3206:                             ;   in Loop: Header=BB6_2695 Depth=2
	s_or_b32 exec_lo, exec_lo, s10
	s_delay_alu instid0(VALU_DEP_2) | instskip(NEXT) | instid1(VALU_DEP_2)
	v_lshrrev_b64 v[0:1], 21, v[0:1]
	v_cmp_gt_i32_e64 s10, 32, v6
	v_min_i32_e32 v4, 31, v6
	v_cmp_eq_u32_e64 s11, 0, v6
	s_delay_alu instid0(VALU_DEP_2) | instskip(SKIP_1) | instid1(VALU_DEP_2)
	v_dual_cndmask_b32 v1, 0, v1, s10 :: v_dual_lshlrev_b32 v4, 2, v4
	v_cndmask_b32_e64 v0, 3, v0, s10
	v_and_b32_e32 v4, 0xfc, v4
	s_delay_alu instid0(VALU_DEP_2) | instskip(NEXT) | instid1(VALU_DEP_2)
	v_cmp_eq_u64_e64 s10, 0, v[0:1]
	v_and_or_b32 v0, v0, 3, v4
	s_and_b32 s10, s11, s10
	s_delay_alu instid0(VALU_DEP_1) | instid1(SALU_CYCLE_1)
	v_cndmask_b32_e64 v0, v0, 0, s10
	s_delay_alu instid0(VALU_DEP_1)
	v_or_b32_e32 v34, v0, v35
.LBB6_3207:                             ;   in Loop: Header=BB6_2695 Depth=2
	s_or_b32 exec_lo, exec_lo, s29
                                        ; implicit-def: $vgpr35
.LBB6_3208:                             ;   in Loop: Header=BB6_2695 Depth=2
	s_and_not1_saveexec_b32 s10, s28
; %bb.3209:                             ;   in Loop: Header=BB6_2695 Depth=2
	v_or_b32_e32 v34, 0x7b, v35
; %bb.3210:                             ;   in Loop: Header=BB6_2695 Depth=2
	s_or_b32 exec_lo, exec_lo, s10
                                        ; implicit-def: $vgpr0
                                        ; implicit-def: $vgpr1
.LBB6_3211:                             ;   in Loop: Header=BB6_2695 Depth=2
	s_and_not1_saveexec_b32 s11, s27
	s_cbranch_execz .LBB6_3217
; %bb.3212:                             ;   in Loop: Header=BB6_2695 Depth=2
	v_cmp_ne_u64_e64 s10, 0, v[4:5]
                                        ; implicit-def: $vgpr34
	s_and_saveexec_b32 s27, s10
	s_delay_alu instid0(SALU_CYCLE_1)
	s_xor_b32 s10, exec_lo, s27
; %bb.3213:                             ;   in Loop: Header=BB6_2695 Depth=2
	v_or_b32_e32 v34, 0x7f, v1
                                        ; implicit-def: $vgpr0
; %bb.3214:                             ;   in Loop: Header=BB6_2695 Depth=2
	s_and_not1_saveexec_b32 s27, s10
; %bb.3215:                             ;   in Loop: Header=BB6_2695 Depth=2
	v_cmp_lt_i32_e64 s10, -1, v0
	s_delay_alu instid0(VALU_DEP_1)
	v_cndmask_b32_e64 v34, 0xfc, v108, s10
; %bb.3216:                             ;   in Loop: Header=BB6_2695 Depth=2
	s_or_b32 exec_lo, exec_lo, s27
.LBB6_3217:                             ;   in Loop: Header=BB6_2695 Depth=2
	s_delay_alu instid0(SALU_CYCLE_1)
	s_or_b32 exec_lo, exec_lo, s11
	v_mov_b32_e32 v1, 0
	s_mov_b32 s11, exec_lo
	v_cmpx_lt_u64_e64 s[12:13], v[16:17]
	s_cbranch_execz .LBB6_3227
; %bb.3218:                             ;   in Loop: Header=BB6_2695 Depth=2
	v_lshrrev_b32_e32 v0, 24, v17
	v_bfrev_b32_e32 v1, 1
	s_mov_b32 s27, exec_lo
	s_delay_alu instid0(VALU_DEP_2)
	v_cmpx_ne_u32_e32 0x80, v0
	s_cbranch_execz .LBB6_3226
; %bb.3219:                             ;   in Loop: Header=BB6_2695 Depth=2
	v_and_b32_e32 v1, 0x7c000000, v17
	v_bfe_u32 v4, v17, 24, 2
	s_delay_alu instid0(VALU_DEP_2) | instskip(SKIP_1) | instid1(SALU_CYCLE_1)
	v_cmp_ne_u32_e64 s10, 0x7c000000, v1
                                        ; implicit-def: $vgpr1
	s_and_saveexec_b32 s28, s10
	s_xor_b32 s28, exec_lo, s28
	s_cbranch_execz .LBB6_3223
; %bb.3220:                             ;   in Loop: Header=BB6_2695 Depth=2
	v_bfe_u32 v1, v17, 26, 5
	s_mov_b32 s29, exec_lo
	s_delay_alu instid0(VALU_DEP_1)
	v_cmpx_eq_u32_e32 0, v1
; %bb.3221:                             ;   in Loop: Header=BB6_2695 Depth=2
	v_clz_i32_u32_e32 v1, v4
	s_delay_alu instid0(VALU_DEP_1) | instskip(NEXT) | instid1(VALU_DEP_1)
	v_min_u32_e32 v4, 32, v1
	v_subrev_nc_u32_e32 v1, 29, v4
	s_delay_alu instid0(VALU_DEP_1) | instskip(SKIP_1) | instid1(VALU_DEP_2)
	v_lshlrev_b64_e32 v[0:1], v1, v[0:1]
	v_sub_nc_u32_e32 v1, 30, v4
	v_and_b32_e32 v4, 3, v0
; %bb.3222:                             ;   in Loop: Header=BB6_2695 Depth=2
	s_or_b32 exec_lo, exec_lo, s29
	v_and_b32_e32 v0, 0x80000000, v17
                                        ; implicit-def: $vgpr16_vgpr17
	s_delay_alu instid0(VALU_DEP_1) | instskip(NEXT) | instid1(VALU_DEP_1)
	v_lshl_add_u32 v0, v1, 23, v0
	v_lshl_or_b32 v0, v4, 21, v0
                                        ; implicit-def: $vgpr4
	s_delay_alu instid0(VALU_DEP_1)
	v_add_nc_u32_e32 v1, 0x38000000, v0
.LBB6_3223:                             ;   in Loop: Header=BB6_2695 Depth=2
	s_and_not1_saveexec_b32 s28, s28
; %bb.3224:                             ;   in Loop: Header=BB6_2695 Depth=2
	v_cmp_lt_i64_e64 s10, -1, v[16:17]
	s_delay_alu instid0(VALU_DEP_1) | instskip(SKIP_1) | instid1(VALU_DEP_1)
	v_cndmask_b32_e64 v0, 0xff800000, v109, s10
	v_cmp_eq_u32_e64 s10, 0, v4
	v_cndmask_b32_e64 v1, 0x7f800001, v0, s10
; %bb.3225:                             ;   in Loop: Header=BB6_2695 Depth=2
	s_or_b32 exec_lo, exec_lo, s28
.LBB6_3226:                             ;   in Loop: Header=BB6_2695 Depth=2
	s_delay_alu instid0(SALU_CYCLE_1)
	s_or_b32 exec_lo, exec_lo, s27
.LBB6_3227:                             ;   in Loop: Header=BB6_2695 Depth=2
	s_delay_alu instid0(SALU_CYCLE_1) | instskip(SKIP_2) | instid1(VALU_DEP_2)
	s_or_b32 exec_lo, exec_lo, s11
	v_bfe_u32 v4, v13, 24, 2
	v_bfe_u32 v17, v13, 26, 5
	v_clz_i32_u32_e32 v0, v4
	s_delay_alu instid0(VALU_DEP_2) | instskip(NEXT) | instid1(VALU_DEP_2)
	v_cmp_eq_u32_e64 s10, 0, v17
	v_min_u32_e32 v16, 32, v0
	v_lshrrev_b32_e32 v0, 24, v13
	s_delay_alu instid0(VALU_DEP_2) | instskip(NEXT) | instid1(VALU_DEP_1)
	v_subrev_nc_u32_e32 v6, 29, v16
	v_lshlrev_b64_e32 v[6:7], v6, v[0:1]
	v_sub_nc_u32_e32 v7, 30, v16
	v_and_b32_e32 v16, 0x80000000, v13
	s_delay_alu instid0(VALU_DEP_2) | instskip(NEXT) | instid1(VALU_DEP_1)
	v_dual_cndmask_b32 v7, v17, v7, s10 :: v_dual_bitop2_b32 v6, 3, v6 bitop3:0x40
	v_lshl_add_u32 v7, v7, 23, v16
	s_delay_alu instid0(VALU_DEP_2) | instskip(SKIP_1) | instid1(VALU_DEP_2)
	v_cndmask_b32_e64 v6, v4, v6, s10
	v_cmp_lt_i64_e64 s10, -1, v[12:13]
	v_lshl_or_b32 v6, v6, 21, v7
	v_and_b32_e32 v7, 0x7c000000, v13
	s_delay_alu instid0(VALU_DEP_3) | instskip(SKIP_1) | instid1(VALU_DEP_4)
	v_cndmask_b32_e64 v16, 0xff800000, v109, s10
	v_cmp_eq_u32_e64 s10, 0, v4
	v_add_nc_u32_e32 v6, 0x38000000, v6
	s_delay_alu instid0(VALU_DEP_2) | instskip(SKIP_1) | instid1(VALU_DEP_1)
	v_cndmask_b32_e64 v4, 0x7f800001, v16, s10
	v_cmp_eq_u32_e64 s10, 0x7c000000, v7
	v_dual_mov_b32 v7, v5 :: v_dual_cndmask_b32 v4, v6, v4, s10
	v_cmp_ne_u32_e64 s10, 0x80, v0
	s_delay_alu instid0(VALU_DEP_1) | instskip(SKIP_1) | instid1(VALU_DEP_1)
	v_cndmask_b32_e64 v0, 0x80000000, v4, s10
	v_cmp_lt_u64_e64 s10, s[12:13], v[12:13]
	v_cndmask_b32_e64 v0, 0, v0, s10
	s_delay_alu instid0(VALU_DEP_1) | instskip(NEXT) | instid1(VALU_DEP_1)
	v_mul_f32_e32 v1, v0, v1
                                        ; implicit-def: $vgpr0
	v_and_b32_e32 v6, 0x7f800000, v1
	v_and_b32_e32 v4, 0x7fffff, v1
	s_delay_alu instid0(VALU_DEP_2) | instskip(SKIP_2) | instid1(SALU_CYCLE_1)
	v_cmp_ne_u64_e64 s10, 0x7f800000, v[6:7]
	v_lshrrev_b32_e32 v6, 24, v1
	s_and_saveexec_b32 s11, s10
	s_xor_b32 s27, exec_lo, s11
	s_cbranch_execz .LBB6_3241
; %bb.3228:                             ;   in Loop: Header=BB6_2695 Depth=2
	v_and_b32_e32 v12, 0x7fffffff, v1
	v_mov_b32_e32 v13, v5
                                        ; implicit-def: $vgpr0
	s_delay_alu instid0(VALU_DEP_1) | instskip(SKIP_2) | instid1(SALU_CYCLE_1)
	v_cmp_gt_u64_e64 s10, 0x47600001, v[12:13]
	v_and_b32_e32 v12, 0x80, v6
	s_and_saveexec_b32 s11, s10
	s_xor_b32 s28, exec_lo, s11
	s_cbranch_execz .LBB6_3238
; %bb.3229:                             ;   in Loop: Header=BB6_2695 Depth=2
	v_mov_b32_e32 v0, 0
	s_mov_b32 s29, exec_lo
	v_cmpx_ne_u32_e32 0, v1
	s_cbranch_execz .LBB6_3237
; %bb.3230:                             ;   in Loop: Header=BB6_2695 Depth=2
	v_bfe_u32 v13, v1, 23, 8
	v_or_b32_e32 v6, 0x800000, v4
	s_mov_b32 s40, exec_lo
	s_delay_alu instid0(VALU_DEP_2) | instskip(SKIP_1) | instid1(VALU_DEP_1)
	v_dual_mov_b32 v7, v5 :: v_dual_sub_nc_u32 v0, 0x71, v13
	v_cmp_gt_u32_e64 s10, 0x72, v13
	v_cndmask_b32_e64 v0, 0, v0, s10
	v_cmp_eq_u32_e64 s10, 0, v13
	s_delay_alu instid0(VALU_DEP_1) | instskip(SKIP_1) | instid1(VALU_DEP_2)
	v_cndmask_b32_e64 v16, v0, 0x70, s10
	v_cndmask_b32_e64 v6, v6, v4, s10
	v_dual_add_nc_u32 v0, 21, v16 :: v_dual_add_nc_u32 v17, 20, v16
	s_delay_alu instid0(VALU_DEP_1) | instskip(NEXT) | instid1(VALU_DEP_2)
	v_lshlrev_b64_e64 v[0:1], v0, -1
	v_lshlrev_b64_e64 v[36:37], v17, 1
	s_delay_alu instid0(VALU_DEP_2) | instskip(NEXT) | instid1(VALU_DEP_3)
	v_bfi_b32 v39, v1, 0, 0
	v_bfi_b32 v38, v0, 0, v6
	v_lshrrev_b64 v[0:1], v16, v[6:7]
	s_delay_alu instid0(VALU_DEP_1) | instskip(NEXT) | instid1(VALU_DEP_3)
	v_mov_b64_e32 v[6:7], v[0:1]
	v_cmpx_eq_u64_e64 v[38:39], v[36:37]
; %bb.3231:                             ;   in Loop: Header=BB6_2695 Depth=2
	v_bfe_u32 v6, v0, 21, 1
	v_mov_b32_e32 v7, v5
	s_delay_alu instid0(VALU_DEP_1) | instskip(NEXT) | instid1(VALU_DEP_1)
	v_add_nc_u64_e32 v[6:7], v[0:1], v[6:7]
	v_add_nc_u64_e32 v[6:7], -1, v[6:7]
; %bb.3232:                             ;   in Loop: Header=BB6_2695 Depth=2
	s_or_b32 exec_lo, exec_lo, s40
	v_add_nc_u32_e32 v1, 0xffffff81, v13
	v_lshrrev_b32_e32 v4, 23, v0
	s_mov_b32 s11, exec_lo
	s_delay_alu instid0(VALU_DEP_2) | instskip(NEXT) | instid1(VALU_DEP_1)
	v_cndmask_b32_e64 v1, v1, 0xffffff82, s10
	v_add3_u32 v7, v16, v1, v4
	v_and_b32_e32 v1, 0x1fffff, v6
                                        ; implicit-def: $vgpr6
	s_delay_alu instid0(VALU_DEP_1) | instskip(NEXT) | instid1(VALU_DEP_1)
	v_dual_add_nc_u32 v13, 14, v7 :: v_dual_add_nc_u32 v4, v1, v0
                                        ; implicit-def: $vgpr0_vgpr1
	v_cmpx_ne_u32_e32 0, v13
	s_xor_b32 s11, exec_lo, s11
; %bb.3233:                             ;   in Loop: Header=BB6_2695 Depth=2
	s_delay_alu instid0(VALU_DEP_2) | instskip(SKIP_1) | instid1(VALU_DEP_1)
	v_cmp_lt_u64_e64 s10, 0xffffff, v[4:5]
	v_add_nc_u32_e32 v0, 15, v7
	v_cndmask_b32_e64 v6, v13, v0, s10
	v_cndmask_b32_e64 v0, 0, 1, s10
	s_delay_alu instid0(VALU_DEP_1)
	v_lshrrev_b64 v[0:1], v0, v[4:5]
; %bb.3234:                             ;   in Loop: Header=BB6_2695 Depth=2
	s_and_not1_saveexec_b32 s10, s11
; %bb.3235:                             ;   in Loop: Header=BB6_2695 Depth=2
	v_mov_b64_e32 v[0:1], v[4:5]
	v_bfe_u32 v6, v4, 23, 1
; %bb.3236:                             ;   in Loop: Header=BB6_2695 Depth=2
	s_or_b32 exec_lo, exec_lo, s10
	s_delay_alu instid0(VALU_DEP_2) | instskip(NEXT) | instid1(VALU_DEP_2)
	v_lshrrev_b64 v[0:1], 21, v[0:1]
	v_cmp_gt_i32_e64 s10, 32, v6
	v_min_i32_e32 v4, 31, v6
	v_cmp_eq_u32_e64 s11, 0, v6
	s_delay_alu instid0(VALU_DEP_2) | instskip(SKIP_1) | instid1(VALU_DEP_2)
	v_dual_cndmask_b32 v1, 0, v1, s10 :: v_dual_lshlrev_b32 v4, 2, v4
	v_cndmask_b32_e64 v0, 3, v0, s10
	v_and_b32_e32 v4, 0xfc, v4
	s_delay_alu instid0(VALU_DEP_2) | instskip(NEXT) | instid1(VALU_DEP_2)
	v_cmp_eq_u64_e64 s10, 0, v[0:1]
	v_and_or_b32 v0, v0, 3, v4
	s_and_b32 s10, s11, s10
	s_delay_alu instid0(VALU_DEP_1) | instid1(SALU_CYCLE_1)
	v_cndmask_b32_e64 v0, v0, 0, s10
	s_delay_alu instid0(VALU_DEP_1)
	v_or_b32_e32 v0, v0, v12
.LBB6_3237:                             ;   in Loop: Header=BB6_2695 Depth=2
	s_or_b32 exec_lo, exec_lo, s29
                                        ; implicit-def: $vgpr12
.LBB6_3238:                             ;   in Loop: Header=BB6_2695 Depth=2
	s_and_not1_saveexec_b32 s10, s28
; %bb.3239:                             ;   in Loop: Header=BB6_2695 Depth=2
	v_or_b32_e32 v0, 0x7b, v12
; %bb.3240:                             ;   in Loop: Header=BB6_2695 Depth=2
	s_or_b32 exec_lo, exec_lo, s10
                                        ; implicit-def: $vgpr1
                                        ; implicit-def: $vgpr6
.LBB6_3241:                             ;   in Loop: Header=BB6_2695 Depth=2
	s_and_not1_saveexec_b32 s11, s27
	s_cbranch_execz .LBB6_2694
; %bb.3242:                             ;   in Loop: Header=BB6_2695 Depth=2
	v_cmp_ne_u64_e64 s10, 0, v[4:5]
                                        ; implicit-def: $vgpr0
	s_and_saveexec_b32 s27, s10
	s_delay_alu instid0(SALU_CYCLE_1)
	s_xor_b32 s10, exec_lo, s27
; %bb.3243:                             ;   in Loop: Header=BB6_2695 Depth=2
	v_or_b32_e32 v0, 0x7f, v6
                                        ; implicit-def: $vgpr1
; %bb.3244:                             ;   in Loop: Header=BB6_2695 Depth=2
	s_and_not1_saveexec_b32 s27, s10
	s_cbranch_execz .LBB6_2693
; %bb.3245:                             ;   in Loop: Header=BB6_2695 Depth=2
	v_cmp_lt_i32_e64 s10, -1, v1
	s_delay_alu instid0(VALU_DEP_1)
	v_cndmask_b32_e64 v0, 0xfc, v108, s10
	s_branch .LBB6_2693
.LBB6_3246:                             ;   in Loop: Header=BB6_2695 Depth=2
	s_or_saveexec_b32 s11, s11
	v_bfrev_b32_e32 v1, 1
	s_xor_b32 exec_lo, exec_lo, s11
	s_cbranch_execz .LBB6_2709
.LBB6_3247:                             ;   in Loop: Header=BB6_2695 Depth=2
	v_cmp_ne_u16_e64 s10, 0, v4
	v_mov_b32_e32 v1, 0
	s_and_not1_b32 s27, s27, exec_lo
	s_and_b32 s10, s10, exec_lo
	s_delay_alu instid0(SALU_CYCLE_1)
	s_or_b32 s27, s27, s10
	s_or_b32 exec_lo, exec_lo, s11
	s_and_saveexec_b32 s11, s27
	s_cbranch_execnz .LBB6_2710
	s_branch .LBB6_2711
.LBB6_3248:                             ;   in Loop: Header=BB6_2695 Depth=2
	s_or_saveexec_b32 s11, s11
	v_bfrev_b32_e32 v1, 1
	s_xor_b32 exec_lo, exec_lo, s11
	s_cbranch_execz .LBB6_2745
.LBB6_3249:                             ;   in Loop: Header=BB6_2695 Depth=2
	v_cmp_ne_u16_e64 s10, 0, v0
	v_mov_b32_e32 v1, 0
	s_and_not1_b32 s27, s27, exec_lo
	s_and_b32 s10, s10, exec_lo
	s_delay_alu instid0(SALU_CYCLE_1)
	s_or_b32 s27, s27, s10
	s_or_b32 exec_lo, exec_lo, s11
	s_and_saveexec_b32 s11, s27
	s_cbranch_execnz .LBB6_2746
	s_branch .LBB6_2747
.LBB6_3250:                             ;   in Loop: Header=BB6_2695 Depth=2
	s_or_saveexec_b32 s11, s11
	v_bfrev_b32_e32 v4, 1
	s_xor_b32 exec_lo, exec_lo, s11
	s_cbranch_execz .LBB6_2781
.LBB6_3251:                             ;   in Loop: Header=BB6_2695 Depth=2
	v_cmp_ne_u16_e64 s10, 0, v6
	v_mov_b32_e32 v4, 0
	s_and_not1_b32 s27, s27, exec_lo
	s_and_b32 s10, s10, exec_lo
	s_delay_alu instid0(SALU_CYCLE_1)
	s_or_b32 s27, s27, s10
	s_or_b32 exec_lo, exec_lo, s11
	s_and_saveexec_b32 s11, s27
	s_cbranch_execnz .LBB6_2782
	s_branch .LBB6_2783
.LBB6_3252:                             ;   in Loop: Header=BB6_2695 Depth=2
	s_or_saveexec_b32 s11, s11
	v_bfrev_b32_e32 v7, 1
	s_xor_b32 exec_lo, exec_lo, s11
	s_cbranch_execz .LBB6_2847
.LBB6_3253:                             ;   in Loop: Header=BB6_2695 Depth=2
	v_cmp_ne_u16_e64 s10, 0, v1
	v_mov_b32_e32 v7, 0
	s_and_not1_b32 s27, s27, exec_lo
	s_and_b32 s10, s10, exec_lo
	s_delay_alu instid0(SALU_CYCLE_1)
	s_or_b32 s27, s27, s10
	s_or_b32 exec_lo, exec_lo, s11
	v_mov_b32_e32 v1, v5
	s_and_saveexec_b32 s11, s27
	s_cbranch_execnz .LBB6_2848
	s_branch .LBB6_2849
.LBB6_3254:                             ;   in Loop: Header=BB6_2695 Depth=2
	s_or_saveexec_b32 s11, s11
	v_bfrev_b32_e32 v4, 1
	s_xor_b32 exec_lo, exec_lo, s11
	s_cbranch_execz .LBB6_2883
.LBB6_3255:                             ;   in Loop: Header=BB6_2695 Depth=2
	v_cmp_ne_u16_e64 s10, 0, v6
	v_mov_b32_e32 v4, 0
	s_and_not1_b32 s27, s27, exec_lo
	s_and_b32 s10, s10, exec_lo
	s_delay_alu instid0(SALU_CYCLE_1)
	s_or_b32 s27, s27, s10
	s_or_b32 exec_lo, exec_lo, s11
	s_and_saveexec_b32 s11, s27
	s_cbranch_execnz .LBB6_2884
	s_branch .LBB6_2885
.LBB6_3256:                             ;   in Loop: Header=BB6_2695 Depth=2
	s_or_saveexec_b32 s11, s11
	v_bfrev_b32_e32 v4, 1
	s_xor_b32 exec_lo, exec_lo, s11
	s_cbranch_execz .LBB6_2919
.LBB6_3257:                             ;   in Loop: Header=BB6_2695 Depth=2
	v_cmp_ne_u16_e64 s10, 0, v6
	v_mov_b32_e32 v4, 0
	s_and_not1_b32 s27, s27, exec_lo
	s_and_b32 s10, s10, exec_lo
	s_delay_alu instid0(SALU_CYCLE_1)
	s_or_b32 s27, s27, s10
	s_or_b32 exec_lo, exec_lo, s11
	s_and_saveexec_b32 s11, s27
	s_cbranch_execnz .LBB6_2920
	s_branch .LBB6_2921
.LBB6_3258:                             ;   in Loop: Header=BB6_2695 Depth=2
	s_or_saveexec_b32 s11, s11
	v_bfrev_b32_e32 v1, 1
	s_xor_b32 exec_lo, exec_lo, s11
	s_cbranch_execz .LBB6_2985
.LBB6_3259:                             ;   in Loop: Header=BB6_2695 Depth=2
	v_cmp_ne_u16_e64 s10, 0, v4
	v_mov_b32_e32 v1, 0
	s_and_not1_b32 s27, s27, exec_lo
	s_and_b32 s10, s10, exec_lo
	s_delay_alu instid0(SALU_CYCLE_1)
	s_or_b32 s27, s27, s10
	s_or_b32 exec_lo, exec_lo, s11
	s_and_saveexec_b32 s11, s27
	s_cbranch_execnz .LBB6_2986
	s_branch .LBB6_2987
.LBB6_3260:                             ;   in Loop: Header=BB6_2695 Depth=2
	s_or_saveexec_b32 s11, s11
	v_bfrev_b32_e32 v1, 1
	s_xor_b32 exec_lo, exec_lo, s11
	s_cbranch_execz .LBB6_3021
.LBB6_3261:                             ;   in Loop: Header=BB6_2695 Depth=2
	v_cmp_ne_u16_e64 s10, 0, v0
	v_mov_b32_e32 v1, 0
	s_and_not1_b32 s27, s27, exec_lo
	s_and_b32 s10, s10, exec_lo
	s_delay_alu instid0(SALU_CYCLE_1)
	s_or_b32 s27, s27, s10
	s_or_b32 exec_lo, exec_lo, s11
	s_and_saveexec_b32 s11, s27
	s_cbranch_execnz .LBB6_3022
	s_branch .LBB6_3023
.LBB6_3262:                             ;   in Loop: Header=BB6_2695 Depth=2
	s_or_saveexec_b32 s11, s11
	v_bfrev_b32_e32 v4, 1
	s_xor_b32 exec_lo, exec_lo, s11
	s_cbranch_execz .LBB6_3057
.LBB6_3263:                             ;   in Loop: Header=BB6_2695 Depth=2
	v_cmp_ne_u16_e64 s10, 0, v6
	v_mov_b32_e32 v4, 0
	s_and_not1_b32 s27, s27, exec_lo
	s_and_b32 s10, s10, exec_lo
	s_delay_alu instid0(SALU_CYCLE_1)
	s_or_b32 s27, s27, s10
	s_or_b32 exec_lo, exec_lo, s11
	s_and_saveexec_b32 s11, s27
	s_cbranch_execnz .LBB6_3058
	s_branch .LBB6_3059
.LBB6_3264:                             ;   in Loop: Header=BB6_2695 Depth=2
	s_or_saveexec_b32 s11, s11
	v_bfrev_b32_e32 v7, 1
	s_xor_b32 exec_lo, exec_lo, s11
	s_cbranch_execz .LBB6_3123
.LBB6_3265:                             ;   in Loop: Header=BB6_2695 Depth=2
	v_cmp_ne_u16_e64 s10, 0, v1
	v_mov_b32_e32 v7, 0
	s_and_not1_b32 s27, s27, exec_lo
	s_and_b32 s10, s10, exec_lo
	s_delay_alu instid0(SALU_CYCLE_1)
	s_or_b32 s27, s27, s10
	s_or_b32 exec_lo, exec_lo, s11
	v_mov_b32_e32 v1, v5
	s_and_saveexec_b32 s11, s27
	s_cbranch_execnz .LBB6_3124
	s_branch .LBB6_3125
.LBB6_3266:                             ;   in Loop: Header=BB6_2695 Depth=2
	s_or_saveexec_b32 s11, s11
	v_bfrev_b32_e32 v4, 1
	s_xor_b32 exec_lo, exec_lo, s11
	s_cbranch_execz .LBB6_3159
.LBB6_3267:                             ;   in Loop: Header=BB6_2695 Depth=2
	v_cmp_ne_u16_e64 s10, 0, v6
	v_mov_b32_e32 v4, 0
	s_and_not1_b32 s27, s27, exec_lo
	s_and_b32 s10, s10, exec_lo
	s_delay_alu instid0(SALU_CYCLE_1)
	s_or_b32 s27, s27, s10
	s_or_b32 exec_lo, exec_lo, s11
	s_and_saveexec_b32 s11, s27
	s_cbranch_execnz .LBB6_3160
	s_branch .LBB6_3161
.LBB6_3268:                             ;   in Loop: Header=BB6_2695 Depth=2
	s_or_saveexec_b32 s11, s11
	v_bfrev_b32_e32 v4, 1
	s_xor_b32 exec_lo, exec_lo, s11
	s_cbranch_execz .LBB6_3195
.LBB6_3269:                             ;   in Loop: Header=BB6_2695 Depth=2
	v_cmp_ne_u16_e64 s10, 0, v6
	v_mov_b32_e32 v4, 0
	s_and_not1_b32 s27, s27, exec_lo
	s_and_b32 s10, s10, exec_lo
	s_delay_alu instid0(SALU_CYCLE_1)
	s_or_b32 s27, s27, s10
	s_or_b32 exec_lo, exec_lo, s11
	s_and_saveexec_b32 s11, s27
	s_cbranch_execnz .LBB6_3196
	s_branch .LBB6_3197
.LBB6_3270:                             ;   in Loop: Header=BB6_49 Depth=1
	s_or_b32 exec_lo, exec_lo, s26
.LBB6_3271:                             ;   in Loop: Header=BB6_49 Depth=1
	s_delay_alu instid0(SALU_CYCLE_1) | instskip(SKIP_3) | instid1(VALU_DEP_1)
	s_or_b32 exec_lo, exec_lo, s25
	v_dual_mov_b32 v4, 0 :: v_dual_bitop2_b32 v0, 15, v62 bitop3:0x40
	s_mov_b32 s11, 0
	s_mov_b32 s25, exec_lo
                                        ; implicit-def: $vgpr7
	v_cndmask_b32_e32 v3, v24, v0, vcc_lo
                                        ; implicit-def: $vgpr0
	s_delay_alu instid0(VALU_DEP_1)
	v_cmpx_ne_u32_e32 0, v3
	s_cbranch_execz .LBB6_3273
; %bb.3272:                             ;   in Loop: Header=BB6_49 Depth=1
	scratch_load_b64 v[0:1], off, s33 offset:236 ; 8-byte Folded Reload
	v_cmp_lt_i32_e64 s10, 0, v23
	s_wait_loadcnt 0x0
	v_and_b32_e32 v1, 0x1f0, v62
	s_mov_b32 s11, exec_lo
	s_delay_alu instid0(VALU_DEP_1) | instskip(NEXT) | instid1(VALU_DEP_1)
	v_cndmask_b32_e32 v1, 0, v1, vcc_lo
	v_and_or_b32 v4, 0x3ffffe00, v62, v1
	v_cndmask_b32_e64 v0, 0, v0, s10
	s_delay_alu instid0(VALU_DEP_1) | instskip(NEXT) | instid1(VALU_DEP_1)
	v_sub_nc_u32_e32 v0, v0, v23
	v_lshl_add_u32 v7, v0, 5, v22
	s_delay_alu instid0(VALU_DEP_1) | instskip(NEXT) | instid1(VALU_DEP_1)
	v_ashrrev_i32_e32 v0, 31, v7
	v_lshrrev_b32_e32 v0, 27, v0
	s_delay_alu instid0(VALU_DEP_1) | instskip(NEXT) | instid1(VALU_DEP_1)
	v_add_nc_u32_e32 v0, v7, v0
	v_ashrrev_i32_e32 v0, 5, v0
.LBB6_3273:                             ;   in Loop: Header=BB6_49 Depth=1
	s_wait_xcnt 0x0
	s_or_b32 exec_lo, exec_lo, s25
	s_delay_alu instid0(SALU_CYCLE_1)
	s_and_b32 s10, s11, exec_lo
.LBB6_3274:                             ;   in Loop: Header=BB6_49 Depth=1
	s_or_b32 exec_lo, exec_lo, s24
	s_and_saveexec_b32 s11, s10
	s_cbranch_execz .LBB6_4735
.LBB6_3275:                             ;   in Loop: Header=BB6_49 Depth=1
	v_lshrrev_b32_e32 v1, 10, v3
	s_mov_b32 s24, exec_lo
	s_delay_alu instid0(VALU_DEP_1) | instskip(NEXT) | instid1(VALU_DEP_1)
	v_dual_sub_nc_u32 v126, v1, v0 :: v_dual_ashrrev_i32 v1, 31, v7
	v_lshrrev_b32_e32 v1, 27, v1
	s_delay_alu instid0(VALU_DEP_2)
	v_cmpx_lt_i32_e32 0, v126
	s_cbranch_execz .LBB6_4687
; %bb.3276:                             ;   in Loop: Header=BB6_49 Depth=1
	s_clause 0x6
	scratch_store_b32 off, v3, s33 offset:408
	scratch_store_b32 off, v62, s33 offset:400
	scratch_store_b64 off, v[120:121], s33 offset:392
	scratch_store_b64 off, v[110:111], s33 offset:384
	scratch_store_b64 off, v[106:107], s33 offset:376
	scratch_store_b32 off, v59, s33 offset:344
	scratch_store_b32 off, v1, s33 offset:416
	s_wait_xcnt 0x0
	v_add_nc_u32_e32 v1, v7, v1
	s_trap 2
	ds_load_b64 v[2:3], v0
	v_lshlrev_b32_e32 v0, 10, v0
	s_clause 0x1
	scratch_store_b32 off, v7, s33 offset:412
	scratch_store_b32 off, v4, s33 offset:404
	v_and_b32_e32 v1, 0xffffffe0, v1
	s_mov_b32 s25, 0
	s_delay_alu instid0(VALU_DEP_1) | instskip(SKIP_2) | instid1(VALU_DEP_2)
	v_sub_nc_u32_e32 v1, v7, v1
	s_wait_xcnt 0x1
	v_add_nc_u64_e32 v[6:7], 0x3e0, v[44:45]
	v_add3_u32 v0, v4, v1, v0
	s_delay_alu instid0(VALU_DEP_1) | instskip(NEXT) | instid1(VALU_DEP_1)
	v_ashrrev_i32_e32 v1, 31, v0
	v_add_nc_u64_e32 v[10:11], v[0:1], v[42:43]
	s_wait_dscnt 0x0
	v_add_nc_u64_e32 v[12:13], v[2:3], v[0:1]
	v_add_nc_u64_e32 v[14:15], v[6:7], v[0:1]
	s_branch .LBB6_3279
.LBB6_3277:                             ;   in Loop: Header=BB6_3279 Depth=2
	s_or_b32 exec_lo, exec_lo, s26
.LBB6_3278:                             ;   in Loop: Header=BB6_3279 Depth=2
	s_delay_alu instid0(SALU_CYCLE_1)
	s_or_b32 exec_lo, exec_lo, s10
	s_clause 0x17
	flat_store_b8 v[14:15], v96 offset:-992 th:TH_STORE_NT
	flat_store_b8 v[14:15], v18 offset:-960 th:TH_STORE_NT
	;; [unrolled: 1-line block ×24, first 2 shown]
	scratch_load_b64 v[2:3], off, s33 offset:236 ; 8-byte Folded Reload
	s_clause 0x7
	flat_store_b8 v[14:15], v67 offset:-224 th:TH_STORE_NT
	flat_store_b8 v[14:15], v50 offset:-192 th:TH_STORE_NT
	;; [unrolled: 1-line block ×7, first 2 shown]
	flat_store_b8 v[14:15], v1 th:TH_STORE_NT
	scratch_load_b64 v[0:1], off, s33 offset:244 ; 8-byte Folded Reload
	s_wait_loadcnt 0x1
	v_sub_nc_u32_e32 v126, v126, v2
	s_wait_loadcnt 0x0
	v_add_nc_u64_e32 v[10:11], v[10:11], v[0:1]
	v_add_nc_u64_e32 v[12:13], v[12:13], v[0:1]
	;; [unrolled: 1-line block ×3, first 2 shown]
	v_cmp_gt_i32_e32 vcc_lo, 1, v126
	s_or_b32 s25, vcc_lo, s25
	s_wait_xcnt 0x0
	s_and_not1_b32 exec_lo, exec_lo, s25
	s_cbranch_execz .LBB6_4686
.LBB6_3279:                             ;   Parent Loop BB6_49 Depth=1
                                        ; =>  This Inner Loop Header: Depth=2
	s_clause 0x9
	flat_load_i8 v0, v[10:11] th:TH_LOAD_NT
	flat_load_i8 v20, v[10:11] offset:32 th:TH_LOAD_NT
	flat_load_i8 v70, v[10:11] offset:64 th:TH_LOAD_NT
	;; [unrolled: 1-line block ×9, first 2 shown]
	s_wait_loadcnt 0xc
	s_clause 0xd
	flat_load_i8 v102, v[10:11] offset:320 th:TH_LOAD_NT
	flat_load_i8 v84, v[10:11] offset:352 th:TH_LOAD_NT
	;; [unrolled: 1-line block ×14, first 2 shown]
	s_wait_loadcnt 0x18
	s_clause 0x5
	flat_load_i8 v46, v[10:11] offset:768 th:TH_LOAD_NT
	flat_load_i8 v42, v[10:11] offset:800 th:TH_LOAD_NT
	flat_load_i8 v48, v[10:11] offset:832 th:TH_LOAD_NT
	flat_load_i8 v36, v[10:11] offset:864 th:TH_LOAD_NT
	flat_load_i8 v32, v[10:11] offset:896 th:TH_LOAD_NT
	flat_load_i8 v4, v[10:11] offset:928 th:TH_LOAD_NT
	v_dual_mov_b32 v3, 0 :: v_dual_mov_b32 v1, 0
	s_mov_b32 s26, exec_lo
	s_wait_loadcnt_dscnt 0x0
	scratch_store_b64 off, v[4:5], s33 offset:228 ; 8-byte Folded Spill
	flat_load_i8 v4, v[10:11] offset:960 th:TH_LOAD_NT
	s_wait_loadcnt_dscnt 0x0
	scratch_store_b64 off, v[4:5], s33 offset:212 ; 8-byte Folded Spill
	flat_load_i8 v4, v[10:11] offset:992 th:TH_LOAD_NT
	s_wait_loadcnt_dscnt 0x0
	scratch_store_b64 off, v[4:5], s33 offset:196 ; 8-byte Folded Spill
	s_clause 0x1d
	flat_load_i8 v96, v[12:13] th:TH_LOAD_NT
	flat_load_i8 v18, v[12:13] offset:32 th:TH_LOAD_NT
	flat_load_i8 v16, v[12:13] offset:64 th:TH_LOAD_NT
	;; [unrolled: 1-line block ×29, first 2 shown]
	s_wait_loadcnt_dscnt 0x0
	scratch_store_b64 off, v[4:5], s33 offset:220 ; 8-byte Folded Spill
	flat_load_i8 v4, v[12:13] offset:960 th:TH_LOAD_NT
	s_wait_loadcnt_dscnt 0x0
	scratch_store_b64 off, v[4:5], s33 offset:204 ; 8-byte Folded Spill
	flat_load_i8 v4, v[12:13] offset:992 th:TH_LOAD_NT
	s_wait_loadcnt_dscnt 0x0
	scratch_store_b64 off, v[4:5], s33 offset:188 ; 8-byte Folded Spill
	s_wait_xcnt 0x0
	v_cmpx_ne_u16_e32 0, v0
	s_cbranch_execz .LBB6_3289
; %bb.3280:                             ;   in Loop: Header=BB6_3279 Depth=2
	v_bfrev_b32_e32 v1, 1
	s_mov_b32 s27, exec_lo
	v_cmpx_ne_u16_e32 0xff80, v0
	s_cbranch_execz .LBB6_3288
; %bb.3281:                             ;   in Loop: Header=BB6_3279 Depth=2
	v_and_b32_e32 v1, 0x7c, v0
	v_and_b32_e32 v4, 3, v0
	s_delay_alu instid0(VALU_DEP_2) | instskip(SKIP_1) | instid1(SALU_CYCLE_1)
	v_cmp_ne_u32_e32 vcc_lo, 0x7c, v1
                                        ; implicit-def: $vgpr1
	s_and_saveexec_b32 s10, vcc_lo
	s_xor_b32 s10, exec_lo, s10
	s_cbranch_execz .LBB6_3285
; %bb.3282:                             ;   in Loop: Header=BB6_3279 Depth=2
	v_and_b32_e32 v1, 0xff, v0
	s_mov_b32 s28, exec_lo
	s_delay_alu instid0(VALU_DEP_1) | instskip(NEXT) | instid1(VALU_DEP_1)
	v_bfe_u32 v1, v1, 2, 5
	v_cmpx_eq_u32_e32 0, v1
; %bb.3283:                             ;   in Loop: Header=BB6_3279 Depth=2
	v_clz_i32_u32_e32 v1, v4
	s_delay_alu instid0(VALU_DEP_1) | instskip(SKIP_1) | instid1(VALU_DEP_2)
	v_min_u32_e32 v4, 32, v1
	v_mov_b32_e32 v1, v5
	v_subrev_nc_u32_e32 v7, 29, v4
	s_delay_alu instid0(VALU_DEP_1) | instskip(NEXT) | instid1(VALU_DEP_1)
	v_lshlrev_b64_e32 v[26:27], v7, v[0:1]
	v_dual_sub_nc_u32 v1, 30, v4 :: v_dual_bitop2_b32 v4, 3, v26 bitop3:0x40
; %bb.3284:                             ;   in Loop: Header=BB6_3279 Depth=2
	s_or_b32 exec_lo, exec_lo, s28
	v_bfe_i32 v0, v0, 0, 16
	s_delay_alu instid0(VALU_DEP_1) | instskip(NEXT) | instid1(VALU_DEP_1)
	v_and_b32_e32 v0, 0x80000000, v0
	v_lshl_add_u32 v0, v1, 23, v0
	s_delay_alu instid0(VALU_DEP_1) | instskip(NEXT) | instid1(VALU_DEP_1)
	v_lshl_or_b32 v0, v4, 21, v0
                                        ; implicit-def: $vgpr4
	v_add_nc_u32_e32 v1, 0x38000000, v0
                                        ; implicit-def: $vgpr0
.LBB6_3285:                             ;   in Loop: Header=BB6_3279 Depth=2
	s_and_not1_saveexec_b32 s28, s10
; %bb.3286:                             ;   in Loop: Header=BB6_3279 Depth=2
	v_cmp_lt_i16_e64 s10, -1, v0
	v_cmp_eq_u32_e32 vcc_lo, 0, v4
	s_delay_alu instid0(VALU_DEP_2) | instskip(NEXT) | instid1(VALU_DEP_1)
	v_cndmask_b32_e64 v0, 0xff800000, v109, s10
	v_cndmask_b32_e32 v1, 0x7f800001, v0, vcc_lo
; %bb.3287:                             ;   in Loop: Header=BB6_3279 Depth=2
	s_or_b32 exec_lo, exec_lo, s28
.LBB6_3288:                             ;   in Loop: Header=BB6_3279 Depth=2
	s_delay_alu instid0(SALU_CYCLE_1)
	s_or_b32 exec_lo, exec_lo, s27
.LBB6_3289:                             ;   in Loop: Header=BB6_3279 Depth=2
	s_delay_alu instid0(SALU_CYCLE_1) | instskip(NEXT) | instid1(SALU_CYCLE_1)
	s_or_b32 exec_lo, exec_lo, s26
	s_mov_b32 s26, exec_lo
	v_cmpx_ne_u16_e32 0, v96
	s_cbranch_execz .LBB6_3299
; %bb.3290:                             ;   in Loop: Header=BB6_3279 Depth=2
	v_bfrev_b32_e32 v3, 1
	s_mov_b32 s27, exec_lo
	v_cmpx_ne_u16_e32 0xff80, v96
	s_cbranch_execz .LBB6_3298
; %bb.3291:                             ;   in Loop: Header=BB6_3279 Depth=2
	v_and_b32_e32 v3, 0x7c, v96
	v_and_b32_e32 v0, 3, v96
	s_delay_alu instid0(VALU_DEP_2) | instskip(SKIP_1) | instid1(SALU_CYCLE_1)
	v_cmp_ne_u32_e32 vcc_lo, 0x7c, v3
                                        ; implicit-def: $vgpr3
	s_and_saveexec_b32 s10, vcc_lo
	s_xor_b32 s10, exec_lo, s10
	s_cbranch_execz .LBB6_3295
; %bb.3292:                             ;   in Loop: Header=BB6_3279 Depth=2
	v_and_b32_e32 v3, 0xff, v96
	s_mov_b32 s28, exec_lo
	s_delay_alu instid0(VALU_DEP_1) | instskip(NEXT) | instid1(VALU_DEP_1)
	v_bfe_u32 v3, v3, 2, 5
	v_cmpx_eq_u32_e32 0, v3
; %bb.3293:                             ;   in Loop: Header=BB6_3279 Depth=2
	v_clz_i32_u32_e32 v0, v0
	s_delay_alu instid0(VALU_DEP_1) | instskip(SKIP_1) | instid1(VALU_DEP_2)
	v_min_u32_e32 v0, 32, v0
	v_mov_b32_e32 v97, v5
	v_subrev_nc_u32_e32 v3, 29, v0
	s_delay_alu instid0(VALU_DEP_1) | instskip(NEXT) | instid1(VALU_DEP_1)
	v_lshlrev_b64_e32 v[26:27], v3, v[96:97]
	v_dual_sub_nc_u32 v3, 30, v0 :: v_dual_bitop2_b32 v0, 3, v26 bitop3:0x40
; %bb.3294:                             ;   in Loop: Header=BB6_3279 Depth=2
	s_or_b32 exec_lo, exec_lo, s28
	v_bfe_i32 v4, v96, 0, 16
                                        ; implicit-def: $vgpr96
	s_delay_alu instid0(VALU_DEP_1) | instskip(NEXT) | instid1(VALU_DEP_1)
	v_and_b32_e32 v4, 0x80000000, v4
	v_lshl_add_u32 v3, v3, 23, v4
	s_delay_alu instid0(VALU_DEP_1) | instskip(NEXT) | instid1(VALU_DEP_1)
	v_lshl_or_b32 v0, v0, 21, v3
	v_add_nc_u32_e32 v3, 0x38000000, v0
                                        ; implicit-def: $vgpr0
.LBB6_3295:                             ;   in Loop: Header=BB6_3279 Depth=2
	s_and_not1_saveexec_b32 s28, s10
; %bb.3296:                             ;   in Loop: Header=BB6_3279 Depth=2
	v_cmp_lt_i16_e64 s10, -1, v96
	v_cmp_eq_u32_e32 vcc_lo, 0, v0
	s_delay_alu instid0(VALU_DEP_2) | instskip(NEXT) | instid1(VALU_DEP_1)
	v_cndmask_b32_e64 v0, 0xff800000, v109, s10
	v_cndmask_b32_e32 v3, 0x7f800001, v0, vcc_lo
; %bb.3297:                             ;   in Loop: Header=BB6_3279 Depth=2
	s_or_b32 exec_lo, exec_lo, s28
.LBB6_3298:                             ;   in Loop: Header=BB6_3279 Depth=2
	s_delay_alu instid0(SALU_CYCLE_1)
	s_or_b32 exec_lo, exec_lo, s27
.LBB6_3299:                             ;   in Loop: Header=BB6_3279 Depth=2
	s_delay_alu instid0(SALU_CYCLE_1) | instskip(NEXT) | instid1(VALU_DEP_1)
	s_or_b32 exec_lo, exec_lo, s26
	v_mul_f32_e32 v0, v1, v3
	v_mov_b32_e32 v27, v5
                                        ; implicit-def: $vgpr96
	s_mov_b32 s10, exec_lo
	s_delay_alu instid0(VALU_DEP_2) | instskip(SKIP_1) | instid1(VALU_DEP_2)
	v_and_b32_e32 v26, 0x7f800000, v0
	v_and_b32_e32 v4, 0x7fffff, v0
	v_cmpx_ne_u64_e32 0x7f800000, v[26:27]
	s_xor_b32 s26, exec_lo, s10
	s_cbranch_execz .LBB6_3317
; %bb.3300:                             ;   in Loop: Header=BB6_3279 Depth=2
	v_dual_mov_b32 v27, v5 :: v_dual_lshrrev_b32 v1, 24, v0
	v_and_b32_e32 v26, 0x7fffffff, v0
                                        ; implicit-def: $vgpr96
	s_mov_b32 s10, exec_lo
	s_delay_alu instid0(VALU_DEP_2) | instskip(NEXT) | instid1(VALU_DEP_2)
	v_and_b32_e32 v3, 0x80, v1
	v_cmpx_gt_u64_e32 0x47600001, v[26:27]
	s_xor_b32 s27, exec_lo, s10
	s_cbranch_execz .LBB6_3314
; %bb.3301:                             ;   in Loop: Header=BB6_3279 Depth=2
	v_mov_b32_e32 v96, 0
	s_mov_b32 s28, exec_lo
	v_cmpx_ne_u32_e32 0, v0
	s_cbranch_execz .LBB6_3313
; %bb.3302:                             ;   in Loop: Header=BB6_3279 Depth=2
	v_bfe_u32 v7, v0, 23, 8
	v_or_b32_e32 v1, 0x800000, v4
	s_delay_alu instid0(VALU_DEP_2) | instskip(SKIP_2) | instid1(VALU_DEP_2)
	v_cmp_gt_u32_e64 s10, 0x72, v7
	v_sub_nc_u32_e32 v0, 0x71, v7
	v_cmp_eq_u32_e32 vcc_lo, 0, v7
	v_cndmask_b32_e64 v0, 0, v0, s10
	s_delay_alu instid0(VALU_DEP_1) | instskip(SKIP_1) | instid1(VALU_DEP_2)
	v_cndmask_b32_e64 v9, v0, 0x70, vcc_lo
	v_cndmask_b32_e32 v0, v1, v4, vcc_lo
	v_dual_mov_b32 v1, v5 :: v_dual_add_nc_u32 v4, 21, v9
	s_delay_alu instid0(VALU_DEP_1) | instskip(SKIP_1) | instid1(VALU_DEP_1)
	v_lshlrev_b64_e64 v[26:27], v4, -1
	v_add_nc_u32_e32 v4, 20, v9
	v_lshlrev_b64_e64 v[96:97], v4, 1
	s_delay_alu instid0(VALU_DEP_3) | instskip(SKIP_2) | instid1(VALU_DEP_1)
	v_bfi_b32 v26, v26, 0, v0
	v_lshrrev_b64 v[0:1], v9, v[0:1]
	v_bfi_b32 v27, v27, 0, 0
	v_cmp_eq_u64_e64 s10, v[26:27], v[96:97]
	s_delay_alu instid0(VALU_DEP_3)
	v_mov_b64_e32 v[96:97], v[0:1]
	s_and_saveexec_b32 s29, s10
; %bb.3303:                             ;   in Loop: Header=BB6_3279 Depth=2
	v_bfe_u32 v26, v0, 21, 1
	v_mov_b32_e32 v27, v5
	s_delay_alu instid0(VALU_DEP_1) | instskip(NEXT) | instid1(VALU_DEP_1)
	v_add_nc_u64_e32 v[26:27], v[0:1], v[26:27]
	v_add_nc_u64_e32 v[96:97], -1, v[26:27]
; %bb.3304:                             ;   in Loop: Header=BB6_3279 Depth=2
	s_or_b32 exec_lo, exec_lo, s29
	v_add_nc_u32_e32 v1, 0xffffff81, v7
	v_lshrrev_b32_e32 v4, 23, v0
	s_mov_b32 s10, exec_lo
                                        ; implicit-def: $vgpr7
	s_delay_alu instid0(VALU_DEP_2) | instskip(NEXT) | instid1(VALU_DEP_1)
	v_cndmask_b32_e64 v1, v1, 0xffffff82, vcc_lo
	v_add3_u32 v17, v9, v1, v4
	v_and_b32_e32 v1, 0x1fffff, v96
	s_delay_alu instid0(VALU_DEP_1) | instskip(NEXT) | instid1(VALU_DEP_1)
	v_dual_add_nc_u32 v9, 14, v17 :: v_dual_add_nc_u32 v4, v1, v0
                                        ; implicit-def: $vgpr0_vgpr1
	v_cmpx_ne_u32_e32 0, v9
	s_xor_b32 s10, exec_lo, s10
; %bb.3305:                             ;   in Loop: Header=BB6_3279 Depth=2
	s_delay_alu instid0(VALU_DEP_2) | instskip(SKIP_1) | instid1(VALU_DEP_1)
	v_cmp_lt_u64_e32 vcc_lo, 0xffffff, v[4:5]
	v_add_nc_u32_e32 v0, 15, v17
	v_cndmask_b32_e32 v7, v9, v0, vcc_lo
	v_cndmask_b32_e64 v0, 0, 1, vcc_lo
	s_delay_alu instid0(VALU_DEP_1)
	v_lshrrev_b64 v[0:1], v0, v[4:5]
; %bb.3306:                             ;   in Loop: Header=BB6_3279 Depth=2
	s_and_not1_saveexec_b32 s10, s10
; %bb.3307:                             ;   in Loop: Header=BB6_3279 Depth=2
	v_mov_b64_e32 v[0:1], v[4:5]
	v_bfe_u32 v7, v4, 23, 1
; %bb.3308:                             ;   in Loop: Header=BB6_3279 Depth=2
	s_or_b32 exec_lo, exec_lo, s10
	s_delay_alu instid0(VALU_DEP_2) | instskip(NEXT) | instid1(VALU_DEP_2)
	v_lshrrev_b64 v[0:1], 21, v[0:1]
	v_cmp_gt_i32_e32 vcc_lo, 32, v7
	v_cmp_ne_u32_e64 s10, 0, v7
                                        ; implicit-def: $vgpr96
	s_delay_alu instid0(VALU_DEP_3) | instskip(NEXT) | instid1(VALU_DEP_1)
	v_dual_cndmask_b32 v1, 0, v1 :: v_dual_cndmask_b32 v0, 3, v0
	v_cmp_ne_u64_e32 vcc_lo, 0, v[0:1]
	s_or_b32 s10, s10, vcc_lo
	s_delay_alu instid0(SALU_CYCLE_1) | instskip(NEXT) | instid1(SALU_CYCLE_1)
	s_and_saveexec_b32 s29, s10
	s_xor_b32 s10, exec_lo, s29
; %bb.3309:                             ;   in Loop: Header=BB6_3279 Depth=2
	v_min_i32_e32 v1, 31, v7
	s_delay_alu instid0(VALU_DEP_1) | instskip(NEXT) | instid1(VALU_DEP_1)
	v_lshl_or_b32 v1, v1, 2, v3
                                        ; implicit-def: $vgpr3
	v_and_or_b32 v96, v0, 3, v1
; %bb.3310:                             ;   in Loop: Header=BB6_3279 Depth=2
	s_and_not1_saveexec_b32 s10, s10
; %bb.3311:                             ;   in Loop: Header=BB6_3279 Depth=2
	v_mov_b32_e32 v96, v3
; %bb.3312:                             ;   in Loop: Header=BB6_3279 Depth=2
	s_or_b32 exec_lo, exec_lo, s10
.LBB6_3313:                             ;   in Loop: Header=BB6_3279 Depth=2
	s_delay_alu instid0(SALU_CYCLE_1)
	s_or_b32 exec_lo, exec_lo, s28
                                        ; implicit-def: $vgpr3
.LBB6_3314:                             ;   in Loop: Header=BB6_3279 Depth=2
	s_and_not1_saveexec_b32 s10, s27
; %bb.3315:                             ;   in Loop: Header=BB6_3279 Depth=2
	v_or_b32_e32 v96, 0x7b, v3
; %bb.3316:                             ;   in Loop: Header=BB6_3279 Depth=2
	s_or_b32 exec_lo, exec_lo, s10
                                        ; implicit-def: $vgpr0
.LBB6_3317:                             ;   in Loop: Header=BB6_3279 Depth=2
	s_and_not1_saveexec_b32 s10, s26
	s_cbranch_execz .LBB6_3323
; %bb.3318:                             ;   in Loop: Header=BB6_3279 Depth=2
	s_mov_b32 s26, exec_lo
                                        ; implicit-def: $vgpr96
	v_cmpx_ne_u64_e32 0, v[4:5]
	s_xor_b32 s26, exec_lo, s26
; %bb.3319:                             ;   in Loop: Header=BB6_3279 Depth=2
	v_lshrrev_b32_e32 v0, 24, v0
	s_delay_alu instid0(VALU_DEP_1)
	v_or_b32_e32 v96, 0x7f, v0
                                        ; implicit-def: $vgpr0
; %bb.3320:                             ;   in Loop: Header=BB6_3279 Depth=2
	s_and_not1_saveexec_b32 s26, s26
; %bb.3321:                             ;   in Loop: Header=BB6_3279 Depth=2
	v_cmp_lt_i32_e32 vcc_lo, -1, v0
	v_cndmask_b32_e64 v96, -4, 0x7c, vcc_lo
; %bb.3322:                             ;   in Loop: Header=BB6_3279 Depth=2
	s_or_b32 exec_lo, exec_lo, s26
.LBB6_3323:                             ;   in Loop: Header=BB6_3279 Depth=2
	s_delay_alu instid0(SALU_CYCLE_1)
	s_or_b32 exec_lo, exec_lo, s10
	v_dual_mov_b32 v0, 0 :: v_dual_mov_b32 v1, 0
	s_mov_b32 s26, exec_lo
	v_cmpx_ne_u16_e32 0, v20
	s_cbranch_execz .LBB6_3333
; %bb.3324:                             ;   in Loop: Header=BB6_3279 Depth=2
	v_bfrev_b32_e32 v1, 1
	s_mov_b32 s27, exec_lo
	v_cmpx_ne_u16_e32 0xff80, v20
	s_cbranch_execz .LBB6_3332
; %bb.3325:                             ;   in Loop: Header=BB6_3279 Depth=2
	v_and_b32_e32 v1, 0x7c, v20
	v_and_b32_e32 v3, 3, v20
	s_delay_alu instid0(VALU_DEP_2) | instskip(SKIP_1) | instid1(SALU_CYCLE_1)
	v_cmp_ne_u32_e32 vcc_lo, 0x7c, v1
                                        ; implicit-def: $vgpr1
	s_and_saveexec_b32 s10, vcc_lo
	s_xor_b32 s10, exec_lo, s10
	s_cbranch_execz .LBB6_3329
; %bb.3326:                             ;   in Loop: Header=BB6_3279 Depth=2
	v_and_b32_e32 v1, 0xff, v20
	s_mov_b32 s28, exec_lo
	s_delay_alu instid0(VALU_DEP_1) | instskip(NEXT) | instid1(VALU_DEP_1)
	v_bfe_u32 v1, v1, 2, 5
	v_cmpx_eq_u32_e32 0, v1
	s_cbranch_execz .LBB6_3328
; %bb.3327:                             ;   in Loop: Header=BB6_3279 Depth=2
	v_clz_i32_u32_e32 v1, v3
	s_delay_alu instid0(VALU_DEP_1) | instskip(SKIP_1) | instid1(VALU_DEP_2)
	v_min_u32_e32 v1, 32, v1
	v_mov_b32_e32 v21, v5
	v_subrev_nc_u32_e32 v3, 29, v1
	v_sub_nc_u32_e32 v1, 30, v1
	s_delay_alu instid0(VALU_DEP_2) | instskip(NEXT) | instid1(VALU_DEP_1)
	v_lshlrev_b64_e32 v[26:27], v3, v[20:21]
	v_and_b32_e32 v3, 3, v26
.LBB6_3328:                             ;   in Loop: Header=BB6_3279 Depth=2
	s_or_b32 exec_lo, exec_lo, s28
	v_bfe_i32 v4, v20, 0, 16
                                        ; implicit-def: $vgpr20
	s_delay_alu instid0(VALU_DEP_1) | instskip(NEXT) | instid1(VALU_DEP_1)
	v_and_b32_e32 v4, 0x80000000, v4
	v_lshl_add_u32 v1, v1, 23, v4
	s_delay_alu instid0(VALU_DEP_1) | instskip(NEXT) | instid1(VALU_DEP_1)
	v_lshl_or_b32 v1, v3, 21, v1
                                        ; implicit-def: $vgpr3
	v_add_nc_u32_e32 v1, 0x38000000, v1
.LBB6_3329:                             ;   in Loop: Header=BB6_3279 Depth=2
	s_and_not1_saveexec_b32 s28, s10
; %bb.3330:                             ;   in Loop: Header=BB6_3279 Depth=2
	v_cmp_lt_i16_e64 s10, -1, v20
	v_cmp_eq_u32_e32 vcc_lo, 0, v3
	s_delay_alu instid0(VALU_DEP_2) | instskip(NEXT) | instid1(VALU_DEP_1)
	v_cndmask_b32_e64 v1, 0xff800000, v109, s10
	v_cndmask_b32_e32 v1, 0x7f800001, v1, vcc_lo
; %bb.3331:                             ;   in Loop: Header=BB6_3279 Depth=2
	s_or_b32 exec_lo, exec_lo, s28
.LBB6_3332:                             ;   in Loop: Header=BB6_3279 Depth=2
	s_delay_alu instid0(SALU_CYCLE_1)
	s_or_b32 exec_lo, exec_lo, s27
.LBB6_3333:                             ;   in Loop: Header=BB6_3279 Depth=2
	s_delay_alu instid0(SALU_CYCLE_1) | instskip(NEXT) | instid1(SALU_CYCLE_1)
	s_or_b32 exec_lo, exec_lo, s26
	s_mov_b32 s26, exec_lo
	v_cmpx_ne_u16_e32 0, v18
	s_cbranch_execz .LBB6_3343
; %bb.3334:                             ;   in Loop: Header=BB6_3279 Depth=2
	v_bfrev_b32_e32 v0, 1
	s_mov_b32 s27, exec_lo
	v_cmpx_ne_u16_e32 0xff80, v18
	s_cbranch_execz .LBB6_3342
; %bb.3335:                             ;   in Loop: Header=BB6_3279 Depth=2
	v_and_b32_e32 v0, 0x7c, v18
	v_and_b32_e32 v3, 3, v18
	s_delay_alu instid0(VALU_DEP_2) | instskip(SKIP_1) | instid1(SALU_CYCLE_1)
	v_cmp_ne_u32_e32 vcc_lo, 0x7c, v0
                                        ; implicit-def: $vgpr0
	s_and_saveexec_b32 s10, vcc_lo
	s_xor_b32 s10, exec_lo, s10
	s_cbranch_execz .LBB6_3339
; %bb.3336:                             ;   in Loop: Header=BB6_3279 Depth=2
	v_and_b32_e32 v0, 0xff, v18
	s_mov_b32 s28, exec_lo
	s_delay_alu instid0(VALU_DEP_1) | instskip(NEXT) | instid1(VALU_DEP_1)
	v_bfe_u32 v0, v0, 2, 5
	v_cmpx_eq_u32_e32 0, v0
	s_cbranch_execz .LBB6_3338
; %bb.3337:                             ;   in Loop: Header=BB6_3279 Depth=2
	v_clz_i32_u32_e32 v0, v3
	s_delay_alu instid0(VALU_DEP_1) | instskip(SKIP_1) | instid1(VALU_DEP_2)
	v_min_u32_e32 v0, 32, v0
	v_mov_b32_e32 v19, v5
	v_subrev_nc_u32_e32 v3, 29, v0
	v_sub_nc_u32_e32 v0, 30, v0
	s_delay_alu instid0(VALU_DEP_2) | instskip(NEXT) | instid1(VALU_DEP_1)
	v_lshlrev_b64_e32 v[20:21], v3, v[18:19]
	v_and_b32_e32 v3, 3, v20
.LBB6_3338:                             ;   in Loop: Header=BB6_3279 Depth=2
	s_or_b32 exec_lo, exec_lo, s28
	v_bfe_i32 v4, v18, 0, 16
                                        ; implicit-def: $vgpr18
	s_delay_alu instid0(VALU_DEP_1) | instskip(NEXT) | instid1(VALU_DEP_1)
	v_and_b32_e32 v4, 0x80000000, v4
	v_lshl_add_u32 v0, v0, 23, v4
	s_delay_alu instid0(VALU_DEP_1) | instskip(NEXT) | instid1(VALU_DEP_1)
	v_lshl_or_b32 v0, v3, 21, v0
                                        ; implicit-def: $vgpr3
	v_add_nc_u32_e32 v0, 0x38000000, v0
.LBB6_3339:                             ;   in Loop: Header=BB6_3279 Depth=2
	s_and_not1_saveexec_b32 s28, s10
; %bb.3340:                             ;   in Loop: Header=BB6_3279 Depth=2
	v_cmp_lt_i16_e64 s10, -1, v18
	v_cmp_eq_u32_e32 vcc_lo, 0, v3
	s_delay_alu instid0(VALU_DEP_2) | instskip(NEXT) | instid1(VALU_DEP_1)
	v_cndmask_b32_e64 v0, 0xff800000, v109, s10
	v_cndmask_b32_e32 v0, 0x7f800001, v0, vcc_lo
; %bb.3341:                             ;   in Loop: Header=BB6_3279 Depth=2
	s_or_b32 exec_lo, exec_lo, s28
.LBB6_3342:                             ;   in Loop: Header=BB6_3279 Depth=2
	s_delay_alu instid0(SALU_CYCLE_1)
	s_or_b32 exec_lo, exec_lo, s27
.LBB6_3343:                             ;   in Loop: Header=BB6_3279 Depth=2
	s_delay_alu instid0(SALU_CYCLE_1) | instskip(NEXT) | instid1(VALU_DEP_1)
	s_or_b32 exec_lo, exec_lo, s26
	v_mul_f32_e32 v0, v1, v0
	v_mov_b32_e32 v19, v5
	s_delay_alu instid0(VALU_DEP_2) | instskip(SKIP_1) | instid1(VALU_DEP_2)
	v_and_b32_e32 v18, 0x7f800000, v0
	v_and_b32_e32 v4, 0x7fffff, v0
	v_cmp_ne_u64_e32 vcc_lo, 0x7f800000, v[18:19]
                                        ; implicit-def: $vgpr18
	s_and_saveexec_b32 s10, vcc_lo
	s_delay_alu instid0(SALU_CYCLE_1)
	s_xor_b32 s26, exec_lo, s10
	s_cbranch_execz .LBB6_3361
; %bb.3344:                             ;   in Loop: Header=BB6_3279 Depth=2
	v_and_b32_e32 v18, 0x7fffffff, v0
	v_dual_mov_b32 v19, v5 :: v_dual_lshrrev_b32 v1, 24, v0
	s_delay_alu instid0(VALU_DEP_1) | instskip(NEXT) | instid1(VALU_DEP_2)
	v_cmp_gt_u64_e32 vcc_lo, 0x47600001, v[18:19]
	v_and_b32_e32 v3, 0x80, v1
                                        ; implicit-def: $vgpr18
	s_and_saveexec_b32 s10, vcc_lo
	s_delay_alu instid0(SALU_CYCLE_1)
	s_xor_b32 s27, exec_lo, s10
	s_cbranch_execz .LBB6_3358
; %bb.3345:                             ;   in Loop: Header=BB6_3279 Depth=2
	v_mov_b32_e32 v18, 0
	s_mov_b32 s28, exec_lo
	v_cmpx_ne_u32_e32 0, v0
	s_cbranch_execz .LBB6_3357
; %bb.3346:                             ;   in Loop: Header=BB6_3279 Depth=2
	v_bfe_u32 v7, v0, 23, 8
	v_or_b32_e32 v1, 0x800000, v4
	s_delay_alu instid0(VALU_DEP_2) | instskip(SKIP_2) | instid1(VALU_DEP_2)
	v_cmp_gt_u32_e64 s10, 0x72, v7
	v_sub_nc_u32_e32 v0, 0x71, v7
	v_cmp_eq_u32_e32 vcc_lo, 0, v7
	v_cndmask_b32_e64 v0, 0, v0, s10
	s_delay_alu instid0(VALU_DEP_1) | instskip(SKIP_1) | instid1(VALU_DEP_2)
	v_cndmask_b32_e64 v9, v0, 0x70, vcc_lo
	v_cndmask_b32_e32 v0, v1, v4, vcc_lo
	v_dual_mov_b32 v1, v5 :: v_dual_add_nc_u32 v4, 21, v9
	s_delay_alu instid0(VALU_DEP_1) | instskip(SKIP_1) | instid1(VALU_DEP_1)
	v_lshlrev_b64_e64 v[18:19], v4, -1
	v_add_nc_u32_e32 v4, 20, v9
	v_lshlrev_b64_e64 v[20:21], v4, 1
	s_delay_alu instid0(VALU_DEP_3) | instskip(SKIP_2) | instid1(VALU_DEP_1)
	v_bfi_b32 v18, v18, 0, v0
	v_lshrrev_b64 v[0:1], v9, v[0:1]
	v_bfi_b32 v19, v19, 0, 0
	v_cmp_eq_u64_e64 s10, v[18:19], v[20:21]
	s_delay_alu instid0(VALU_DEP_3)
	v_mov_b64_e32 v[18:19], v[0:1]
	s_and_saveexec_b32 s29, s10
; %bb.3347:                             ;   in Loop: Header=BB6_3279 Depth=2
	v_bfe_u32 v18, v0, 21, 1
	v_mov_b32_e32 v19, v5
	s_delay_alu instid0(VALU_DEP_1) | instskip(NEXT) | instid1(VALU_DEP_1)
	v_add_nc_u64_e32 v[18:19], v[0:1], v[18:19]
	v_add_nc_u64_e32 v[18:19], -1, v[18:19]
; %bb.3348:                             ;   in Loop: Header=BB6_3279 Depth=2
	s_or_b32 exec_lo, exec_lo, s29
	v_add_nc_u32_e32 v1, 0xffffff81, v7
	v_lshrrev_b32_e32 v4, 23, v0
	s_mov_b32 s10, exec_lo
                                        ; implicit-def: $vgpr7
	s_delay_alu instid0(VALU_DEP_2) | instskip(NEXT) | instid1(VALU_DEP_1)
	v_cndmask_b32_e64 v1, v1, 0xffffff82, vcc_lo
	v_add3_u32 v17, v9, v1, v4
	v_and_b32_e32 v1, 0x1fffff, v18
	s_delay_alu instid0(VALU_DEP_1) | instskip(NEXT) | instid1(VALU_DEP_1)
	v_dual_add_nc_u32 v9, 14, v17 :: v_dual_add_nc_u32 v4, v1, v0
                                        ; implicit-def: $vgpr0_vgpr1
	v_cmpx_ne_u32_e32 0, v9
	s_xor_b32 s10, exec_lo, s10
; %bb.3349:                             ;   in Loop: Header=BB6_3279 Depth=2
	s_delay_alu instid0(VALU_DEP_2) | instskip(SKIP_1) | instid1(VALU_DEP_1)
	v_cmp_lt_u64_e32 vcc_lo, 0xffffff, v[4:5]
	v_add_nc_u32_e32 v0, 15, v17
	v_cndmask_b32_e32 v7, v9, v0, vcc_lo
	v_cndmask_b32_e64 v0, 0, 1, vcc_lo
	s_delay_alu instid0(VALU_DEP_1)
	v_lshrrev_b64 v[0:1], v0, v[4:5]
; %bb.3350:                             ;   in Loop: Header=BB6_3279 Depth=2
	s_and_not1_saveexec_b32 s10, s10
; %bb.3351:                             ;   in Loop: Header=BB6_3279 Depth=2
	v_mov_b64_e32 v[0:1], v[4:5]
	v_bfe_u32 v7, v4, 23, 1
; %bb.3352:                             ;   in Loop: Header=BB6_3279 Depth=2
	s_or_b32 exec_lo, exec_lo, s10
	s_delay_alu instid0(VALU_DEP_2) | instskip(NEXT) | instid1(VALU_DEP_2)
	v_lshrrev_b64 v[0:1], 21, v[0:1]
	v_cmp_gt_i32_e32 vcc_lo, 32, v7
	v_cmp_ne_u32_e64 s10, 0, v7
                                        ; implicit-def: $vgpr18
	s_delay_alu instid0(VALU_DEP_3) | instskip(NEXT) | instid1(VALU_DEP_1)
	v_dual_cndmask_b32 v1, 0, v1 :: v_dual_cndmask_b32 v0, 3, v0
	v_cmp_ne_u64_e32 vcc_lo, 0, v[0:1]
	s_or_b32 s10, s10, vcc_lo
	s_delay_alu instid0(SALU_CYCLE_1) | instskip(NEXT) | instid1(SALU_CYCLE_1)
	s_and_saveexec_b32 s29, s10
	s_xor_b32 s10, exec_lo, s29
; %bb.3353:                             ;   in Loop: Header=BB6_3279 Depth=2
	v_min_i32_e32 v1, 31, v7
	s_delay_alu instid0(VALU_DEP_1) | instskip(NEXT) | instid1(VALU_DEP_1)
	v_lshl_or_b32 v1, v1, 2, v3
                                        ; implicit-def: $vgpr3
	v_and_or_b32 v18, v0, 3, v1
; %bb.3354:                             ;   in Loop: Header=BB6_3279 Depth=2
	s_and_not1_saveexec_b32 s10, s10
; %bb.3355:                             ;   in Loop: Header=BB6_3279 Depth=2
	v_mov_b32_e32 v18, v3
; %bb.3356:                             ;   in Loop: Header=BB6_3279 Depth=2
	s_or_b32 exec_lo, exec_lo, s10
.LBB6_3357:                             ;   in Loop: Header=BB6_3279 Depth=2
	s_delay_alu instid0(SALU_CYCLE_1)
	s_or_b32 exec_lo, exec_lo, s28
                                        ; implicit-def: $vgpr3
.LBB6_3358:                             ;   in Loop: Header=BB6_3279 Depth=2
	s_and_not1_saveexec_b32 s10, s27
; %bb.3359:                             ;   in Loop: Header=BB6_3279 Depth=2
	v_or_b32_e32 v18, 0x7b, v3
; %bb.3360:                             ;   in Loop: Header=BB6_3279 Depth=2
	s_or_b32 exec_lo, exec_lo, s10
                                        ; implicit-def: $vgpr0
.LBB6_3361:                             ;   in Loop: Header=BB6_3279 Depth=2
	s_and_not1_saveexec_b32 s10, s26
	s_cbranch_execz .LBB6_3367
; %bb.3362:                             ;   in Loop: Header=BB6_3279 Depth=2
	s_mov_b32 s26, exec_lo
                                        ; implicit-def: $vgpr18
	v_cmpx_ne_u64_e32 0, v[4:5]
	s_xor_b32 s26, exec_lo, s26
; %bb.3363:                             ;   in Loop: Header=BB6_3279 Depth=2
	v_lshrrev_b32_e32 v0, 24, v0
	s_delay_alu instid0(VALU_DEP_1)
	v_or_b32_e32 v18, 0x7f, v0
                                        ; implicit-def: $vgpr0
; %bb.3364:                             ;   in Loop: Header=BB6_3279 Depth=2
	s_and_not1_saveexec_b32 s26, s26
; %bb.3365:                             ;   in Loop: Header=BB6_3279 Depth=2
	v_cmp_lt_i32_e32 vcc_lo, -1, v0
	v_cndmask_b32_e64 v18, -4, 0x7c, vcc_lo
; %bb.3366:                             ;   in Loop: Header=BB6_3279 Depth=2
	s_or_b32 exec_lo, exec_lo, s26
.LBB6_3367:                             ;   in Loop: Header=BB6_3279 Depth=2
	s_delay_alu instid0(SALU_CYCLE_1)
	s_or_b32 exec_lo, exec_lo, s10
	v_dual_mov_b32 v0, 0 :: v_dual_mov_b32 v1, 0
	s_mov_b32 s26, exec_lo
	v_cmpx_ne_u16_e32 0, v70
	s_cbranch_execz .LBB6_3377
; %bb.3368:                             ;   in Loop: Header=BB6_3279 Depth=2
	v_bfrev_b32_e32 v1, 1
	s_mov_b32 s27, exec_lo
	v_cmpx_ne_u16_e32 0xff80, v70
	s_cbranch_execz .LBB6_3376
; %bb.3369:                             ;   in Loop: Header=BB6_3279 Depth=2
	v_and_b32_e32 v1, 0x7c, v70
	v_and_b32_e32 v3, 3, v70
	s_delay_alu instid0(VALU_DEP_2) | instskip(SKIP_1) | instid1(SALU_CYCLE_1)
	v_cmp_ne_u32_e32 vcc_lo, 0x7c, v1
                                        ; implicit-def: $vgpr1
	s_and_saveexec_b32 s10, vcc_lo
	s_xor_b32 s10, exec_lo, s10
	s_cbranch_execz .LBB6_3373
; %bb.3370:                             ;   in Loop: Header=BB6_3279 Depth=2
	v_and_b32_e32 v1, 0xff, v70
	s_mov_b32 s28, exec_lo
	s_delay_alu instid0(VALU_DEP_1) | instskip(NEXT) | instid1(VALU_DEP_1)
	v_bfe_u32 v1, v1, 2, 5
	v_cmpx_eq_u32_e32 0, v1
	s_cbranch_execz .LBB6_3372
; %bb.3371:                             ;   in Loop: Header=BB6_3279 Depth=2
	v_clz_i32_u32_e32 v1, v3
	s_delay_alu instid0(VALU_DEP_1) | instskip(SKIP_1) | instid1(VALU_DEP_2)
	v_min_u32_e32 v1, 32, v1
	v_mov_b32_e32 v71, v5
	v_subrev_nc_u32_e32 v3, 29, v1
	v_sub_nc_u32_e32 v1, 30, v1
	s_delay_alu instid0(VALU_DEP_2) | instskip(NEXT) | instid1(VALU_DEP_1)
	v_lshlrev_b64_e32 v[20:21], v3, v[70:71]
	v_and_b32_e32 v3, 3, v20
.LBB6_3372:                             ;   in Loop: Header=BB6_3279 Depth=2
	s_or_b32 exec_lo, exec_lo, s28
	v_bfe_i32 v4, v70, 0, 16
                                        ; implicit-def: $vgpr70
	s_delay_alu instid0(VALU_DEP_1) | instskip(NEXT) | instid1(VALU_DEP_1)
	v_and_b32_e32 v4, 0x80000000, v4
	v_lshl_add_u32 v1, v1, 23, v4
	s_delay_alu instid0(VALU_DEP_1) | instskip(NEXT) | instid1(VALU_DEP_1)
	v_lshl_or_b32 v1, v3, 21, v1
                                        ; implicit-def: $vgpr3
	v_add_nc_u32_e32 v1, 0x38000000, v1
.LBB6_3373:                             ;   in Loop: Header=BB6_3279 Depth=2
	s_and_not1_saveexec_b32 s28, s10
; %bb.3374:                             ;   in Loop: Header=BB6_3279 Depth=2
	v_cmp_lt_i16_e64 s10, -1, v70
	v_cmp_eq_u32_e32 vcc_lo, 0, v3
	s_delay_alu instid0(VALU_DEP_2) | instskip(NEXT) | instid1(VALU_DEP_1)
	v_cndmask_b32_e64 v1, 0xff800000, v109, s10
	v_cndmask_b32_e32 v1, 0x7f800001, v1, vcc_lo
; %bb.3375:                             ;   in Loop: Header=BB6_3279 Depth=2
	s_or_b32 exec_lo, exec_lo, s28
.LBB6_3376:                             ;   in Loop: Header=BB6_3279 Depth=2
	s_delay_alu instid0(SALU_CYCLE_1)
	s_or_b32 exec_lo, exec_lo, s27
.LBB6_3377:                             ;   in Loop: Header=BB6_3279 Depth=2
	s_delay_alu instid0(SALU_CYCLE_1) | instskip(NEXT) | instid1(SALU_CYCLE_1)
	s_or_b32 exec_lo, exec_lo, s26
	s_mov_b32 s26, exec_lo
	v_cmpx_ne_u16_e32 0, v16
	s_cbranch_execz .LBB6_3387
; %bb.3378:                             ;   in Loop: Header=BB6_3279 Depth=2
	v_bfrev_b32_e32 v0, 1
	s_mov_b32 s27, exec_lo
	v_cmpx_ne_u16_e32 0xff80, v16
	s_cbranch_execz .LBB6_3386
; %bb.3379:                             ;   in Loop: Header=BB6_3279 Depth=2
	v_and_b32_e32 v0, 0x7c, v16
	v_and_b32_e32 v3, 3, v16
	s_delay_alu instid0(VALU_DEP_2) | instskip(SKIP_1) | instid1(SALU_CYCLE_1)
	v_cmp_ne_u32_e32 vcc_lo, 0x7c, v0
                                        ; implicit-def: $vgpr0
	s_and_saveexec_b32 s10, vcc_lo
	s_xor_b32 s10, exec_lo, s10
	s_cbranch_execz .LBB6_3383
; %bb.3380:                             ;   in Loop: Header=BB6_3279 Depth=2
	v_and_b32_e32 v0, 0xff, v16
	s_mov_b32 s28, exec_lo
	s_delay_alu instid0(VALU_DEP_1) | instskip(NEXT) | instid1(VALU_DEP_1)
	v_bfe_u32 v0, v0, 2, 5
	v_cmpx_eq_u32_e32 0, v0
	s_cbranch_execz .LBB6_3382
; %bb.3381:                             ;   in Loop: Header=BB6_3279 Depth=2
	v_clz_i32_u32_e32 v0, v3
	s_delay_alu instid0(VALU_DEP_1) | instskip(SKIP_1) | instid1(VALU_DEP_2)
	v_min_u32_e32 v0, 32, v0
	v_mov_b32_e32 v17, v5
	v_subrev_nc_u32_e32 v3, 29, v0
	v_sub_nc_u32_e32 v0, 30, v0
	s_delay_alu instid0(VALU_DEP_2) | instskip(NEXT) | instid1(VALU_DEP_1)
	v_lshlrev_b64_e32 v[20:21], v3, v[16:17]
	v_and_b32_e32 v3, 3, v20
.LBB6_3382:                             ;   in Loop: Header=BB6_3279 Depth=2
	s_or_b32 exec_lo, exec_lo, s28
	v_bfe_i32 v4, v16, 0, 16
                                        ; implicit-def: $vgpr16
	s_delay_alu instid0(VALU_DEP_1) | instskip(NEXT) | instid1(VALU_DEP_1)
	v_and_b32_e32 v4, 0x80000000, v4
	v_lshl_add_u32 v0, v0, 23, v4
	s_delay_alu instid0(VALU_DEP_1) | instskip(NEXT) | instid1(VALU_DEP_1)
	v_lshl_or_b32 v0, v3, 21, v0
                                        ; implicit-def: $vgpr3
	v_add_nc_u32_e32 v0, 0x38000000, v0
.LBB6_3383:                             ;   in Loop: Header=BB6_3279 Depth=2
	s_and_not1_saveexec_b32 s28, s10
; %bb.3384:                             ;   in Loop: Header=BB6_3279 Depth=2
	v_cmp_lt_i16_e64 s10, -1, v16
	v_cmp_eq_u32_e32 vcc_lo, 0, v3
	s_delay_alu instid0(VALU_DEP_2) | instskip(NEXT) | instid1(VALU_DEP_1)
	v_cndmask_b32_e64 v0, 0xff800000, v109, s10
	v_cndmask_b32_e32 v0, 0x7f800001, v0, vcc_lo
; %bb.3385:                             ;   in Loop: Header=BB6_3279 Depth=2
	s_or_b32 exec_lo, exec_lo, s28
.LBB6_3386:                             ;   in Loop: Header=BB6_3279 Depth=2
	s_delay_alu instid0(SALU_CYCLE_1)
	s_or_b32 exec_lo, exec_lo, s27
.LBB6_3387:                             ;   in Loop: Header=BB6_3279 Depth=2
	s_delay_alu instid0(SALU_CYCLE_1) | instskip(NEXT) | instid1(VALU_DEP_1)
	s_or_b32 exec_lo, exec_lo, s26
	v_mul_f32_e32 v0, v1, v0
	v_mov_b32_e32 v17, v5
                                        ; implicit-def: $vgpr19
	s_mov_b32 s10, exec_lo
	s_delay_alu instid0(VALU_DEP_2) | instskip(SKIP_1) | instid1(VALU_DEP_2)
	v_and_b32_e32 v16, 0x7f800000, v0
	v_and_b32_e32 v4, 0x7fffff, v0
	v_cmpx_ne_u64_e32 0x7f800000, v[16:17]
	s_xor_b32 s26, exec_lo, s10
	s_cbranch_execz .LBB6_3405
; %bb.3388:                             ;   in Loop: Header=BB6_3279 Depth=2
	v_dual_mov_b32 v17, v5 :: v_dual_lshrrev_b32 v1, 24, v0
	v_and_b32_e32 v16, 0x7fffffff, v0
                                        ; implicit-def: $vgpr19
	s_mov_b32 s10, exec_lo
	s_delay_alu instid0(VALU_DEP_2) | instskip(NEXT) | instid1(VALU_DEP_2)
	v_and_b32_e32 v3, 0x80, v1
	v_cmpx_gt_u64_e32 0x47600001, v[16:17]
	s_xor_b32 s27, exec_lo, s10
	s_cbranch_execz .LBB6_3402
; %bb.3389:                             ;   in Loop: Header=BB6_3279 Depth=2
	v_mov_b32_e32 v19, 0
	s_mov_b32 s28, exec_lo
	v_cmpx_ne_u32_e32 0, v0
	s_cbranch_execz .LBB6_3401
; %bb.3390:                             ;   in Loop: Header=BB6_3279 Depth=2
	v_bfe_u32 v7, v0, 23, 8
	v_or_b32_e32 v1, 0x800000, v4
	s_delay_alu instid0(VALU_DEP_2) | instskip(SKIP_2) | instid1(VALU_DEP_2)
	v_cmp_gt_u32_e64 s10, 0x72, v7
	v_sub_nc_u32_e32 v0, 0x71, v7
	v_cmp_eq_u32_e32 vcc_lo, 0, v7
	v_cndmask_b32_e64 v0, 0, v0, s10
	s_delay_alu instid0(VALU_DEP_1) | instskip(SKIP_1) | instid1(VALU_DEP_2)
	v_cndmask_b32_e64 v9, v0, 0x70, vcc_lo
	v_cndmask_b32_e32 v0, v1, v4, vcc_lo
	v_dual_mov_b32 v1, v5 :: v_dual_add_nc_u32 v4, 21, v9
	s_delay_alu instid0(VALU_DEP_1) | instskip(SKIP_1) | instid1(VALU_DEP_1)
	v_lshlrev_b64_e64 v[16:17], v4, -1
	v_add_nc_u32_e32 v4, 20, v9
	v_lshlrev_b64_e64 v[20:21], v4, 1
	s_delay_alu instid0(VALU_DEP_3) | instskip(SKIP_2) | instid1(VALU_DEP_1)
	v_bfi_b32 v16, v16, 0, v0
	v_lshrrev_b64 v[0:1], v9, v[0:1]
	v_bfi_b32 v17, v17, 0, 0
	v_cmp_eq_u64_e64 s10, v[16:17], v[20:21]
	s_delay_alu instid0(VALU_DEP_3)
	v_mov_b64_e32 v[16:17], v[0:1]
	s_and_saveexec_b32 s29, s10
; %bb.3391:                             ;   in Loop: Header=BB6_3279 Depth=2
	v_bfe_u32 v16, v0, 21, 1
	v_mov_b32_e32 v17, v5
	s_delay_alu instid0(VALU_DEP_1) | instskip(NEXT) | instid1(VALU_DEP_1)
	v_add_nc_u64_e32 v[16:17], v[0:1], v[16:17]
	v_add_nc_u64_e32 v[16:17], -1, v[16:17]
; %bb.3392:                             ;   in Loop: Header=BB6_3279 Depth=2
	s_or_b32 exec_lo, exec_lo, s29
	v_add_nc_u32_e32 v1, 0xffffff81, v7
	v_lshrrev_b32_e32 v4, 23, v0
	s_mov_b32 s10, exec_lo
                                        ; implicit-def: $vgpr7
	s_delay_alu instid0(VALU_DEP_2) | instskip(NEXT) | instid1(VALU_DEP_1)
	v_cndmask_b32_e64 v1, v1, 0xffffff82, vcc_lo
	v_add3_u32 v17, v9, v1, v4
	v_and_b32_e32 v1, 0x1fffff, v16
	s_delay_alu instid0(VALU_DEP_1) | instskip(NEXT) | instid1(VALU_DEP_1)
	v_dual_add_nc_u32 v9, 14, v17 :: v_dual_add_nc_u32 v4, v1, v0
                                        ; implicit-def: $vgpr0_vgpr1
	v_cmpx_ne_u32_e32 0, v9
	s_xor_b32 s10, exec_lo, s10
; %bb.3393:                             ;   in Loop: Header=BB6_3279 Depth=2
	s_delay_alu instid0(VALU_DEP_2) | instskip(SKIP_1) | instid1(VALU_DEP_1)
	v_cmp_lt_u64_e32 vcc_lo, 0xffffff, v[4:5]
	v_add_nc_u32_e32 v0, 15, v17
	v_cndmask_b32_e32 v7, v9, v0, vcc_lo
	v_cndmask_b32_e64 v0, 0, 1, vcc_lo
	s_delay_alu instid0(VALU_DEP_1)
	v_lshrrev_b64 v[0:1], v0, v[4:5]
; %bb.3394:                             ;   in Loop: Header=BB6_3279 Depth=2
	s_and_not1_saveexec_b32 s10, s10
; %bb.3395:                             ;   in Loop: Header=BB6_3279 Depth=2
	v_mov_b64_e32 v[0:1], v[4:5]
	v_bfe_u32 v7, v4, 23, 1
; %bb.3396:                             ;   in Loop: Header=BB6_3279 Depth=2
	s_or_b32 exec_lo, exec_lo, s10
	s_delay_alu instid0(VALU_DEP_2) | instskip(NEXT) | instid1(VALU_DEP_2)
	v_lshrrev_b64 v[0:1], 21, v[0:1]
	v_cmp_gt_i32_e32 vcc_lo, 32, v7
	v_cmp_ne_u32_e64 s10, 0, v7
                                        ; implicit-def: $vgpr19
	s_delay_alu instid0(VALU_DEP_3) | instskip(NEXT) | instid1(VALU_DEP_1)
	v_dual_cndmask_b32 v1, 0, v1 :: v_dual_cndmask_b32 v0, 3, v0
	v_cmp_ne_u64_e32 vcc_lo, 0, v[0:1]
	s_or_b32 s10, s10, vcc_lo
	s_delay_alu instid0(SALU_CYCLE_1) | instskip(NEXT) | instid1(SALU_CYCLE_1)
	s_and_saveexec_b32 s29, s10
	s_xor_b32 s10, exec_lo, s29
; %bb.3397:                             ;   in Loop: Header=BB6_3279 Depth=2
	v_min_i32_e32 v1, 31, v7
	s_delay_alu instid0(VALU_DEP_1) | instskip(NEXT) | instid1(VALU_DEP_1)
	v_lshl_or_b32 v1, v1, 2, v3
                                        ; implicit-def: $vgpr3
	v_and_or_b32 v19, v0, 3, v1
; %bb.3398:                             ;   in Loop: Header=BB6_3279 Depth=2
	s_and_not1_saveexec_b32 s10, s10
; %bb.3399:                             ;   in Loop: Header=BB6_3279 Depth=2
	v_mov_b32_e32 v19, v3
; %bb.3400:                             ;   in Loop: Header=BB6_3279 Depth=2
	s_or_b32 exec_lo, exec_lo, s10
.LBB6_3401:                             ;   in Loop: Header=BB6_3279 Depth=2
	s_delay_alu instid0(SALU_CYCLE_1)
	s_or_b32 exec_lo, exec_lo, s28
                                        ; implicit-def: $vgpr3
.LBB6_3402:                             ;   in Loop: Header=BB6_3279 Depth=2
	s_and_not1_saveexec_b32 s10, s27
; %bb.3403:                             ;   in Loop: Header=BB6_3279 Depth=2
	v_or_b32_e32 v19, 0x7b, v3
; %bb.3404:                             ;   in Loop: Header=BB6_3279 Depth=2
	s_or_b32 exec_lo, exec_lo, s10
                                        ; implicit-def: $vgpr0
.LBB6_3405:                             ;   in Loop: Header=BB6_3279 Depth=2
	s_and_not1_saveexec_b32 s10, s26
	s_cbranch_execz .LBB6_3411
; %bb.3406:                             ;   in Loop: Header=BB6_3279 Depth=2
	s_mov_b32 s26, exec_lo
                                        ; implicit-def: $vgpr19
	v_cmpx_ne_u64_e32 0, v[4:5]
	s_xor_b32 s26, exec_lo, s26
; %bb.3407:                             ;   in Loop: Header=BB6_3279 Depth=2
	v_lshrrev_b32_e32 v0, 24, v0
	s_delay_alu instid0(VALU_DEP_1)
	v_or_b32_e32 v19, 0x7f, v0
                                        ; implicit-def: $vgpr0
; %bb.3408:                             ;   in Loop: Header=BB6_3279 Depth=2
	s_and_not1_saveexec_b32 s26, s26
; %bb.3409:                             ;   in Loop: Header=BB6_3279 Depth=2
	v_cmp_lt_i32_e32 vcc_lo, -1, v0
	v_cndmask_b32_e64 v19, -4, 0x7c, vcc_lo
; %bb.3410:                             ;   in Loop: Header=BB6_3279 Depth=2
	s_or_b32 exec_lo, exec_lo, s26
.LBB6_3411:                             ;   in Loop: Header=BB6_3279 Depth=2
	s_delay_alu instid0(SALU_CYCLE_1)
	s_or_b32 exec_lo, exec_lo, s10
	v_dual_mov_b32 v0, 0 :: v_dual_mov_b32 v1, 0
	s_mov_b32 s26, exec_lo
	v_cmpx_ne_u16_e32 0, v64
	s_cbranch_execz .LBB6_3421
; %bb.3412:                             ;   in Loop: Header=BB6_3279 Depth=2
	v_bfrev_b32_e32 v1, 1
	s_mov_b32 s27, exec_lo
	v_cmpx_ne_u16_e32 0xff80, v64
	s_cbranch_execz .LBB6_3420
; %bb.3413:                             ;   in Loop: Header=BB6_3279 Depth=2
	v_and_b32_e32 v1, 0x7c, v64
	v_and_b32_e32 v3, 3, v64
	s_delay_alu instid0(VALU_DEP_2) | instskip(SKIP_1) | instid1(SALU_CYCLE_1)
	v_cmp_ne_u32_e32 vcc_lo, 0x7c, v1
                                        ; implicit-def: $vgpr1
	s_and_saveexec_b32 s10, vcc_lo
	s_xor_b32 s10, exec_lo, s10
	s_cbranch_execz .LBB6_3417
; %bb.3414:                             ;   in Loop: Header=BB6_3279 Depth=2
	v_and_b32_e32 v1, 0xff, v64
	s_mov_b32 s28, exec_lo
	s_delay_alu instid0(VALU_DEP_1) | instskip(NEXT) | instid1(VALU_DEP_1)
	v_bfe_u32 v1, v1, 2, 5
	v_cmpx_eq_u32_e32 0, v1
	s_cbranch_execz .LBB6_3416
; %bb.3415:                             ;   in Loop: Header=BB6_3279 Depth=2
	v_clz_i32_u32_e32 v1, v3
	s_delay_alu instid0(VALU_DEP_1) | instskip(SKIP_1) | instid1(VALU_DEP_2)
	v_min_u32_e32 v1, 32, v1
	v_mov_b32_e32 v65, v5
	v_subrev_nc_u32_e32 v3, 29, v1
	v_sub_nc_u32_e32 v1, 30, v1
	s_delay_alu instid0(VALU_DEP_2) | instskip(NEXT) | instid1(VALU_DEP_1)
	v_lshlrev_b64_e32 v[16:17], v3, v[64:65]
	v_and_b32_e32 v3, 3, v16
.LBB6_3416:                             ;   in Loop: Header=BB6_3279 Depth=2
	s_or_b32 exec_lo, exec_lo, s28
	v_bfe_i32 v4, v64, 0, 16
                                        ; implicit-def: $vgpr64
	s_delay_alu instid0(VALU_DEP_1) | instskip(NEXT) | instid1(VALU_DEP_1)
	v_and_b32_e32 v4, 0x80000000, v4
	v_lshl_add_u32 v1, v1, 23, v4
	s_delay_alu instid0(VALU_DEP_1) | instskip(NEXT) | instid1(VALU_DEP_1)
	v_lshl_or_b32 v1, v3, 21, v1
                                        ; implicit-def: $vgpr3
	v_add_nc_u32_e32 v1, 0x38000000, v1
.LBB6_3417:                             ;   in Loop: Header=BB6_3279 Depth=2
	s_and_not1_saveexec_b32 s28, s10
; %bb.3418:                             ;   in Loop: Header=BB6_3279 Depth=2
	v_cmp_lt_i16_e64 s10, -1, v64
	v_cmp_eq_u32_e32 vcc_lo, 0, v3
	s_delay_alu instid0(VALU_DEP_2) | instskip(NEXT) | instid1(VALU_DEP_1)
	v_cndmask_b32_e64 v1, 0xff800000, v109, s10
	v_cndmask_b32_e32 v1, 0x7f800001, v1, vcc_lo
; %bb.3419:                             ;   in Loop: Header=BB6_3279 Depth=2
	s_or_b32 exec_lo, exec_lo, s28
.LBB6_3420:                             ;   in Loop: Header=BB6_3279 Depth=2
	s_delay_alu instid0(SALU_CYCLE_1)
	s_or_b32 exec_lo, exec_lo, s27
.LBB6_3421:                             ;   in Loop: Header=BB6_3279 Depth=2
	s_delay_alu instid0(SALU_CYCLE_1) | instskip(NEXT) | instid1(SALU_CYCLE_1)
	s_or_b32 exec_lo, exec_lo, s26
	s_mov_b32 s26, exec_lo
	v_cmpx_ne_u16_e32 0, v116
	s_cbranch_execz .LBB6_3431
; %bb.3422:                             ;   in Loop: Header=BB6_3279 Depth=2
	v_bfrev_b32_e32 v0, 1
	s_mov_b32 s27, exec_lo
	v_cmpx_ne_u16_e32 0xff80, v116
	s_cbranch_execz .LBB6_3430
; %bb.3423:                             ;   in Loop: Header=BB6_3279 Depth=2
	v_and_b32_e32 v0, 0x7c, v116
	v_and_b32_e32 v3, 3, v116
	s_delay_alu instid0(VALU_DEP_2) | instskip(SKIP_1) | instid1(SALU_CYCLE_1)
	v_cmp_ne_u32_e32 vcc_lo, 0x7c, v0
                                        ; implicit-def: $vgpr0
	s_and_saveexec_b32 s10, vcc_lo
	s_xor_b32 s10, exec_lo, s10
	s_cbranch_execz .LBB6_3427
; %bb.3424:                             ;   in Loop: Header=BB6_3279 Depth=2
	v_and_b32_e32 v0, 0xff, v116
	s_mov_b32 s28, exec_lo
	s_delay_alu instid0(VALU_DEP_1) | instskip(NEXT) | instid1(VALU_DEP_1)
	v_bfe_u32 v0, v0, 2, 5
	v_cmpx_eq_u32_e32 0, v0
	s_cbranch_execz .LBB6_3426
; %bb.3425:                             ;   in Loop: Header=BB6_3279 Depth=2
	v_clz_i32_u32_e32 v0, v3
	s_delay_alu instid0(VALU_DEP_1) | instskip(SKIP_1) | instid1(VALU_DEP_2)
	v_min_u32_e32 v0, 32, v0
	v_mov_b32_e32 v117, v5
	v_subrev_nc_u32_e32 v3, 29, v0
	v_sub_nc_u32_e32 v0, 30, v0
	s_delay_alu instid0(VALU_DEP_2) | instskip(NEXT) | instid1(VALU_DEP_1)
	v_lshlrev_b64_e32 v[16:17], v3, v[116:117]
	v_and_b32_e32 v3, 3, v16
.LBB6_3426:                             ;   in Loop: Header=BB6_3279 Depth=2
	s_or_b32 exec_lo, exec_lo, s28
	v_bfe_i32 v4, v116, 0, 16
                                        ; implicit-def: $vgpr116
	s_delay_alu instid0(VALU_DEP_1) | instskip(NEXT) | instid1(VALU_DEP_1)
	v_and_b32_e32 v4, 0x80000000, v4
	v_lshl_add_u32 v0, v0, 23, v4
	s_delay_alu instid0(VALU_DEP_1) | instskip(NEXT) | instid1(VALU_DEP_1)
	v_lshl_or_b32 v0, v3, 21, v0
                                        ; implicit-def: $vgpr3
	v_add_nc_u32_e32 v0, 0x38000000, v0
.LBB6_3427:                             ;   in Loop: Header=BB6_3279 Depth=2
	s_and_not1_saveexec_b32 s28, s10
; %bb.3428:                             ;   in Loop: Header=BB6_3279 Depth=2
	v_cmp_lt_i16_e64 s10, -1, v116
	v_cmp_eq_u32_e32 vcc_lo, 0, v3
	s_delay_alu instid0(VALU_DEP_2) | instskip(NEXT) | instid1(VALU_DEP_1)
	v_cndmask_b32_e64 v0, 0xff800000, v109, s10
	v_cndmask_b32_e32 v0, 0x7f800001, v0, vcc_lo
; %bb.3429:                             ;   in Loop: Header=BB6_3279 Depth=2
	s_or_b32 exec_lo, exec_lo, s28
.LBB6_3430:                             ;   in Loop: Header=BB6_3279 Depth=2
	s_delay_alu instid0(SALU_CYCLE_1)
	s_or_b32 exec_lo, exec_lo, s27
.LBB6_3431:                             ;   in Loop: Header=BB6_3279 Depth=2
	s_delay_alu instid0(SALU_CYCLE_1) | instskip(NEXT) | instid1(VALU_DEP_1)
	s_or_b32 exec_lo, exec_lo, s26
	v_mul_f32_e32 v0, v1, v0
	v_mov_b32_e32 v17, v5
	s_delay_alu instid0(VALU_DEP_2) | instskip(SKIP_1) | instid1(VALU_DEP_2)
	v_and_b32_e32 v16, 0x7f800000, v0
	v_and_b32_e32 v4, 0x7fffff, v0
	v_cmp_ne_u64_e32 vcc_lo, 0x7f800000, v[16:17]
                                        ; implicit-def: $vgpr16
	s_and_saveexec_b32 s10, vcc_lo
	s_delay_alu instid0(SALU_CYCLE_1)
	s_xor_b32 s26, exec_lo, s10
	s_cbranch_execz .LBB6_3449
; %bb.3432:                             ;   in Loop: Header=BB6_3279 Depth=2
	v_and_b32_e32 v16, 0x7fffffff, v0
	v_dual_mov_b32 v17, v5 :: v_dual_lshrrev_b32 v1, 24, v0
	s_delay_alu instid0(VALU_DEP_1) | instskip(NEXT) | instid1(VALU_DEP_2)
	v_cmp_gt_u64_e32 vcc_lo, 0x47600001, v[16:17]
	v_and_b32_e32 v3, 0x80, v1
                                        ; implicit-def: $vgpr16
	s_and_saveexec_b32 s10, vcc_lo
	s_delay_alu instid0(SALU_CYCLE_1)
	s_xor_b32 s27, exec_lo, s10
	s_cbranch_execz .LBB6_3446
; %bb.3433:                             ;   in Loop: Header=BB6_3279 Depth=2
	v_mov_b32_e32 v16, 0
	s_mov_b32 s28, exec_lo
	v_cmpx_ne_u32_e32 0, v0
	s_cbranch_execz .LBB6_3445
; %bb.3434:                             ;   in Loop: Header=BB6_3279 Depth=2
	v_bfe_u32 v7, v0, 23, 8
	v_or_b32_e32 v1, 0x800000, v4
	s_delay_alu instid0(VALU_DEP_2) | instskip(SKIP_2) | instid1(VALU_DEP_2)
	v_cmp_gt_u32_e64 s10, 0x72, v7
	v_sub_nc_u32_e32 v0, 0x71, v7
	v_cmp_eq_u32_e32 vcc_lo, 0, v7
	v_cndmask_b32_e64 v0, 0, v0, s10
	s_delay_alu instid0(VALU_DEP_1) | instskip(SKIP_1) | instid1(VALU_DEP_2)
	v_cndmask_b32_e64 v9, v0, 0x70, vcc_lo
	v_cndmask_b32_e32 v0, v1, v4, vcc_lo
	v_dual_mov_b32 v1, v5 :: v_dual_add_nc_u32 v4, 21, v9
	s_delay_alu instid0(VALU_DEP_1) | instskip(SKIP_1) | instid1(VALU_DEP_1)
	v_lshlrev_b64_e64 v[16:17], v4, -1
	v_add_nc_u32_e32 v4, 20, v9
	v_lshlrev_b64_e64 v[20:21], v4, 1
	s_delay_alu instid0(VALU_DEP_3) | instskip(SKIP_2) | instid1(VALU_DEP_1)
	v_bfi_b32 v16, v16, 0, v0
	v_lshrrev_b64 v[0:1], v9, v[0:1]
	v_bfi_b32 v17, v17, 0, 0
	v_cmp_eq_u64_e64 s10, v[16:17], v[20:21]
	s_delay_alu instid0(VALU_DEP_3)
	v_mov_b64_e32 v[16:17], v[0:1]
	s_and_saveexec_b32 s29, s10
; %bb.3435:                             ;   in Loop: Header=BB6_3279 Depth=2
	v_bfe_u32 v16, v0, 21, 1
	v_mov_b32_e32 v17, v5
	s_delay_alu instid0(VALU_DEP_1) | instskip(NEXT) | instid1(VALU_DEP_1)
	v_add_nc_u64_e32 v[16:17], v[0:1], v[16:17]
	v_add_nc_u64_e32 v[16:17], -1, v[16:17]
; %bb.3436:                             ;   in Loop: Header=BB6_3279 Depth=2
	s_or_b32 exec_lo, exec_lo, s29
	v_add_nc_u32_e32 v1, 0xffffff81, v7
	v_lshrrev_b32_e32 v4, 23, v0
	s_mov_b32 s10, exec_lo
                                        ; implicit-def: $vgpr7
	s_delay_alu instid0(VALU_DEP_2) | instskip(NEXT) | instid1(VALU_DEP_1)
	v_cndmask_b32_e64 v1, v1, 0xffffff82, vcc_lo
	v_add3_u32 v17, v9, v1, v4
	v_and_b32_e32 v1, 0x1fffff, v16
	s_delay_alu instid0(VALU_DEP_1) | instskip(NEXT) | instid1(VALU_DEP_1)
	v_dual_add_nc_u32 v9, 14, v17 :: v_dual_add_nc_u32 v4, v1, v0
                                        ; implicit-def: $vgpr0_vgpr1
	v_cmpx_ne_u32_e32 0, v9
	s_xor_b32 s10, exec_lo, s10
; %bb.3437:                             ;   in Loop: Header=BB6_3279 Depth=2
	s_delay_alu instid0(VALU_DEP_2) | instskip(SKIP_1) | instid1(VALU_DEP_1)
	v_cmp_lt_u64_e32 vcc_lo, 0xffffff, v[4:5]
	v_add_nc_u32_e32 v0, 15, v17
	v_cndmask_b32_e32 v7, v9, v0, vcc_lo
	v_cndmask_b32_e64 v0, 0, 1, vcc_lo
	s_delay_alu instid0(VALU_DEP_1)
	v_lshrrev_b64 v[0:1], v0, v[4:5]
; %bb.3438:                             ;   in Loop: Header=BB6_3279 Depth=2
	s_and_not1_saveexec_b32 s10, s10
; %bb.3439:                             ;   in Loop: Header=BB6_3279 Depth=2
	v_mov_b64_e32 v[0:1], v[4:5]
	v_bfe_u32 v7, v4, 23, 1
; %bb.3440:                             ;   in Loop: Header=BB6_3279 Depth=2
	s_or_b32 exec_lo, exec_lo, s10
	s_delay_alu instid0(VALU_DEP_2) | instskip(NEXT) | instid1(VALU_DEP_2)
	v_lshrrev_b64 v[0:1], 21, v[0:1]
	v_cmp_gt_i32_e32 vcc_lo, 32, v7
	v_cmp_ne_u32_e64 s10, 0, v7
                                        ; implicit-def: $vgpr16
	s_delay_alu instid0(VALU_DEP_3) | instskip(NEXT) | instid1(VALU_DEP_1)
	v_dual_cndmask_b32 v1, 0, v1 :: v_dual_cndmask_b32 v0, 3, v0
	v_cmp_ne_u64_e32 vcc_lo, 0, v[0:1]
	s_or_b32 s10, s10, vcc_lo
	s_delay_alu instid0(SALU_CYCLE_1) | instskip(NEXT) | instid1(SALU_CYCLE_1)
	s_and_saveexec_b32 s29, s10
	s_xor_b32 s10, exec_lo, s29
; %bb.3441:                             ;   in Loop: Header=BB6_3279 Depth=2
	v_min_i32_e32 v1, 31, v7
	s_delay_alu instid0(VALU_DEP_1) | instskip(NEXT) | instid1(VALU_DEP_1)
	v_lshl_or_b32 v1, v1, 2, v3
                                        ; implicit-def: $vgpr3
	v_and_or_b32 v16, v0, 3, v1
; %bb.3442:                             ;   in Loop: Header=BB6_3279 Depth=2
	s_and_not1_saveexec_b32 s10, s10
; %bb.3443:                             ;   in Loop: Header=BB6_3279 Depth=2
	v_mov_b32_e32 v16, v3
; %bb.3444:                             ;   in Loop: Header=BB6_3279 Depth=2
	s_or_b32 exec_lo, exec_lo, s10
.LBB6_3445:                             ;   in Loop: Header=BB6_3279 Depth=2
	s_delay_alu instid0(SALU_CYCLE_1)
	s_or_b32 exec_lo, exec_lo, s28
                                        ; implicit-def: $vgpr3
.LBB6_3446:                             ;   in Loop: Header=BB6_3279 Depth=2
	s_and_not1_saveexec_b32 s10, s27
; %bb.3447:                             ;   in Loop: Header=BB6_3279 Depth=2
	v_or_b32_e32 v16, 0x7b, v3
; %bb.3448:                             ;   in Loop: Header=BB6_3279 Depth=2
	s_or_b32 exec_lo, exec_lo, s10
                                        ; implicit-def: $vgpr0
.LBB6_3449:                             ;   in Loop: Header=BB6_3279 Depth=2
	s_and_not1_saveexec_b32 s10, s26
	s_cbranch_execz .LBB6_3455
; %bb.3450:                             ;   in Loop: Header=BB6_3279 Depth=2
	s_mov_b32 s26, exec_lo
                                        ; implicit-def: $vgpr16
	v_cmpx_ne_u64_e32 0, v[4:5]
	s_xor_b32 s26, exec_lo, s26
; %bb.3451:                             ;   in Loop: Header=BB6_3279 Depth=2
	v_lshrrev_b32_e32 v0, 24, v0
	s_delay_alu instid0(VALU_DEP_1)
	v_or_b32_e32 v16, 0x7f, v0
                                        ; implicit-def: $vgpr0
; %bb.3452:                             ;   in Loop: Header=BB6_3279 Depth=2
	s_and_not1_saveexec_b32 s26, s26
; %bb.3453:                             ;   in Loop: Header=BB6_3279 Depth=2
	v_cmp_lt_i32_e32 vcc_lo, -1, v0
	v_cndmask_b32_e64 v16, -4, 0x7c, vcc_lo
; %bb.3454:                             ;   in Loop: Header=BB6_3279 Depth=2
	s_or_b32 exec_lo, exec_lo, s26
.LBB6_3455:                             ;   in Loop: Header=BB6_3279 Depth=2
	s_delay_alu instid0(SALU_CYCLE_1)
	s_or_b32 exec_lo, exec_lo, s10
	v_dual_mov_b32 v0, 0 :: v_dual_mov_b32 v1, 0
	s_mov_b32 s26, exec_lo
	v_cmpx_ne_u16_e32 0, v8
	s_cbranch_execz .LBB6_3465
; %bb.3456:                             ;   in Loop: Header=BB6_3279 Depth=2
	v_bfrev_b32_e32 v1, 1
	s_mov_b32 s27, exec_lo
	v_cmpx_ne_u16_e32 0xff80, v8
	s_cbranch_execz .LBB6_3464
; %bb.3457:                             ;   in Loop: Header=BB6_3279 Depth=2
	v_and_b32_e32 v1, 0x7c, v8
	v_and_b32_e32 v3, 3, v8
	s_delay_alu instid0(VALU_DEP_2) | instskip(SKIP_1) | instid1(SALU_CYCLE_1)
	v_cmp_ne_u32_e32 vcc_lo, 0x7c, v1
                                        ; implicit-def: $vgpr1
	s_and_saveexec_b32 s10, vcc_lo
	s_xor_b32 s10, exec_lo, s10
	s_cbranch_execz .LBB6_3461
; %bb.3458:                             ;   in Loop: Header=BB6_3279 Depth=2
	v_and_b32_e32 v1, 0xff, v8
	s_mov_b32 s28, exec_lo
	s_delay_alu instid0(VALU_DEP_1) | instskip(NEXT) | instid1(VALU_DEP_1)
	v_bfe_u32 v1, v1, 2, 5
	v_cmpx_eq_u32_e32 0, v1
	s_cbranch_execz .LBB6_3460
; %bb.3459:                             ;   in Loop: Header=BB6_3279 Depth=2
	v_clz_i32_u32_e32 v1, v3
	s_delay_alu instid0(VALU_DEP_1) | instskip(SKIP_1) | instid1(VALU_DEP_2)
	v_min_u32_e32 v1, 32, v1
	v_mov_b32_e32 v9, v5
	v_subrev_nc_u32_e32 v3, 29, v1
	v_sub_nc_u32_e32 v1, 30, v1
	s_delay_alu instid0(VALU_DEP_2) | instskip(NEXT) | instid1(VALU_DEP_1)
	v_lshlrev_b64_e32 v[20:21], v3, v[8:9]
	v_and_b32_e32 v3, 3, v20
.LBB6_3460:                             ;   in Loop: Header=BB6_3279 Depth=2
	s_or_b32 exec_lo, exec_lo, s28
	v_bfe_i32 v4, v8, 0, 16
                                        ; implicit-def: $vgpr8
	s_delay_alu instid0(VALU_DEP_1) | instskip(NEXT) | instid1(VALU_DEP_1)
	v_and_b32_e32 v4, 0x80000000, v4
	v_lshl_add_u32 v1, v1, 23, v4
	s_delay_alu instid0(VALU_DEP_1) | instskip(NEXT) | instid1(VALU_DEP_1)
	v_lshl_or_b32 v1, v3, 21, v1
                                        ; implicit-def: $vgpr3
	v_add_nc_u32_e32 v1, 0x38000000, v1
.LBB6_3461:                             ;   in Loop: Header=BB6_3279 Depth=2
	s_and_not1_saveexec_b32 s28, s10
; %bb.3462:                             ;   in Loop: Header=BB6_3279 Depth=2
	v_cmp_lt_i16_e64 s10, -1, v8
	v_cmp_eq_u32_e32 vcc_lo, 0, v3
	s_delay_alu instid0(VALU_DEP_2) | instskip(NEXT) | instid1(VALU_DEP_1)
	v_cndmask_b32_e64 v1, 0xff800000, v109, s10
	v_cndmask_b32_e32 v1, 0x7f800001, v1, vcc_lo
; %bb.3463:                             ;   in Loop: Header=BB6_3279 Depth=2
	s_or_b32 exec_lo, exec_lo, s28
.LBB6_3464:                             ;   in Loop: Header=BB6_3279 Depth=2
	s_delay_alu instid0(SALU_CYCLE_1)
	s_or_b32 exec_lo, exec_lo, s27
.LBB6_3465:                             ;   in Loop: Header=BB6_3279 Depth=2
	s_delay_alu instid0(SALU_CYCLE_1) | instskip(NEXT) | instid1(SALU_CYCLE_1)
	s_or_b32 exec_lo, exec_lo, s26
	s_mov_b32 s26, exec_lo
	v_cmpx_ne_u16_e32 0, v6
	s_cbranch_execz .LBB6_3475
; %bb.3466:                             ;   in Loop: Header=BB6_3279 Depth=2
	v_bfrev_b32_e32 v0, 1
	s_mov_b32 s27, exec_lo
	v_cmpx_ne_u16_e32 0xff80, v6
	s_cbranch_execz .LBB6_3474
; %bb.3467:                             ;   in Loop: Header=BB6_3279 Depth=2
	v_and_b32_e32 v0, 0x7c, v6
	v_and_b32_e32 v3, 3, v6
	s_delay_alu instid0(VALU_DEP_2) | instskip(SKIP_1) | instid1(SALU_CYCLE_1)
	v_cmp_ne_u32_e32 vcc_lo, 0x7c, v0
                                        ; implicit-def: $vgpr0
	s_and_saveexec_b32 s10, vcc_lo
	s_xor_b32 s10, exec_lo, s10
	s_cbranch_execz .LBB6_3471
; %bb.3468:                             ;   in Loop: Header=BB6_3279 Depth=2
	v_and_b32_e32 v0, 0xff, v6
	s_mov_b32 s28, exec_lo
	s_delay_alu instid0(VALU_DEP_1) | instskip(NEXT) | instid1(VALU_DEP_1)
	v_bfe_u32 v0, v0, 2, 5
	v_cmpx_eq_u32_e32 0, v0
	s_cbranch_execz .LBB6_3470
; %bb.3469:                             ;   in Loop: Header=BB6_3279 Depth=2
	v_clz_i32_u32_e32 v0, v3
	s_delay_alu instid0(VALU_DEP_1) | instskip(SKIP_1) | instid1(VALU_DEP_2)
	v_min_u32_e32 v0, 32, v0
	v_mov_b32_e32 v7, v5
	v_subrev_nc_u32_e32 v3, 29, v0
	v_sub_nc_u32_e32 v0, 30, v0
	s_delay_alu instid0(VALU_DEP_2) | instskip(NEXT) | instid1(VALU_DEP_1)
	v_lshlrev_b64_e32 v[8:9], v3, v[6:7]
	v_and_b32_e32 v3, 3, v8
.LBB6_3470:                             ;   in Loop: Header=BB6_3279 Depth=2
	s_or_b32 exec_lo, exec_lo, s28
	v_bfe_i32 v4, v6, 0, 16
                                        ; implicit-def: $vgpr6
	s_delay_alu instid0(VALU_DEP_1) | instskip(NEXT) | instid1(VALU_DEP_1)
	v_and_b32_e32 v4, 0x80000000, v4
	v_lshl_add_u32 v0, v0, 23, v4
	s_delay_alu instid0(VALU_DEP_1) | instskip(NEXT) | instid1(VALU_DEP_1)
	v_lshl_or_b32 v0, v3, 21, v0
                                        ; implicit-def: $vgpr3
	v_add_nc_u32_e32 v0, 0x38000000, v0
.LBB6_3471:                             ;   in Loop: Header=BB6_3279 Depth=2
	s_and_not1_saveexec_b32 s28, s10
; %bb.3472:                             ;   in Loop: Header=BB6_3279 Depth=2
	v_cmp_lt_i16_e64 s10, -1, v6
	v_cmp_eq_u32_e32 vcc_lo, 0, v3
	s_delay_alu instid0(VALU_DEP_2) | instskip(NEXT) | instid1(VALU_DEP_1)
	v_cndmask_b32_e64 v0, 0xff800000, v109, s10
	v_cndmask_b32_e32 v0, 0x7f800001, v0, vcc_lo
; %bb.3473:                             ;   in Loop: Header=BB6_3279 Depth=2
	s_or_b32 exec_lo, exec_lo, s28
.LBB6_3474:                             ;   in Loop: Header=BB6_3279 Depth=2
	s_delay_alu instid0(SALU_CYCLE_1)
	s_or_b32 exec_lo, exec_lo, s27
.LBB6_3475:                             ;   in Loop: Header=BB6_3279 Depth=2
	s_delay_alu instid0(SALU_CYCLE_1) | instskip(NEXT) | instid1(VALU_DEP_1)
	s_or_b32 exec_lo, exec_lo, s26
	v_mul_f32_e32 v0, v1, v0
	v_mov_b32_e32 v7, v5
                                        ; implicit-def: $vgpr8
	s_mov_b32 s10, exec_lo
	s_delay_alu instid0(VALU_DEP_2) | instskip(SKIP_1) | instid1(VALU_DEP_2)
	v_and_b32_e32 v6, 0x7f800000, v0
	v_and_b32_e32 v4, 0x7fffff, v0
	v_cmpx_ne_u64_e32 0x7f800000, v[6:7]
	s_xor_b32 s26, exec_lo, s10
	s_cbranch_execz .LBB6_3493
; %bb.3476:                             ;   in Loop: Header=BB6_3279 Depth=2
	v_dual_mov_b32 v7, v5 :: v_dual_lshrrev_b32 v1, 24, v0
	v_and_b32_e32 v6, 0x7fffffff, v0
                                        ; implicit-def: $vgpr8
	s_mov_b32 s10, exec_lo
	s_delay_alu instid0(VALU_DEP_2) | instskip(NEXT) | instid1(VALU_DEP_2)
	v_and_b32_e32 v3, 0x80, v1
	v_cmpx_gt_u64_e32 0x47600001, v[6:7]
	s_xor_b32 s27, exec_lo, s10
	s_cbranch_execz .LBB6_3490
; %bb.3477:                             ;   in Loop: Header=BB6_3279 Depth=2
	v_mov_b32_e32 v8, 0
	s_mov_b32 s28, exec_lo
	v_cmpx_ne_u32_e32 0, v0
	s_cbranch_execz .LBB6_3489
; %bb.3478:                             ;   in Loop: Header=BB6_3279 Depth=2
	v_bfe_u32 v8, v0, 23, 8
	v_or_b32_e32 v1, 0x800000, v4
	s_delay_alu instid0(VALU_DEP_2) | instskip(SKIP_2) | instid1(VALU_DEP_2)
	v_cmp_gt_u32_e64 s10, 0x72, v8
	v_sub_nc_u32_e32 v0, 0x71, v8
	v_cmp_eq_u32_e32 vcc_lo, 0, v8
	v_cndmask_b32_e64 v0, 0, v0, s10
	s_delay_alu instid0(VALU_DEP_1) | instskip(SKIP_1) | instid1(VALU_DEP_2)
	v_cndmask_b32_e64 v9, v0, 0x70, vcc_lo
	v_cndmask_b32_e32 v0, v1, v4, vcc_lo
	v_dual_mov_b32 v1, v5 :: v_dual_add_nc_u32 v4, 21, v9
	s_delay_alu instid0(VALU_DEP_1) | instskip(SKIP_1) | instid1(VALU_DEP_1)
	v_lshlrev_b64_e64 v[6:7], v4, -1
	v_add_nc_u32_e32 v4, 20, v9
	v_lshlrev_b64_e64 v[20:21], v4, 1
	s_delay_alu instid0(VALU_DEP_3) | instskip(SKIP_2) | instid1(VALU_DEP_1)
	v_bfi_b32 v6, v6, 0, v0
	v_lshrrev_b64 v[0:1], v9, v[0:1]
	v_bfi_b32 v7, v7, 0, 0
	v_cmp_eq_u64_e64 s10, v[6:7], v[20:21]
	s_delay_alu instid0(VALU_DEP_3)
	v_mov_b64_e32 v[6:7], v[0:1]
	s_and_saveexec_b32 s29, s10
; %bb.3479:                             ;   in Loop: Header=BB6_3279 Depth=2
	v_bfe_u32 v6, v0, 21, 1
	v_mov_b32_e32 v7, v5
	s_delay_alu instid0(VALU_DEP_1) | instskip(NEXT) | instid1(VALU_DEP_1)
	v_add_nc_u64_e32 v[6:7], v[0:1], v[6:7]
	v_add_nc_u64_e32 v[6:7], -1, v[6:7]
; %bb.3480:                             ;   in Loop: Header=BB6_3279 Depth=2
	s_or_b32 exec_lo, exec_lo, s29
	v_add_nc_u32_e32 v1, 0xffffff81, v8
	v_lshrrev_b32_e32 v4, 23, v0
	s_mov_b32 s10, exec_lo
	s_delay_alu instid0(VALU_DEP_2) | instskip(NEXT) | instid1(VALU_DEP_1)
	v_cndmask_b32_e64 v1, v1, 0xffffff82, vcc_lo
	v_add3_u32 v8, v9, v1, v4
	v_and_b32_e32 v1, 0x1fffff, v6
                                        ; implicit-def: $vgpr6
	s_delay_alu instid0(VALU_DEP_2) | instskip(NEXT) | instid1(VALU_DEP_2)
	v_add_nc_u32_e32 v7, 14, v8
	v_add_nc_u32_e32 v4, v1, v0
                                        ; implicit-def: $vgpr0_vgpr1
	s_delay_alu instid0(VALU_DEP_2)
	v_cmpx_ne_u32_e32 0, v7
	s_xor_b32 s10, exec_lo, s10
; %bb.3481:                             ;   in Loop: Header=BB6_3279 Depth=2
	s_delay_alu instid0(VALU_DEP_2) | instskip(SKIP_1) | instid1(VALU_DEP_1)
	v_cmp_lt_u64_e32 vcc_lo, 0xffffff, v[4:5]
	v_add_nc_u32_e32 v0, 15, v8
	v_cndmask_b32_e32 v6, v7, v0, vcc_lo
	v_cndmask_b32_e64 v0, 0, 1, vcc_lo
	s_delay_alu instid0(VALU_DEP_1)
	v_lshrrev_b64 v[0:1], v0, v[4:5]
; %bb.3482:                             ;   in Loop: Header=BB6_3279 Depth=2
	s_and_not1_saveexec_b32 s10, s10
; %bb.3483:                             ;   in Loop: Header=BB6_3279 Depth=2
	v_mov_b64_e32 v[0:1], v[4:5]
	v_bfe_u32 v6, v4, 23, 1
; %bb.3484:                             ;   in Loop: Header=BB6_3279 Depth=2
	s_or_b32 exec_lo, exec_lo, s10
	s_delay_alu instid0(VALU_DEP_2) | instskip(NEXT) | instid1(VALU_DEP_2)
	v_lshrrev_b64 v[0:1], 21, v[0:1]
	v_cmp_gt_i32_e32 vcc_lo, 32, v6
	v_cmp_ne_u32_e64 s10, 0, v6
                                        ; implicit-def: $vgpr8
	s_delay_alu instid0(VALU_DEP_3) | instskip(NEXT) | instid1(VALU_DEP_1)
	v_dual_cndmask_b32 v1, 0, v1 :: v_dual_cndmask_b32 v0, 3, v0
	v_cmp_ne_u64_e32 vcc_lo, 0, v[0:1]
	s_or_b32 s10, s10, vcc_lo
	s_delay_alu instid0(SALU_CYCLE_1) | instskip(NEXT) | instid1(SALU_CYCLE_1)
	s_and_saveexec_b32 s29, s10
	s_xor_b32 s10, exec_lo, s29
; %bb.3485:                             ;   in Loop: Header=BB6_3279 Depth=2
	v_min_i32_e32 v1, 31, v6
	s_delay_alu instid0(VALU_DEP_1) | instskip(NEXT) | instid1(VALU_DEP_1)
	v_lshl_or_b32 v1, v1, 2, v3
                                        ; implicit-def: $vgpr3
	v_and_or_b32 v8, v0, 3, v1
; %bb.3486:                             ;   in Loop: Header=BB6_3279 Depth=2
	s_and_not1_saveexec_b32 s10, s10
; %bb.3487:                             ;   in Loop: Header=BB6_3279 Depth=2
	v_mov_b32_e32 v8, v3
; %bb.3488:                             ;   in Loop: Header=BB6_3279 Depth=2
	s_or_b32 exec_lo, exec_lo, s10
.LBB6_3489:                             ;   in Loop: Header=BB6_3279 Depth=2
	s_delay_alu instid0(SALU_CYCLE_1)
	s_or_b32 exec_lo, exec_lo, s28
                                        ; implicit-def: $vgpr3
.LBB6_3490:                             ;   in Loop: Header=BB6_3279 Depth=2
	s_and_not1_saveexec_b32 s10, s27
; %bb.3491:                             ;   in Loop: Header=BB6_3279 Depth=2
	v_or_b32_e32 v8, 0x7b, v3
; %bb.3492:                             ;   in Loop: Header=BB6_3279 Depth=2
	s_or_b32 exec_lo, exec_lo, s10
                                        ; implicit-def: $vgpr0
.LBB6_3493:                             ;   in Loop: Header=BB6_3279 Depth=2
	s_and_not1_saveexec_b32 s10, s26
	s_cbranch_execz .LBB6_3499
; %bb.3494:                             ;   in Loop: Header=BB6_3279 Depth=2
	s_mov_b32 s26, exec_lo
                                        ; implicit-def: $vgpr8
	v_cmpx_ne_u64_e32 0, v[4:5]
	s_xor_b32 s26, exec_lo, s26
; %bb.3495:                             ;   in Loop: Header=BB6_3279 Depth=2
	v_lshrrev_b32_e32 v0, 24, v0
	s_delay_alu instid0(VALU_DEP_1)
	v_or_b32_e32 v8, 0x7f, v0
                                        ; implicit-def: $vgpr0
; %bb.3496:                             ;   in Loop: Header=BB6_3279 Depth=2
	s_and_not1_saveexec_b32 s26, s26
; %bb.3497:                             ;   in Loop: Header=BB6_3279 Depth=2
	v_cmp_lt_i32_e32 vcc_lo, -1, v0
	v_cndmask_b32_e64 v8, -4, 0x7c, vcc_lo
; %bb.3498:                             ;   in Loop: Header=BB6_3279 Depth=2
	s_or_b32 exec_lo, exec_lo, s26
.LBB6_3499:                             ;   in Loop: Header=BB6_3279 Depth=2
	s_delay_alu instid0(SALU_CYCLE_1)
	s_or_b32 exec_lo, exec_lo, s10
	v_dual_mov_b32 v0, 0 :: v_dual_mov_b32 v1, 0
	s_mov_b32 s26, exec_lo
	v_cmpx_ne_u16_e32 0, v80
	s_cbranch_execz .LBB6_3509
; %bb.3500:                             ;   in Loop: Header=BB6_3279 Depth=2
	v_bfrev_b32_e32 v1, 1
	s_mov_b32 s27, exec_lo
	v_cmpx_ne_u16_e32 0xff80, v80
	s_cbranch_execz .LBB6_3508
; %bb.3501:                             ;   in Loop: Header=BB6_3279 Depth=2
	v_and_b32_e32 v1, 0x7c, v80
	v_and_b32_e32 v3, 3, v80
	s_delay_alu instid0(VALU_DEP_2) | instskip(SKIP_1) | instid1(SALU_CYCLE_1)
	v_cmp_ne_u32_e32 vcc_lo, 0x7c, v1
                                        ; implicit-def: $vgpr1
	s_and_saveexec_b32 s10, vcc_lo
	s_xor_b32 s10, exec_lo, s10
	s_cbranch_execz .LBB6_3505
; %bb.3502:                             ;   in Loop: Header=BB6_3279 Depth=2
	v_and_b32_e32 v1, 0xff, v80
	s_mov_b32 s28, exec_lo
	s_delay_alu instid0(VALU_DEP_1) | instskip(NEXT) | instid1(VALU_DEP_1)
	v_bfe_u32 v1, v1, 2, 5
	v_cmpx_eq_u32_e32 0, v1
	s_cbranch_execz .LBB6_3504
; %bb.3503:                             ;   in Loop: Header=BB6_3279 Depth=2
	v_clz_i32_u32_e32 v1, v3
	s_delay_alu instid0(VALU_DEP_1) | instskip(SKIP_1) | instid1(VALU_DEP_2)
	v_min_u32_e32 v1, 32, v1
	v_mov_b32_e32 v81, v5
	v_subrev_nc_u32_e32 v3, 29, v1
	v_sub_nc_u32_e32 v1, 30, v1
	s_delay_alu instid0(VALU_DEP_2) | instskip(NEXT) | instid1(VALU_DEP_1)
	v_lshlrev_b64_e32 v[6:7], v3, v[80:81]
	v_and_b32_e32 v3, 3, v6
.LBB6_3504:                             ;   in Loop: Header=BB6_3279 Depth=2
	s_or_b32 exec_lo, exec_lo, s28
	v_bfe_i32 v4, v80, 0, 16
                                        ; implicit-def: $vgpr80
	s_delay_alu instid0(VALU_DEP_1) | instskip(NEXT) | instid1(VALU_DEP_1)
	v_and_b32_e32 v4, 0x80000000, v4
	v_lshl_add_u32 v1, v1, 23, v4
	s_delay_alu instid0(VALU_DEP_1) | instskip(NEXT) | instid1(VALU_DEP_1)
	v_lshl_or_b32 v1, v3, 21, v1
                                        ; implicit-def: $vgpr3
	v_add_nc_u32_e32 v1, 0x38000000, v1
.LBB6_3505:                             ;   in Loop: Header=BB6_3279 Depth=2
	s_and_not1_saveexec_b32 s28, s10
; %bb.3506:                             ;   in Loop: Header=BB6_3279 Depth=2
	v_cmp_lt_i16_e64 s10, -1, v80
	v_cmp_eq_u32_e32 vcc_lo, 0, v3
	s_delay_alu instid0(VALU_DEP_2) | instskip(NEXT) | instid1(VALU_DEP_1)
	v_cndmask_b32_e64 v1, 0xff800000, v109, s10
	v_cndmask_b32_e32 v1, 0x7f800001, v1, vcc_lo
; %bb.3507:                             ;   in Loop: Header=BB6_3279 Depth=2
	s_or_b32 exec_lo, exec_lo, s28
.LBB6_3508:                             ;   in Loop: Header=BB6_3279 Depth=2
	s_delay_alu instid0(SALU_CYCLE_1)
	s_or_b32 exec_lo, exec_lo, s27
.LBB6_3509:                             ;   in Loop: Header=BB6_3279 Depth=2
	s_delay_alu instid0(SALU_CYCLE_1) | instskip(NEXT) | instid1(SALU_CYCLE_1)
	s_or_b32 exec_lo, exec_lo, s26
	s_mov_b32 s10, exec_lo
	v_cmpx_ne_u16_e32 0, v114
	s_cbranch_execz .LBB6_3519
; %bb.3510:                             ;   in Loop: Header=BB6_3279 Depth=2
	v_bfrev_b32_e32 v0, 1
	s_mov_b32 s26, exec_lo
	v_cmpx_ne_u16_e32 0xff80, v114
	s_cbranch_execz .LBB6_3518
; %bb.3511:                             ;   in Loop: Header=BB6_3279 Depth=2
	v_and_b32_e32 v0, 0x7c, v114
	v_and_b32_e32 v3, 3, v114
	s_delay_alu instid0(VALU_DEP_2) | instskip(SKIP_1) | instid1(SALU_CYCLE_1)
	v_cmp_ne_u32_e32 vcc_lo, 0x7c, v0
                                        ; implicit-def: $vgpr0
	s_and_saveexec_b32 s27, vcc_lo
	s_xor_b32 s27, exec_lo, s27
	s_cbranch_execz .LBB6_3515
; %bb.3512:                             ;   in Loop: Header=BB6_3279 Depth=2
	v_and_b32_e32 v0, 0xff, v114
	s_mov_b32 s28, exec_lo
	s_delay_alu instid0(VALU_DEP_1) | instskip(NEXT) | instid1(VALU_DEP_1)
	v_bfe_u32 v0, v0, 2, 5
	v_cmpx_eq_u32_e32 0, v0
	s_cbranch_execz .LBB6_3514
; %bb.3513:                             ;   in Loop: Header=BB6_3279 Depth=2
	v_clz_i32_u32_e32 v0, v3
	s_delay_alu instid0(VALU_DEP_1) | instskip(SKIP_1) | instid1(VALU_DEP_2)
	v_min_u32_e32 v0, 32, v0
	v_mov_b32_e32 v115, v5
	v_subrev_nc_u32_e32 v3, 29, v0
	v_sub_nc_u32_e32 v0, 30, v0
	s_delay_alu instid0(VALU_DEP_2) | instskip(NEXT) | instid1(VALU_DEP_1)
	v_lshlrev_b64_e32 v[6:7], v3, v[114:115]
	v_and_b32_e32 v3, 3, v6
.LBB6_3514:                             ;   in Loop: Header=BB6_3279 Depth=2
	s_or_b32 exec_lo, exec_lo, s28
	v_bfe_i32 v4, v114, 0, 16
                                        ; implicit-def: $vgpr114
	s_delay_alu instid0(VALU_DEP_1) | instskip(NEXT) | instid1(VALU_DEP_1)
	v_and_b32_e32 v4, 0x80000000, v4
	v_lshl_add_u32 v0, v0, 23, v4
	s_delay_alu instid0(VALU_DEP_1) | instskip(NEXT) | instid1(VALU_DEP_1)
	v_lshl_or_b32 v0, v3, 21, v0
                                        ; implicit-def: $vgpr3
	v_add_nc_u32_e32 v0, 0x38000000, v0
.LBB6_3515:                             ;   in Loop: Header=BB6_3279 Depth=2
	s_and_not1_saveexec_b32 s27, s27
; %bb.3516:                             ;   in Loop: Header=BB6_3279 Depth=2
	v_cmp_lt_i16_e32 vcc_lo, -1, v114
	v_cndmask_b32_e32 v0, 0xff800000, v109, vcc_lo
	v_cmp_eq_u32_e32 vcc_lo, 0, v3
	s_delay_alu instid0(VALU_DEP_2)
	v_cndmask_b32_e32 v0, 0x7f800001, v0, vcc_lo
; %bb.3517:                             ;   in Loop: Header=BB6_3279 Depth=2
	s_or_b32 exec_lo, exec_lo, s27
.LBB6_3518:                             ;   in Loop: Header=BB6_3279 Depth=2
	s_delay_alu instid0(SALU_CYCLE_1)
	s_or_b32 exec_lo, exec_lo, s26
.LBB6_3519:                             ;   in Loop: Header=BB6_3279 Depth=2
	s_delay_alu instid0(SALU_CYCLE_1) | instskip(NEXT) | instid1(VALU_DEP_1)
	s_or_b32 exec_lo, exec_lo, s10
	v_mul_f32_e32 v0, v1, v0
	v_mov_b32_e32 v7, v5
                                        ; implicit-def: $vgpr9
	s_mov_b32 s10, exec_lo
	s_delay_alu instid0(VALU_DEP_2) | instskip(SKIP_1) | instid1(VALU_DEP_2)
	v_and_b32_e32 v6, 0x7f800000, v0
	v_and_b32_e32 v4, 0x7fffff, v0
	v_cmpx_ne_u64_e32 0x7f800000, v[6:7]
	s_xor_b32 s26, exec_lo, s10
	s_cbranch_execz .LBB6_3537
; %bb.3520:                             ;   in Loop: Header=BB6_3279 Depth=2
	v_dual_mov_b32 v7, v5 :: v_dual_lshrrev_b32 v1, 24, v0
	v_and_b32_e32 v6, 0x7fffffff, v0
                                        ; implicit-def: $vgpr9
	s_mov_b32 s10, exec_lo
	s_delay_alu instid0(VALU_DEP_2) | instskip(NEXT) | instid1(VALU_DEP_2)
	v_and_b32_e32 v3, 0x80, v1
	v_cmpx_gt_u64_e32 0x47600001, v[6:7]
	s_xor_b32 s27, exec_lo, s10
	s_cbranch_execz .LBB6_3534
; %bb.3521:                             ;   in Loop: Header=BB6_3279 Depth=2
	v_mov_b32_e32 v9, 0
	s_mov_b32 s28, exec_lo
	v_cmpx_ne_u32_e32 0, v0
	s_cbranch_execz .LBB6_3533
; %bb.3522:                             ;   in Loop: Header=BB6_3279 Depth=2
	v_bfe_u32 v9, v0, 23, 8
	v_or_b32_e32 v1, 0x800000, v4
	s_delay_alu instid0(VALU_DEP_2) | instskip(SKIP_2) | instid1(VALU_DEP_2)
	v_cmp_gt_u32_e64 s10, 0x72, v9
	v_sub_nc_u32_e32 v0, 0x71, v9
	v_cmp_eq_u32_e32 vcc_lo, 0, v9
	v_cndmask_b32_e64 v0, 0, v0, s10
	s_delay_alu instid0(VALU_DEP_1) | instskip(SKIP_1) | instid1(VALU_DEP_2)
	v_cndmask_b32_e64 v17, v0, 0x70, vcc_lo
	v_cndmask_b32_e32 v0, v1, v4, vcc_lo
	v_dual_mov_b32 v1, v5 :: v_dual_add_nc_u32 v4, 21, v17
	s_delay_alu instid0(VALU_DEP_1) | instskip(SKIP_1) | instid1(VALU_DEP_1)
	v_lshlrev_b64_e64 v[6:7], v4, -1
	v_add_nc_u32_e32 v4, 20, v17
	v_lshlrev_b64_e64 v[20:21], v4, 1
	s_delay_alu instid0(VALU_DEP_3) | instskip(SKIP_2) | instid1(VALU_DEP_1)
	v_bfi_b32 v6, v6, 0, v0
	v_lshrrev_b64 v[0:1], v17, v[0:1]
	v_bfi_b32 v7, v7, 0, 0
	v_cmp_eq_u64_e64 s10, v[6:7], v[20:21]
	s_delay_alu instid0(VALU_DEP_3)
	v_mov_b64_e32 v[6:7], v[0:1]
	s_and_saveexec_b32 s29, s10
; %bb.3523:                             ;   in Loop: Header=BB6_3279 Depth=2
	v_bfe_u32 v6, v0, 21, 1
	v_mov_b32_e32 v7, v5
	s_delay_alu instid0(VALU_DEP_1) | instskip(NEXT) | instid1(VALU_DEP_1)
	v_add_nc_u64_e32 v[6:7], v[0:1], v[6:7]
	v_add_nc_u64_e32 v[6:7], -1, v[6:7]
; %bb.3524:                             ;   in Loop: Header=BB6_3279 Depth=2
	s_or_b32 exec_lo, exec_lo, s29
	v_add_nc_u32_e32 v1, 0xffffff81, v9
	v_lshrrev_b32_e32 v4, 23, v0
	s_mov_b32 s10, exec_lo
	s_delay_alu instid0(VALU_DEP_2) | instskip(NEXT) | instid1(VALU_DEP_1)
	v_cndmask_b32_e64 v1, v1, 0xffffff82, vcc_lo
	v_add3_u32 v9, v17, v1, v4
	v_and_b32_e32 v1, 0x1fffff, v6
                                        ; implicit-def: $vgpr6
	s_delay_alu instid0(VALU_DEP_1) | instskip(NEXT) | instid1(VALU_DEP_1)
	v_dual_add_nc_u32 v7, 14, v9 :: v_dual_add_nc_u32 v4, v1, v0
                                        ; implicit-def: $vgpr0_vgpr1
	v_cmpx_ne_u32_e32 0, v7
	s_xor_b32 s10, exec_lo, s10
; %bb.3525:                             ;   in Loop: Header=BB6_3279 Depth=2
	s_delay_alu instid0(VALU_DEP_2) | instskip(SKIP_1) | instid1(VALU_DEP_1)
	v_cmp_lt_u64_e32 vcc_lo, 0xffffff, v[4:5]
	v_add_nc_u32_e32 v0, 15, v9
	v_cndmask_b32_e32 v6, v7, v0, vcc_lo
	v_cndmask_b32_e64 v0, 0, 1, vcc_lo
	s_delay_alu instid0(VALU_DEP_1)
	v_lshrrev_b64 v[0:1], v0, v[4:5]
; %bb.3526:                             ;   in Loop: Header=BB6_3279 Depth=2
	s_and_not1_saveexec_b32 s10, s10
; %bb.3527:                             ;   in Loop: Header=BB6_3279 Depth=2
	v_mov_b64_e32 v[0:1], v[4:5]
	v_bfe_u32 v6, v4, 23, 1
; %bb.3528:                             ;   in Loop: Header=BB6_3279 Depth=2
	s_or_b32 exec_lo, exec_lo, s10
	s_delay_alu instid0(VALU_DEP_2) | instskip(NEXT) | instid1(VALU_DEP_2)
	v_lshrrev_b64 v[0:1], 21, v[0:1]
	v_cmp_gt_i32_e32 vcc_lo, 32, v6
	v_cmp_ne_u32_e64 s10, 0, v6
                                        ; implicit-def: $vgpr9
	s_delay_alu instid0(VALU_DEP_3) | instskip(NEXT) | instid1(VALU_DEP_1)
	v_dual_cndmask_b32 v1, 0, v1 :: v_dual_cndmask_b32 v0, 3, v0
	v_cmp_ne_u64_e32 vcc_lo, 0, v[0:1]
	s_or_b32 s10, s10, vcc_lo
	s_delay_alu instid0(SALU_CYCLE_1) | instskip(NEXT) | instid1(SALU_CYCLE_1)
	s_and_saveexec_b32 s29, s10
	s_xor_b32 s10, exec_lo, s29
; %bb.3529:                             ;   in Loop: Header=BB6_3279 Depth=2
	v_min_i32_e32 v1, 31, v6
	s_delay_alu instid0(VALU_DEP_1) | instskip(NEXT) | instid1(VALU_DEP_1)
	v_lshl_or_b32 v1, v1, 2, v3
                                        ; implicit-def: $vgpr3
	v_and_or_b32 v9, v0, 3, v1
; %bb.3530:                             ;   in Loop: Header=BB6_3279 Depth=2
	s_and_not1_saveexec_b32 s10, s10
; %bb.3531:                             ;   in Loop: Header=BB6_3279 Depth=2
	v_mov_b32_e32 v9, v3
; %bb.3532:                             ;   in Loop: Header=BB6_3279 Depth=2
	s_or_b32 exec_lo, exec_lo, s10
.LBB6_3533:                             ;   in Loop: Header=BB6_3279 Depth=2
	s_delay_alu instid0(SALU_CYCLE_1)
	s_or_b32 exec_lo, exec_lo, s28
                                        ; implicit-def: $vgpr3
.LBB6_3534:                             ;   in Loop: Header=BB6_3279 Depth=2
	s_and_not1_saveexec_b32 s10, s27
; %bb.3535:                             ;   in Loop: Header=BB6_3279 Depth=2
	v_or_b32_e32 v9, 0x7b, v3
; %bb.3536:                             ;   in Loop: Header=BB6_3279 Depth=2
	s_or_b32 exec_lo, exec_lo, s10
                                        ; implicit-def: $vgpr0
.LBB6_3537:                             ;   in Loop: Header=BB6_3279 Depth=2
	s_and_not1_saveexec_b32 s10, s26
	s_cbranch_execz .LBB6_3543
; %bb.3538:                             ;   in Loop: Header=BB6_3279 Depth=2
	s_mov_b32 s26, exec_lo
                                        ; implicit-def: $vgpr9
	v_cmpx_ne_u64_e32 0, v[4:5]
	s_xor_b32 s26, exec_lo, s26
; %bb.3539:                             ;   in Loop: Header=BB6_3279 Depth=2
	v_lshrrev_b32_e32 v0, 24, v0
	s_delay_alu instid0(VALU_DEP_1)
	v_or_b32_e32 v9, 0x7f, v0
                                        ; implicit-def: $vgpr0
; %bb.3540:                             ;   in Loop: Header=BB6_3279 Depth=2
	s_and_not1_saveexec_b32 s26, s26
; %bb.3541:                             ;   in Loop: Header=BB6_3279 Depth=2
	v_cmp_lt_i32_e32 vcc_lo, -1, v0
	v_cndmask_b32_e64 v9, -4, 0x7c, vcc_lo
; %bb.3542:                             ;   in Loop: Header=BB6_3279 Depth=2
	s_or_b32 exec_lo, exec_lo, s26
.LBB6_3543:                             ;   in Loop: Header=BB6_3279 Depth=2
	s_delay_alu instid0(SALU_CYCLE_1)
	s_or_b32 exec_lo, exec_lo, s10
	v_dual_mov_b32 v0, 0 :: v_dual_mov_b32 v1, 0
	s_mov_b32 s10, exec_lo
	v_cmpx_ne_u16_e32 0, v24
	s_cbranch_execz .LBB6_3553
; %bb.3544:                             ;   in Loop: Header=BB6_3279 Depth=2
	v_bfrev_b32_e32 v1, 1
	s_mov_b32 s26, exec_lo
	v_cmpx_ne_u16_e32 0xff80, v24
	s_cbranch_execz .LBB6_3552
; %bb.3545:                             ;   in Loop: Header=BB6_3279 Depth=2
	v_and_b32_e32 v1, 0x7c, v24
	v_and_b32_e32 v3, 3, v24
	s_delay_alu instid0(VALU_DEP_2) | instskip(SKIP_1) | instid1(SALU_CYCLE_1)
	v_cmp_ne_u32_e32 vcc_lo, 0x7c, v1
                                        ; implicit-def: $vgpr1
	s_and_saveexec_b32 s27, vcc_lo
	s_xor_b32 s27, exec_lo, s27
	s_cbranch_execz .LBB6_3549
; %bb.3546:                             ;   in Loop: Header=BB6_3279 Depth=2
	v_and_b32_e32 v1, 0xff, v24
	s_mov_b32 s28, exec_lo
	s_delay_alu instid0(VALU_DEP_1) | instskip(NEXT) | instid1(VALU_DEP_1)
	v_bfe_u32 v1, v1, 2, 5
	v_cmpx_eq_u32_e32 0, v1
	s_cbranch_execz .LBB6_3548
; %bb.3547:                             ;   in Loop: Header=BB6_3279 Depth=2
	v_clz_i32_u32_e32 v1, v3
	s_delay_alu instid0(VALU_DEP_1) | instskip(SKIP_1) | instid1(VALU_DEP_2)
	v_min_u32_e32 v1, 32, v1
	v_mov_b32_e32 v25, v5
	v_subrev_nc_u32_e32 v3, 29, v1
	v_sub_nc_u32_e32 v1, 30, v1
	s_delay_alu instid0(VALU_DEP_2) | instskip(NEXT) | instid1(VALU_DEP_1)
	v_lshlrev_b64_e32 v[6:7], v3, v[24:25]
	v_and_b32_e32 v3, 3, v6
.LBB6_3548:                             ;   in Loop: Header=BB6_3279 Depth=2
	s_or_b32 exec_lo, exec_lo, s28
	v_bfe_i32 v4, v24, 0, 16
                                        ; implicit-def: $vgpr24
	s_delay_alu instid0(VALU_DEP_1) | instskip(NEXT) | instid1(VALU_DEP_1)
	v_and_b32_e32 v4, 0x80000000, v4
	v_lshl_add_u32 v1, v1, 23, v4
	s_delay_alu instid0(VALU_DEP_1) | instskip(NEXT) | instid1(VALU_DEP_1)
	v_lshl_or_b32 v1, v3, 21, v1
                                        ; implicit-def: $vgpr3
	v_add_nc_u32_e32 v1, 0x38000000, v1
.LBB6_3549:                             ;   in Loop: Header=BB6_3279 Depth=2
	s_and_not1_saveexec_b32 s27, s27
; %bb.3550:                             ;   in Loop: Header=BB6_3279 Depth=2
	v_cmp_lt_i16_e32 vcc_lo, -1, v24
	v_cndmask_b32_e32 v1, 0xff800000, v109, vcc_lo
	v_cmp_eq_u32_e32 vcc_lo, 0, v3
	s_delay_alu instid0(VALU_DEP_2)
	v_cndmask_b32_e32 v1, 0x7f800001, v1, vcc_lo
; %bb.3551:                             ;   in Loop: Header=BB6_3279 Depth=2
	s_or_b32 exec_lo, exec_lo, s27
.LBB6_3552:                             ;   in Loop: Header=BB6_3279 Depth=2
	s_delay_alu instid0(SALU_CYCLE_1)
	s_or_b32 exec_lo, exec_lo, s26
.LBB6_3553:                             ;   in Loop: Header=BB6_3279 Depth=2
	s_delay_alu instid0(SALU_CYCLE_1) | instskip(NEXT) | instid1(SALU_CYCLE_1)
	s_or_b32 exec_lo, exec_lo, s10
	s_mov_b32 s10, exec_lo
	v_cmpx_ne_u16_e32 0, v82
	s_cbranch_execz .LBB6_3563
; %bb.3554:                             ;   in Loop: Header=BB6_3279 Depth=2
	v_bfrev_b32_e32 v0, 1
	s_mov_b32 s26, exec_lo
	v_cmpx_ne_u16_e32 0xff80, v82
	s_cbranch_execz .LBB6_3562
; %bb.3555:                             ;   in Loop: Header=BB6_3279 Depth=2
	v_and_b32_e32 v0, 0x7c, v82
	v_and_b32_e32 v3, 3, v82
	s_delay_alu instid0(VALU_DEP_2) | instskip(SKIP_1) | instid1(SALU_CYCLE_1)
	v_cmp_ne_u32_e32 vcc_lo, 0x7c, v0
                                        ; implicit-def: $vgpr0
	s_and_saveexec_b32 s27, vcc_lo
	s_xor_b32 s27, exec_lo, s27
	s_cbranch_execz .LBB6_3559
; %bb.3556:                             ;   in Loop: Header=BB6_3279 Depth=2
	v_and_b32_e32 v0, 0xff, v82
	s_mov_b32 s28, exec_lo
	s_delay_alu instid0(VALU_DEP_1) | instskip(NEXT) | instid1(VALU_DEP_1)
	v_bfe_u32 v0, v0, 2, 5
	v_cmpx_eq_u32_e32 0, v0
	s_cbranch_execz .LBB6_3558
; %bb.3557:                             ;   in Loop: Header=BB6_3279 Depth=2
	v_clz_i32_u32_e32 v0, v3
	s_delay_alu instid0(VALU_DEP_1) | instskip(SKIP_1) | instid1(VALU_DEP_2)
	v_min_u32_e32 v0, 32, v0
	v_mov_b32_e32 v83, v5
	v_subrev_nc_u32_e32 v3, 29, v0
	v_sub_nc_u32_e32 v0, 30, v0
	s_delay_alu instid0(VALU_DEP_2) | instskip(NEXT) | instid1(VALU_DEP_1)
	v_lshlrev_b64_e32 v[6:7], v3, v[82:83]
	v_and_b32_e32 v3, 3, v6
.LBB6_3558:                             ;   in Loop: Header=BB6_3279 Depth=2
	s_or_b32 exec_lo, exec_lo, s28
	v_bfe_i32 v4, v82, 0, 16
                                        ; implicit-def: $vgpr82
	s_delay_alu instid0(VALU_DEP_1) | instskip(NEXT) | instid1(VALU_DEP_1)
	v_and_b32_e32 v4, 0x80000000, v4
	v_lshl_add_u32 v0, v0, 23, v4
	s_delay_alu instid0(VALU_DEP_1) | instskip(NEXT) | instid1(VALU_DEP_1)
	v_lshl_or_b32 v0, v3, 21, v0
                                        ; implicit-def: $vgpr3
	v_add_nc_u32_e32 v0, 0x38000000, v0
.LBB6_3559:                             ;   in Loop: Header=BB6_3279 Depth=2
	s_and_not1_saveexec_b32 s27, s27
; %bb.3560:                             ;   in Loop: Header=BB6_3279 Depth=2
	v_cmp_lt_i16_e32 vcc_lo, -1, v82
	v_cndmask_b32_e32 v0, 0xff800000, v109, vcc_lo
	v_cmp_eq_u32_e32 vcc_lo, 0, v3
	s_delay_alu instid0(VALU_DEP_2)
	v_cndmask_b32_e32 v0, 0x7f800001, v0, vcc_lo
; %bb.3561:                             ;   in Loop: Header=BB6_3279 Depth=2
	s_or_b32 exec_lo, exec_lo, s27
.LBB6_3562:                             ;   in Loop: Header=BB6_3279 Depth=2
	s_delay_alu instid0(SALU_CYCLE_1)
	s_or_b32 exec_lo, exec_lo, s26
.LBB6_3563:                             ;   in Loop: Header=BB6_3279 Depth=2
	s_delay_alu instid0(SALU_CYCLE_1) | instskip(NEXT) | instid1(VALU_DEP_1)
	s_or_b32 exec_lo, exec_lo, s10
	v_mul_f32_e32 v0, v1, v0
	v_mov_b32_e32 v7, v5
                                        ; implicit-def: $vgpr17
	s_mov_b32 s10, exec_lo
	s_delay_alu instid0(VALU_DEP_2) | instskip(SKIP_1) | instid1(VALU_DEP_2)
	v_and_b32_e32 v6, 0x7f800000, v0
	v_and_b32_e32 v4, 0x7fffff, v0
	v_cmpx_ne_u64_e32 0x7f800000, v[6:7]
	s_xor_b32 s26, exec_lo, s10
	s_cbranch_execz .LBB6_3581
; %bb.3564:                             ;   in Loop: Header=BB6_3279 Depth=2
	v_dual_mov_b32 v7, v5 :: v_dual_lshrrev_b32 v1, 24, v0
	v_and_b32_e32 v6, 0x7fffffff, v0
                                        ; implicit-def: $vgpr17
	s_mov_b32 s10, exec_lo
	s_delay_alu instid0(VALU_DEP_2) | instskip(NEXT) | instid1(VALU_DEP_2)
	v_and_b32_e32 v3, 0x80, v1
	v_cmpx_gt_u64_e32 0x47600001, v[6:7]
	s_xor_b32 s27, exec_lo, s10
	s_cbranch_execz .LBB6_3578
; %bb.3565:                             ;   in Loop: Header=BB6_3279 Depth=2
	v_mov_b32_e32 v17, 0
	s_mov_b32 s28, exec_lo
	v_cmpx_ne_u32_e32 0, v0
	s_cbranch_execz .LBB6_3577
; %bb.3566:                             ;   in Loop: Header=BB6_3279 Depth=2
	v_bfe_u32 v17, v0, 23, 8
	v_or_b32_e32 v1, 0x800000, v4
	s_delay_alu instid0(VALU_DEP_2) | instskip(SKIP_2) | instid1(VALU_DEP_2)
	v_cmp_gt_u32_e64 s10, 0x72, v17
	v_sub_nc_u32_e32 v0, 0x71, v17
	v_cmp_eq_u32_e32 vcc_lo, 0, v17
	v_cndmask_b32_e64 v0, 0, v0, s10
	s_delay_alu instid0(VALU_DEP_1) | instskip(SKIP_1) | instid1(VALU_DEP_2)
	v_cndmask_b32_e64 v20, v0, 0x70, vcc_lo
	v_cndmask_b32_e32 v0, v1, v4, vcc_lo
	v_dual_mov_b32 v1, v5 :: v_dual_add_nc_u32 v4, 21, v20
	s_delay_alu instid0(VALU_DEP_1) | instskip(SKIP_1) | instid1(VALU_DEP_1)
	v_lshlrev_b64_e64 v[6:7], v4, -1
	v_add_nc_u32_e32 v4, 20, v20
	v_lshlrev_b64_e64 v[24:25], v4, 1
	s_delay_alu instid0(VALU_DEP_3) | instskip(SKIP_2) | instid1(VALU_DEP_1)
	v_bfi_b32 v6, v6, 0, v0
	v_lshrrev_b64 v[0:1], v20, v[0:1]
	v_bfi_b32 v7, v7, 0, 0
	v_cmp_eq_u64_e64 s10, v[6:7], v[24:25]
	s_delay_alu instid0(VALU_DEP_3)
	v_mov_b64_e32 v[6:7], v[0:1]
	s_and_saveexec_b32 s29, s10
; %bb.3567:                             ;   in Loop: Header=BB6_3279 Depth=2
	v_bfe_u32 v6, v0, 21, 1
	v_mov_b32_e32 v7, v5
	s_delay_alu instid0(VALU_DEP_1) | instskip(NEXT) | instid1(VALU_DEP_1)
	v_add_nc_u64_e32 v[6:7], v[0:1], v[6:7]
	v_add_nc_u64_e32 v[6:7], -1, v[6:7]
; %bb.3568:                             ;   in Loop: Header=BB6_3279 Depth=2
	s_or_b32 exec_lo, exec_lo, s29
	v_add_nc_u32_e32 v1, 0xffffff81, v17
	v_lshrrev_b32_e32 v4, 23, v0
	s_mov_b32 s10, exec_lo
	s_delay_alu instid0(VALU_DEP_2) | instskip(NEXT) | instid1(VALU_DEP_1)
	v_cndmask_b32_e64 v1, v1, 0xffffff82, vcc_lo
	v_add3_u32 v17, v20, v1, v4
	v_and_b32_e32 v1, 0x1fffff, v6
                                        ; implicit-def: $vgpr6
	s_delay_alu instid0(VALU_DEP_1) | instskip(NEXT) | instid1(VALU_DEP_1)
	v_dual_add_nc_u32 v7, 14, v17 :: v_dual_add_nc_u32 v4, v1, v0
                                        ; implicit-def: $vgpr0_vgpr1
	v_cmpx_ne_u32_e32 0, v7
	s_xor_b32 s10, exec_lo, s10
; %bb.3569:                             ;   in Loop: Header=BB6_3279 Depth=2
	s_delay_alu instid0(VALU_DEP_2) | instskip(SKIP_1) | instid1(VALU_DEP_1)
	v_cmp_lt_u64_e32 vcc_lo, 0xffffff, v[4:5]
	v_add_nc_u32_e32 v0, 15, v17
	v_cndmask_b32_e32 v6, v7, v0, vcc_lo
	v_cndmask_b32_e64 v0, 0, 1, vcc_lo
	s_delay_alu instid0(VALU_DEP_1)
	v_lshrrev_b64 v[0:1], v0, v[4:5]
; %bb.3570:                             ;   in Loop: Header=BB6_3279 Depth=2
	s_and_not1_saveexec_b32 s10, s10
; %bb.3571:                             ;   in Loop: Header=BB6_3279 Depth=2
	v_mov_b64_e32 v[0:1], v[4:5]
	v_bfe_u32 v6, v4, 23, 1
; %bb.3572:                             ;   in Loop: Header=BB6_3279 Depth=2
	s_or_b32 exec_lo, exec_lo, s10
	s_delay_alu instid0(VALU_DEP_2) | instskip(NEXT) | instid1(VALU_DEP_2)
	v_lshrrev_b64 v[0:1], 21, v[0:1]
	v_cmp_gt_i32_e32 vcc_lo, 32, v6
	v_cmp_ne_u32_e64 s10, 0, v6
                                        ; implicit-def: $vgpr17
	s_delay_alu instid0(VALU_DEP_3) | instskip(NEXT) | instid1(VALU_DEP_1)
	v_dual_cndmask_b32 v1, 0, v1 :: v_dual_cndmask_b32 v0, 3, v0
	v_cmp_ne_u64_e32 vcc_lo, 0, v[0:1]
	s_or_b32 s10, s10, vcc_lo
	s_delay_alu instid0(SALU_CYCLE_1) | instskip(NEXT) | instid1(SALU_CYCLE_1)
	s_and_saveexec_b32 s29, s10
	s_xor_b32 s10, exec_lo, s29
; %bb.3573:                             ;   in Loop: Header=BB6_3279 Depth=2
	v_min_i32_e32 v1, 31, v6
	s_delay_alu instid0(VALU_DEP_1) | instskip(NEXT) | instid1(VALU_DEP_1)
	v_lshl_or_b32 v1, v1, 2, v3
                                        ; implicit-def: $vgpr3
	v_and_or_b32 v17, v0, 3, v1
; %bb.3574:                             ;   in Loop: Header=BB6_3279 Depth=2
	s_and_not1_saveexec_b32 s10, s10
; %bb.3575:                             ;   in Loop: Header=BB6_3279 Depth=2
	v_mov_b32_e32 v17, v3
; %bb.3576:                             ;   in Loop: Header=BB6_3279 Depth=2
	s_or_b32 exec_lo, exec_lo, s10
.LBB6_3577:                             ;   in Loop: Header=BB6_3279 Depth=2
	s_delay_alu instid0(SALU_CYCLE_1)
	s_or_b32 exec_lo, exec_lo, s28
                                        ; implicit-def: $vgpr3
.LBB6_3578:                             ;   in Loop: Header=BB6_3279 Depth=2
	s_and_not1_saveexec_b32 s10, s27
; %bb.3579:                             ;   in Loop: Header=BB6_3279 Depth=2
	v_or_b32_e32 v17, 0x7b, v3
; %bb.3580:                             ;   in Loop: Header=BB6_3279 Depth=2
	s_or_b32 exec_lo, exec_lo, s10
                                        ; implicit-def: $vgpr0
.LBB6_3581:                             ;   in Loop: Header=BB6_3279 Depth=2
	s_and_not1_saveexec_b32 s10, s26
	s_cbranch_execz .LBB6_3587
; %bb.3582:                             ;   in Loop: Header=BB6_3279 Depth=2
	s_mov_b32 s26, exec_lo
                                        ; implicit-def: $vgpr17
	v_cmpx_ne_u64_e32 0, v[4:5]
	s_xor_b32 s26, exec_lo, s26
; %bb.3583:                             ;   in Loop: Header=BB6_3279 Depth=2
	v_lshrrev_b32_e32 v0, 24, v0
	s_delay_alu instid0(VALU_DEP_1)
	v_or_b32_e32 v17, 0x7f, v0
                                        ; implicit-def: $vgpr0
; %bb.3584:                             ;   in Loop: Header=BB6_3279 Depth=2
	s_and_not1_saveexec_b32 s26, s26
; %bb.3585:                             ;   in Loop: Header=BB6_3279 Depth=2
	v_cmp_lt_i32_e32 vcc_lo, -1, v0
	v_cndmask_b32_e64 v17, -4, 0x7c, vcc_lo
; %bb.3586:                             ;   in Loop: Header=BB6_3279 Depth=2
	s_or_b32 exec_lo, exec_lo, s26
.LBB6_3587:                             ;   in Loop: Header=BB6_3279 Depth=2
	s_delay_alu instid0(SALU_CYCLE_1)
	s_or_b32 exec_lo, exec_lo, s10
	v_dual_mov_b32 v0, 0 :: v_dual_mov_b32 v1, 0
	s_mov_b32 s10, exec_lo
	v_cmpx_ne_u16_e32 0, v118
	s_cbranch_execz .LBB6_3597
; %bb.3588:                             ;   in Loop: Header=BB6_3279 Depth=2
	v_bfrev_b32_e32 v1, 1
	s_mov_b32 s26, exec_lo
	v_cmpx_ne_u16_e32 0xff80, v118
	s_cbranch_execz .LBB6_3596
; %bb.3589:                             ;   in Loop: Header=BB6_3279 Depth=2
	v_and_b32_e32 v1, 0x7c, v118
	v_and_b32_e32 v3, 3, v118
	s_delay_alu instid0(VALU_DEP_2) | instskip(SKIP_1) | instid1(SALU_CYCLE_1)
	v_cmp_ne_u32_e32 vcc_lo, 0x7c, v1
                                        ; implicit-def: $vgpr1
	s_and_saveexec_b32 s27, vcc_lo
	s_xor_b32 s27, exec_lo, s27
	s_cbranch_execz .LBB6_3593
; %bb.3590:                             ;   in Loop: Header=BB6_3279 Depth=2
	v_and_b32_e32 v1, 0xff, v118
	s_mov_b32 s28, exec_lo
	s_delay_alu instid0(VALU_DEP_1) | instskip(NEXT) | instid1(VALU_DEP_1)
	v_bfe_u32 v1, v1, 2, 5
	v_cmpx_eq_u32_e32 0, v1
	s_cbranch_execz .LBB6_3592
; %bb.3591:                             ;   in Loop: Header=BB6_3279 Depth=2
	v_clz_i32_u32_e32 v1, v3
	s_delay_alu instid0(VALU_DEP_1) | instskip(SKIP_1) | instid1(VALU_DEP_2)
	v_min_u32_e32 v1, 32, v1
	v_mov_b32_e32 v119, v5
	v_subrev_nc_u32_e32 v3, 29, v1
	v_sub_nc_u32_e32 v1, 30, v1
	s_delay_alu instid0(VALU_DEP_2) | instskip(NEXT) | instid1(VALU_DEP_1)
	v_lshlrev_b64_e32 v[6:7], v3, v[118:119]
	v_and_b32_e32 v3, 3, v6
.LBB6_3592:                             ;   in Loop: Header=BB6_3279 Depth=2
	s_or_b32 exec_lo, exec_lo, s28
	v_bfe_i32 v4, v118, 0, 16
                                        ; implicit-def: $vgpr118
	s_delay_alu instid0(VALU_DEP_1) | instskip(NEXT) | instid1(VALU_DEP_1)
	v_and_b32_e32 v4, 0x80000000, v4
	v_lshl_add_u32 v1, v1, 23, v4
	s_delay_alu instid0(VALU_DEP_1) | instskip(NEXT) | instid1(VALU_DEP_1)
	v_lshl_or_b32 v1, v3, 21, v1
                                        ; implicit-def: $vgpr3
	v_add_nc_u32_e32 v1, 0x38000000, v1
.LBB6_3593:                             ;   in Loop: Header=BB6_3279 Depth=2
	s_and_not1_saveexec_b32 s27, s27
; %bb.3594:                             ;   in Loop: Header=BB6_3279 Depth=2
	v_cmp_lt_i16_e32 vcc_lo, -1, v118
	v_cndmask_b32_e32 v1, 0xff800000, v109, vcc_lo
	v_cmp_eq_u32_e32 vcc_lo, 0, v3
	s_delay_alu instid0(VALU_DEP_2)
	v_cndmask_b32_e32 v1, 0x7f800001, v1, vcc_lo
; %bb.3595:                             ;   in Loop: Header=BB6_3279 Depth=2
	s_or_b32 exec_lo, exec_lo, s27
.LBB6_3596:                             ;   in Loop: Header=BB6_3279 Depth=2
	s_delay_alu instid0(SALU_CYCLE_1)
	s_or_b32 exec_lo, exec_lo, s26
.LBB6_3597:                             ;   in Loop: Header=BB6_3279 Depth=2
	s_delay_alu instid0(SALU_CYCLE_1) | instskip(NEXT) | instid1(SALU_CYCLE_1)
	s_or_b32 exec_lo, exec_lo, s10
	s_mov_b32 s10, exec_lo
	v_cmpx_ne_u16_e32 0, v86
	s_cbranch_execz .LBB6_3607
; %bb.3598:                             ;   in Loop: Header=BB6_3279 Depth=2
	v_bfrev_b32_e32 v0, 1
	s_mov_b32 s26, exec_lo
	v_cmpx_ne_u16_e32 0xff80, v86
	s_cbranch_execz .LBB6_3606
; %bb.3599:                             ;   in Loop: Header=BB6_3279 Depth=2
	v_and_b32_e32 v0, 0x7c, v86
	v_and_b32_e32 v3, 3, v86
	s_delay_alu instid0(VALU_DEP_2) | instskip(SKIP_1) | instid1(SALU_CYCLE_1)
	v_cmp_ne_u32_e32 vcc_lo, 0x7c, v0
                                        ; implicit-def: $vgpr0
	s_and_saveexec_b32 s27, vcc_lo
	s_xor_b32 s27, exec_lo, s27
	s_cbranch_execz .LBB6_3603
; %bb.3600:                             ;   in Loop: Header=BB6_3279 Depth=2
	v_and_b32_e32 v0, 0xff, v86
	s_mov_b32 s28, exec_lo
	s_delay_alu instid0(VALU_DEP_1) | instskip(NEXT) | instid1(VALU_DEP_1)
	v_bfe_u32 v0, v0, 2, 5
	v_cmpx_eq_u32_e32 0, v0
	s_cbranch_execz .LBB6_3602
; %bb.3601:                             ;   in Loop: Header=BB6_3279 Depth=2
	v_clz_i32_u32_e32 v0, v3
	s_delay_alu instid0(VALU_DEP_1) | instskip(SKIP_1) | instid1(VALU_DEP_2)
	v_min_u32_e32 v0, 32, v0
	v_mov_b32_e32 v87, v5
	v_subrev_nc_u32_e32 v3, 29, v0
	v_sub_nc_u32_e32 v0, 30, v0
	s_delay_alu instid0(VALU_DEP_2) | instskip(NEXT) | instid1(VALU_DEP_1)
	v_lshlrev_b64_e32 v[6:7], v3, v[86:87]
	v_and_b32_e32 v3, 3, v6
.LBB6_3602:                             ;   in Loop: Header=BB6_3279 Depth=2
	s_or_b32 exec_lo, exec_lo, s28
	v_bfe_i32 v4, v86, 0, 16
                                        ; implicit-def: $vgpr86
	s_delay_alu instid0(VALU_DEP_1) | instskip(NEXT) | instid1(VALU_DEP_1)
	v_and_b32_e32 v4, 0x80000000, v4
	v_lshl_add_u32 v0, v0, 23, v4
	s_delay_alu instid0(VALU_DEP_1) | instskip(NEXT) | instid1(VALU_DEP_1)
	v_lshl_or_b32 v0, v3, 21, v0
                                        ; implicit-def: $vgpr3
	v_add_nc_u32_e32 v0, 0x38000000, v0
.LBB6_3603:                             ;   in Loop: Header=BB6_3279 Depth=2
	s_and_not1_saveexec_b32 s27, s27
; %bb.3604:                             ;   in Loop: Header=BB6_3279 Depth=2
	v_cmp_lt_i16_e32 vcc_lo, -1, v86
	v_cndmask_b32_e32 v0, 0xff800000, v109, vcc_lo
	v_cmp_eq_u32_e32 vcc_lo, 0, v3
	s_delay_alu instid0(VALU_DEP_2)
	v_cndmask_b32_e32 v0, 0x7f800001, v0, vcc_lo
; %bb.3605:                             ;   in Loop: Header=BB6_3279 Depth=2
	s_or_b32 exec_lo, exec_lo, s27
.LBB6_3606:                             ;   in Loop: Header=BB6_3279 Depth=2
	s_delay_alu instid0(SALU_CYCLE_1)
	s_or_b32 exec_lo, exec_lo, s26
.LBB6_3607:                             ;   in Loop: Header=BB6_3279 Depth=2
	s_delay_alu instid0(SALU_CYCLE_1) | instskip(NEXT) | instid1(VALU_DEP_1)
	s_or_b32 exec_lo, exec_lo, s10
	v_mul_f32_e32 v0, v1, v0
	v_mov_b32_e32 v7, v5
                                        ; implicit-def: $vgpr20
	s_mov_b32 s10, exec_lo
	s_delay_alu instid0(VALU_DEP_2) | instskip(SKIP_1) | instid1(VALU_DEP_2)
	v_and_b32_e32 v6, 0x7f800000, v0
	v_and_b32_e32 v4, 0x7fffff, v0
	v_cmpx_ne_u64_e32 0x7f800000, v[6:7]
	s_xor_b32 s26, exec_lo, s10
	s_cbranch_execz .LBB6_3625
; %bb.3608:                             ;   in Loop: Header=BB6_3279 Depth=2
	v_dual_mov_b32 v7, v5 :: v_dual_lshrrev_b32 v1, 24, v0
	v_and_b32_e32 v6, 0x7fffffff, v0
                                        ; implicit-def: $vgpr20
	s_mov_b32 s10, exec_lo
	s_delay_alu instid0(VALU_DEP_2) | instskip(NEXT) | instid1(VALU_DEP_2)
	v_and_b32_e32 v3, 0x80, v1
	v_cmpx_gt_u64_e32 0x47600001, v[6:7]
	s_xor_b32 s27, exec_lo, s10
	s_cbranch_execz .LBB6_3622
; %bb.3609:                             ;   in Loop: Header=BB6_3279 Depth=2
	v_mov_b32_e32 v20, 0
	s_mov_b32 s28, exec_lo
	v_cmpx_ne_u32_e32 0, v0
	s_cbranch_execz .LBB6_3621
; %bb.3610:                             ;   in Loop: Header=BB6_3279 Depth=2
	v_bfe_u32 v20, v0, 23, 8
	v_or_b32_e32 v1, 0x800000, v4
	s_delay_alu instid0(VALU_DEP_2) | instskip(SKIP_2) | instid1(VALU_DEP_2)
	v_cmp_gt_u32_e64 s10, 0x72, v20
	v_sub_nc_u32_e32 v0, 0x71, v20
	v_cmp_eq_u32_e32 vcc_lo, 0, v20
	v_cndmask_b32_e64 v0, 0, v0, s10
	s_delay_alu instid0(VALU_DEP_1) | instskip(SKIP_1) | instid1(VALU_DEP_2)
	v_cndmask_b32_e64 v21, v0, 0x70, vcc_lo
	v_cndmask_b32_e32 v0, v1, v4, vcc_lo
	v_dual_mov_b32 v1, v5 :: v_dual_add_nc_u32 v4, 21, v21
	s_delay_alu instid0(VALU_DEP_1) | instskip(SKIP_1) | instid1(VALU_DEP_1)
	v_lshlrev_b64_e64 v[6:7], v4, -1
	v_add_nc_u32_e32 v4, 20, v21
	v_lshlrev_b64_e64 v[24:25], v4, 1
	s_delay_alu instid0(VALU_DEP_3) | instskip(SKIP_2) | instid1(VALU_DEP_1)
	v_bfi_b32 v6, v6, 0, v0
	v_lshrrev_b64 v[0:1], v21, v[0:1]
	v_bfi_b32 v7, v7, 0, 0
	v_cmp_eq_u64_e64 s10, v[6:7], v[24:25]
	s_delay_alu instid0(VALU_DEP_3)
	v_mov_b64_e32 v[6:7], v[0:1]
	s_and_saveexec_b32 s29, s10
; %bb.3611:                             ;   in Loop: Header=BB6_3279 Depth=2
	v_bfe_u32 v6, v0, 21, 1
	v_mov_b32_e32 v7, v5
	s_delay_alu instid0(VALU_DEP_1) | instskip(NEXT) | instid1(VALU_DEP_1)
	v_add_nc_u64_e32 v[6:7], v[0:1], v[6:7]
	v_add_nc_u64_e32 v[6:7], -1, v[6:7]
; %bb.3612:                             ;   in Loop: Header=BB6_3279 Depth=2
	s_or_b32 exec_lo, exec_lo, s29
	v_add_nc_u32_e32 v1, 0xffffff81, v20
	v_lshrrev_b32_e32 v4, 23, v0
	s_mov_b32 s10, exec_lo
	s_delay_alu instid0(VALU_DEP_2) | instskip(NEXT) | instid1(VALU_DEP_1)
	v_cndmask_b32_e64 v1, v1, 0xffffff82, vcc_lo
	v_add3_u32 v20, v21, v1, v4
	v_and_b32_e32 v1, 0x1fffff, v6
                                        ; implicit-def: $vgpr6
	s_delay_alu instid0(VALU_DEP_2) | instskip(NEXT) | instid1(VALU_DEP_2)
	v_add_nc_u32_e32 v7, 14, v20
	v_add_nc_u32_e32 v4, v1, v0
                                        ; implicit-def: $vgpr0_vgpr1
	s_delay_alu instid0(VALU_DEP_2)
	v_cmpx_ne_u32_e32 0, v7
	s_xor_b32 s10, exec_lo, s10
; %bb.3613:                             ;   in Loop: Header=BB6_3279 Depth=2
	s_delay_alu instid0(VALU_DEP_2) | instskip(SKIP_1) | instid1(VALU_DEP_1)
	v_cmp_lt_u64_e32 vcc_lo, 0xffffff, v[4:5]
	v_add_nc_u32_e32 v0, 15, v20
	v_cndmask_b32_e32 v6, v7, v0, vcc_lo
	v_cndmask_b32_e64 v0, 0, 1, vcc_lo
	s_delay_alu instid0(VALU_DEP_1)
	v_lshrrev_b64 v[0:1], v0, v[4:5]
; %bb.3614:                             ;   in Loop: Header=BB6_3279 Depth=2
	s_and_not1_saveexec_b32 s10, s10
; %bb.3615:                             ;   in Loop: Header=BB6_3279 Depth=2
	v_mov_b64_e32 v[0:1], v[4:5]
	v_bfe_u32 v6, v4, 23, 1
; %bb.3616:                             ;   in Loop: Header=BB6_3279 Depth=2
	s_or_b32 exec_lo, exec_lo, s10
	s_delay_alu instid0(VALU_DEP_2) | instskip(NEXT) | instid1(VALU_DEP_2)
	v_lshrrev_b64 v[0:1], 21, v[0:1]
	v_cmp_gt_i32_e32 vcc_lo, 32, v6
	v_cmp_ne_u32_e64 s10, 0, v6
                                        ; implicit-def: $vgpr20
	s_delay_alu instid0(VALU_DEP_3) | instskip(NEXT) | instid1(VALU_DEP_1)
	v_dual_cndmask_b32 v1, 0, v1 :: v_dual_cndmask_b32 v0, 3, v0
	v_cmp_ne_u64_e32 vcc_lo, 0, v[0:1]
	s_or_b32 s10, s10, vcc_lo
	s_delay_alu instid0(SALU_CYCLE_1) | instskip(NEXT) | instid1(SALU_CYCLE_1)
	s_and_saveexec_b32 s29, s10
	s_xor_b32 s10, exec_lo, s29
; %bb.3617:                             ;   in Loop: Header=BB6_3279 Depth=2
	v_min_i32_e32 v1, 31, v6
	s_delay_alu instid0(VALU_DEP_1) | instskip(NEXT) | instid1(VALU_DEP_1)
	v_lshl_or_b32 v1, v1, 2, v3
                                        ; implicit-def: $vgpr3
	v_and_or_b32 v20, v0, 3, v1
; %bb.3618:                             ;   in Loop: Header=BB6_3279 Depth=2
	s_and_not1_saveexec_b32 s10, s10
; %bb.3619:                             ;   in Loop: Header=BB6_3279 Depth=2
	v_mov_b32_e32 v20, v3
; %bb.3620:                             ;   in Loop: Header=BB6_3279 Depth=2
	s_or_b32 exec_lo, exec_lo, s10
.LBB6_3621:                             ;   in Loop: Header=BB6_3279 Depth=2
	s_delay_alu instid0(SALU_CYCLE_1)
	s_or_b32 exec_lo, exec_lo, s28
                                        ; implicit-def: $vgpr3
.LBB6_3622:                             ;   in Loop: Header=BB6_3279 Depth=2
	s_and_not1_saveexec_b32 s10, s27
; %bb.3623:                             ;   in Loop: Header=BB6_3279 Depth=2
	v_or_b32_e32 v20, 0x7b, v3
; %bb.3624:                             ;   in Loop: Header=BB6_3279 Depth=2
	s_or_b32 exec_lo, exec_lo, s10
                                        ; implicit-def: $vgpr0
.LBB6_3625:                             ;   in Loop: Header=BB6_3279 Depth=2
	s_and_not1_saveexec_b32 s10, s26
	s_cbranch_execz .LBB6_3631
; %bb.3626:                             ;   in Loop: Header=BB6_3279 Depth=2
	s_mov_b32 s26, exec_lo
                                        ; implicit-def: $vgpr20
	v_cmpx_ne_u64_e32 0, v[4:5]
	s_xor_b32 s26, exec_lo, s26
; %bb.3627:                             ;   in Loop: Header=BB6_3279 Depth=2
	v_lshrrev_b32_e32 v0, 24, v0
	s_delay_alu instid0(VALU_DEP_1)
	v_or_b32_e32 v20, 0x7f, v0
                                        ; implicit-def: $vgpr0
; %bb.3628:                             ;   in Loop: Header=BB6_3279 Depth=2
	s_and_not1_saveexec_b32 s26, s26
; %bb.3629:                             ;   in Loop: Header=BB6_3279 Depth=2
	v_cmp_lt_i32_e32 vcc_lo, -1, v0
	v_cndmask_b32_e64 v20, -4, 0x7c, vcc_lo
; %bb.3630:                             ;   in Loop: Header=BB6_3279 Depth=2
	s_or_b32 exec_lo, exec_lo, s26
.LBB6_3631:                             ;   in Loop: Header=BB6_3279 Depth=2
	s_delay_alu instid0(SALU_CYCLE_1)
	s_or_b32 exec_lo, exec_lo, s10
	v_dual_mov_b32 v0, 0 :: v_dual_mov_b32 v1, 0
	s_mov_b32 s10, exec_lo
	v_cmpx_ne_u16_e32 0, v40
	s_cbranch_execz .LBB6_3641
; %bb.3632:                             ;   in Loop: Header=BB6_3279 Depth=2
	v_bfrev_b32_e32 v1, 1
	s_mov_b32 s26, exec_lo
	v_cmpx_ne_u16_e32 0xff80, v40
	s_cbranch_execz .LBB6_3640
; %bb.3633:                             ;   in Loop: Header=BB6_3279 Depth=2
	v_and_b32_e32 v1, 0x7c, v40
	v_and_b32_e32 v3, 3, v40
	s_delay_alu instid0(VALU_DEP_2) | instskip(SKIP_1) | instid1(SALU_CYCLE_1)
	v_cmp_ne_u32_e32 vcc_lo, 0x7c, v1
                                        ; implicit-def: $vgpr1
	s_and_saveexec_b32 s27, vcc_lo
	s_xor_b32 s27, exec_lo, s27
	s_cbranch_execz .LBB6_3637
; %bb.3634:                             ;   in Loop: Header=BB6_3279 Depth=2
	v_and_b32_e32 v1, 0xff, v40
	s_mov_b32 s28, exec_lo
	s_delay_alu instid0(VALU_DEP_1) | instskip(NEXT) | instid1(VALU_DEP_1)
	v_bfe_u32 v1, v1, 2, 5
	v_cmpx_eq_u32_e32 0, v1
	s_cbranch_execz .LBB6_3636
; %bb.3635:                             ;   in Loop: Header=BB6_3279 Depth=2
	v_clz_i32_u32_e32 v1, v3
	s_delay_alu instid0(VALU_DEP_1) | instskip(SKIP_1) | instid1(VALU_DEP_2)
	v_min_u32_e32 v1, 32, v1
	v_mov_b32_e32 v41, v5
	v_subrev_nc_u32_e32 v3, 29, v1
	v_sub_nc_u32_e32 v1, 30, v1
	s_delay_alu instid0(VALU_DEP_2) | instskip(NEXT) | instid1(VALU_DEP_1)
	v_lshlrev_b64_e32 v[6:7], v3, v[40:41]
	v_and_b32_e32 v3, 3, v6
.LBB6_3636:                             ;   in Loop: Header=BB6_3279 Depth=2
	s_or_b32 exec_lo, exec_lo, s28
	v_bfe_i32 v4, v40, 0, 16
                                        ; implicit-def: $vgpr40
	s_delay_alu instid0(VALU_DEP_1) | instskip(NEXT) | instid1(VALU_DEP_1)
	v_and_b32_e32 v4, 0x80000000, v4
	v_lshl_add_u32 v1, v1, 23, v4
	s_delay_alu instid0(VALU_DEP_1) | instskip(NEXT) | instid1(VALU_DEP_1)
	v_lshl_or_b32 v1, v3, 21, v1
                                        ; implicit-def: $vgpr3
	v_add_nc_u32_e32 v1, 0x38000000, v1
.LBB6_3637:                             ;   in Loop: Header=BB6_3279 Depth=2
	s_and_not1_saveexec_b32 s27, s27
; %bb.3638:                             ;   in Loop: Header=BB6_3279 Depth=2
	v_cmp_lt_i16_e32 vcc_lo, -1, v40
	v_cndmask_b32_e32 v1, 0xff800000, v109, vcc_lo
	v_cmp_eq_u32_e32 vcc_lo, 0, v3
	s_delay_alu instid0(VALU_DEP_2)
	v_cndmask_b32_e32 v1, 0x7f800001, v1, vcc_lo
; %bb.3639:                             ;   in Loop: Header=BB6_3279 Depth=2
	s_or_b32 exec_lo, exec_lo, s27
.LBB6_3640:                             ;   in Loop: Header=BB6_3279 Depth=2
	s_delay_alu instid0(SALU_CYCLE_1)
	s_or_b32 exec_lo, exec_lo, s26
.LBB6_3641:                             ;   in Loop: Header=BB6_3279 Depth=2
	s_delay_alu instid0(SALU_CYCLE_1) | instskip(NEXT) | instid1(SALU_CYCLE_1)
	s_or_b32 exec_lo, exec_lo, s10
	s_mov_b32 s10, exec_lo
	v_cmpx_ne_u16_e32 0, v100
	s_cbranch_execz .LBB6_3651
; %bb.3642:                             ;   in Loop: Header=BB6_3279 Depth=2
	v_bfrev_b32_e32 v0, 1
	s_mov_b32 s26, exec_lo
	v_cmpx_ne_u16_e32 0xff80, v100
	s_cbranch_execz .LBB6_3650
; %bb.3643:                             ;   in Loop: Header=BB6_3279 Depth=2
	v_and_b32_e32 v0, 0x7c, v100
	v_and_b32_e32 v3, 3, v100
	s_delay_alu instid0(VALU_DEP_2) | instskip(SKIP_1) | instid1(SALU_CYCLE_1)
	v_cmp_ne_u32_e32 vcc_lo, 0x7c, v0
                                        ; implicit-def: $vgpr0
	s_and_saveexec_b32 s27, vcc_lo
	s_xor_b32 s27, exec_lo, s27
	s_cbranch_execz .LBB6_3647
; %bb.3644:                             ;   in Loop: Header=BB6_3279 Depth=2
	v_and_b32_e32 v0, 0xff, v100
	s_mov_b32 s28, exec_lo
	s_delay_alu instid0(VALU_DEP_1) | instskip(NEXT) | instid1(VALU_DEP_1)
	v_bfe_u32 v0, v0, 2, 5
	v_cmpx_eq_u32_e32 0, v0
	s_cbranch_execz .LBB6_3646
; %bb.3645:                             ;   in Loop: Header=BB6_3279 Depth=2
	v_clz_i32_u32_e32 v0, v3
	s_delay_alu instid0(VALU_DEP_1) | instskip(SKIP_1) | instid1(VALU_DEP_2)
	v_min_u32_e32 v0, 32, v0
	v_mov_b32_e32 v101, v5
	v_subrev_nc_u32_e32 v3, 29, v0
	v_sub_nc_u32_e32 v0, 30, v0
	s_delay_alu instid0(VALU_DEP_2) | instskip(NEXT) | instid1(VALU_DEP_1)
	v_lshlrev_b64_e32 v[6:7], v3, v[100:101]
	v_and_b32_e32 v3, 3, v6
.LBB6_3646:                             ;   in Loop: Header=BB6_3279 Depth=2
	s_or_b32 exec_lo, exec_lo, s28
	v_bfe_i32 v4, v100, 0, 16
                                        ; implicit-def: $vgpr100
	s_delay_alu instid0(VALU_DEP_1) | instskip(NEXT) | instid1(VALU_DEP_1)
	v_and_b32_e32 v4, 0x80000000, v4
	v_lshl_add_u32 v0, v0, 23, v4
	s_delay_alu instid0(VALU_DEP_1) | instskip(NEXT) | instid1(VALU_DEP_1)
	v_lshl_or_b32 v0, v3, 21, v0
                                        ; implicit-def: $vgpr3
	v_add_nc_u32_e32 v0, 0x38000000, v0
.LBB6_3647:                             ;   in Loop: Header=BB6_3279 Depth=2
	s_and_not1_saveexec_b32 s27, s27
; %bb.3648:                             ;   in Loop: Header=BB6_3279 Depth=2
	v_cmp_lt_i16_e32 vcc_lo, -1, v100
	v_cndmask_b32_e32 v0, 0xff800000, v109, vcc_lo
	v_cmp_eq_u32_e32 vcc_lo, 0, v3
	s_delay_alu instid0(VALU_DEP_2)
	v_cndmask_b32_e32 v0, 0x7f800001, v0, vcc_lo
; %bb.3649:                             ;   in Loop: Header=BB6_3279 Depth=2
	s_or_b32 exec_lo, exec_lo, s27
.LBB6_3650:                             ;   in Loop: Header=BB6_3279 Depth=2
	s_delay_alu instid0(SALU_CYCLE_1)
	s_or_b32 exec_lo, exec_lo, s26
.LBB6_3651:                             ;   in Loop: Header=BB6_3279 Depth=2
	s_delay_alu instid0(SALU_CYCLE_1) | instskip(NEXT) | instid1(VALU_DEP_1)
	s_or_b32 exec_lo, exec_lo, s10
	v_mul_f32_e32 v0, v1, v0
	v_mov_b32_e32 v7, v5
                                        ; implicit-def: $vgpr21
	s_mov_b32 s10, exec_lo
	s_delay_alu instid0(VALU_DEP_2) | instskip(SKIP_1) | instid1(VALU_DEP_2)
	v_and_b32_e32 v6, 0x7f800000, v0
	v_and_b32_e32 v4, 0x7fffff, v0
	v_cmpx_ne_u64_e32 0x7f800000, v[6:7]
	s_xor_b32 s26, exec_lo, s10
	s_cbranch_execz .LBB6_3669
; %bb.3652:                             ;   in Loop: Header=BB6_3279 Depth=2
	v_dual_mov_b32 v7, v5 :: v_dual_lshrrev_b32 v1, 24, v0
	v_and_b32_e32 v6, 0x7fffffff, v0
                                        ; implicit-def: $vgpr21
	s_mov_b32 s10, exec_lo
	s_delay_alu instid0(VALU_DEP_2) | instskip(NEXT) | instid1(VALU_DEP_2)
	v_and_b32_e32 v3, 0x80, v1
	v_cmpx_gt_u64_e32 0x47600001, v[6:7]
	s_xor_b32 s27, exec_lo, s10
	s_cbranch_execz .LBB6_3666
; %bb.3653:                             ;   in Loop: Header=BB6_3279 Depth=2
	v_mov_b32_e32 v21, 0
	s_mov_b32 s28, exec_lo
	v_cmpx_ne_u32_e32 0, v0
	s_cbranch_execz .LBB6_3665
; %bb.3654:                             ;   in Loop: Header=BB6_3279 Depth=2
	v_bfe_u32 v21, v0, 23, 8
	v_or_b32_e32 v1, 0x800000, v4
	s_delay_alu instid0(VALU_DEP_2) | instskip(SKIP_2) | instid1(VALU_DEP_2)
	v_cmp_gt_u32_e64 s10, 0x72, v21
	v_sub_nc_u32_e32 v0, 0x71, v21
	v_cmp_eq_u32_e32 vcc_lo, 0, v21
	v_cndmask_b32_e64 v0, 0, v0, s10
	s_delay_alu instid0(VALU_DEP_1) | instskip(SKIP_1) | instid1(VALU_DEP_2)
	v_cndmask_b32_e64 v23, v0, 0x70, vcc_lo
	v_cndmask_b32_e32 v0, v1, v4, vcc_lo
	v_dual_mov_b32 v1, v5 :: v_dual_add_nc_u32 v4, 21, v23
	s_delay_alu instid0(VALU_DEP_1) | instskip(SKIP_1) | instid1(VALU_DEP_1)
	v_lshlrev_b64_e64 v[6:7], v4, -1
	v_add_nc_u32_e32 v4, 20, v23
	v_lshlrev_b64_e64 v[24:25], v4, 1
	s_delay_alu instid0(VALU_DEP_3) | instskip(SKIP_2) | instid1(VALU_DEP_1)
	v_bfi_b32 v6, v6, 0, v0
	v_lshrrev_b64 v[0:1], v23, v[0:1]
	v_bfi_b32 v7, v7, 0, 0
	v_cmp_eq_u64_e64 s10, v[6:7], v[24:25]
	s_delay_alu instid0(VALU_DEP_3)
	v_mov_b64_e32 v[6:7], v[0:1]
	s_and_saveexec_b32 s29, s10
; %bb.3655:                             ;   in Loop: Header=BB6_3279 Depth=2
	v_bfe_u32 v6, v0, 21, 1
	v_mov_b32_e32 v7, v5
	s_delay_alu instid0(VALU_DEP_1) | instskip(NEXT) | instid1(VALU_DEP_1)
	v_add_nc_u64_e32 v[6:7], v[0:1], v[6:7]
	v_add_nc_u64_e32 v[6:7], -1, v[6:7]
; %bb.3656:                             ;   in Loop: Header=BB6_3279 Depth=2
	s_or_b32 exec_lo, exec_lo, s29
	v_add_nc_u32_e32 v1, 0xffffff81, v21
	v_lshrrev_b32_e32 v4, 23, v0
	s_delay_alu instid0(VALU_DEP_3) | instskip(SKIP_1) | instid1(VALU_DEP_3)
	v_and_b32_e32 v6, 0x1fffff, v6
	s_mov_b32 s10, exec_lo
	v_cndmask_b32_e64 v1, v1, 0xffffff82, vcc_lo
	s_delay_alu instid0(VALU_DEP_1) | instskip(NEXT) | instid1(VALU_DEP_3)
	v_add3_u32 v7, v23, v1, v4
	v_add_nc_u32_e32 v4, v6, v0
                                        ; implicit-def: $vgpr0_vgpr1
                                        ; implicit-def: $vgpr6
	s_delay_alu instid0(VALU_DEP_2) | instskip(NEXT) | instid1(VALU_DEP_1)
	v_add_nc_u32_e32 v21, 14, v7
	v_cmpx_ne_u32_e32 0, v21
	s_xor_b32 s10, exec_lo, s10
; %bb.3657:                             ;   in Loop: Header=BB6_3279 Depth=2
	s_delay_alu instid0(VALU_DEP_3) | instskip(SKIP_1) | instid1(VALU_DEP_1)
	v_cmp_lt_u64_e32 vcc_lo, 0xffffff, v[4:5]
	v_add_nc_u32_e32 v0, 15, v7
	v_cndmask_b32_e32 v6, v21, v0, vcc_lo
	v_cndmask_b32_e64 v0, 0, 1, vcc_lo
	s_delay_alu instid0(VALU_DEP_1)
	v_lshrrev_b64 v[0:1], v0, v[4:5]
; %bb.3658:                             ;   in Loop: Header=BB6_3279 Depth=2
	s_and_not1_saveexec_b32 s10, s10
; %bb.3659:                             ;   in Loop: Header=BB6_3279 Depth=2
	v_mov_b64_e32 v[0:1], v[4:5]
	v_bfe_u32 v6, v4, 23, 1
; %bb.3660:                             ;   in Loop: Header=BB6_3279 Depth=2
	s_or_b32 exec_lo, exec_lo, s10
	s_delay_alu instid0(VALU_DEP_2) | instskip(NEXT) | instid1(VALU_DEP_2)
	v_lshrrev_b64 v[0:1], 21, v[0:1]
	v_cmp_gt_i32_e32 vcc_lo, 32, v6
	v_cmp_ne_u32_e64 s10, 0, v6
                                        ; implicit-def: $vgpr21
	s_delay_alu instid0(VALU_DEP_3) | instskip(NEXT) | instid1(VALU_DEP_1)
	v_dual_cndmask_b32 v1, 0, v1 :: v_dual_cndmask_b32 v0, 3, v0
	v_cmp_ne_u64_e32 vcc_lo, 0, v[0:1]
	s_or_b32 s10, s10, vcc_lo
	s_delay_alu instid0(SALU_CYCLE_1) | instskip(NEXT) | instid1(SALU_CYCLE_1)
	s_and_saveexec_b32 s29, s10
	s_xor_b32 s10, exec_lo, s29
; %bb.3661:                             ;   in Loop: Header=BB6_3279 Depth=2
	v_min_i32_e32 v1, 31, v6
	s_delay_alu instid0(VALU_DEP_1) | instskip(NEXT) | instid1(VALU_DEP_1)
	v_lshl_or_b32 v1, v1, 2, v3
                                        ; implicit-def: $vgpr3
	v_and_or_b32 v21, v0, 3, v1
; %bb.3662:                             ;   in Loop: Header=BB6_3279 Depth=2
	s_and_not1_saveexec_b32 s10, s10
; %bb.3663:                             ;   in Loop: Header=BB6_3279 Depth=2
	v_mov_b32_e32 v21, v3
; %bb.3664:                             ;   in Loop: Header=BB6_3279 Depth=2
	s_or_b32 exec_lo, exec_lo, s10
.LBB6_3665:                             ;   in Loop: Header=BB6_3279 Depth=2
	s_delay_alu instid0(SALU_CYCLE_1)
	s_or_b32 exec_lo, exec_lo, s28
                                        ; implicit-def: $vgpr3
.LBB6_3666:                             ;   in Loop: Header=BB6_3279 Depth=2
	s_and_not1_saveexec_b32 s10, s27
; %bb.3667:                             ;   in Loop: Header=BB6_3279 Depth=2
	v_or_b32_e32 v21, 0x7b, v3
; %bb.3668:                             ;   in Loop: Header=BB6_3279 Depth=2
	s_or_b32 exec_lo, exec_lo, s10
                                        ; implicit-def: $vgpr0
.LBB6_3669:                             ;   in Loop: Header=BB6_3279 Depth=2
	s_and_not1_saveexec_b32 s10, s26
	s_cbranch_execz .LBB6_3675
; %bb.3670:                             ;   in Loop: Header=BB6_3279 Depth=2
	s_mov_b32 s26, exec_lo
                                        ; implicit-def: $vgpr21
	v_cmpx_ne_u64_e32 0, v[4:5]
	s_xor_b32 s26, exec_lo, s26
; %bb.3671:                             ;   in Loop: Header=BB6_3279 Depth=2
	v_lshrrev_b32_e32 v0, 24, v0
	s_delay_alu instid0(VALU_DEP_1)
	v_or_b32_e32 v21, 0x7f, v0
                                        ; implicit-def: $vgpr0
; %bb.3672:                             ;   in Loop: Header=BB6_3279 Depth=2
	s_and_not1_saveexec_b32 s26, s26
; %bb.3673:                             ;   in Loop: Header=BB6_3279 Depth=2
	v_cmp_lt_i32_e32 vcc_lo, -1, v0
	v_cndmask_b32_e64 v21, -4, 0x7c, vcc_lo
; %bb.3674:                             ;   in Loop: Header=BB6_3279 Depth=2
	s_or_b32 exec_lo, exec_lo, s26
.LBB6_3675:                             ;   in Loop: Header=BB6_3279 Depth=2
	s_delay_alu instid0(SALU_CYCLE_1)
	s_or_b32 exec_lo, exec_lo, s10
	v_dual_mov_b32 v0, 0 :: v_dual_mov_b32 v1, 0
	s_mov_b32 s10, exec_lo
	v_cmpx_ne_u16_e32 0, v98
	s_cbranch_execz .LBB6_3685
; %bb.3676:                             ;   in Loop: Header=BB6_3279 Depth=2
	v_bfrev_b32_e32 v1, 1
	s_mov_b32 s26, exec_lo
	v_cmpx_ne_u16_e32 0xff80, v98
	s_cbranch_execz .LBB6_3684
; %bb.3677:                             ;   in Loop: Header=BB6_3279 Depth=2
	v_and_b32_e32 v1, 0x7c, v98
	v_and_b32_e32 v3, 3, v98
	s_delay_alu instid0(VALU_DEP_2) | instskip(SKIP_1) | instid1(SALU_CYCLE_1)
	v_cmp_ne_u32_e32 vcc_lo, 0x7c, v1
                                        ; implicit-def: $vgpr1
	s_and_saveexec_b32 s27, vcc_lo
	s_xor_b32 s27, exec_lo, s27
	s_cbranch_execz .LBB6_3681
; %bb.3678:                             ;   in Loop: Header=BB6_3279 Depth=2
	v_and_b32_e32 v1, 0xff, v98
	s_mov_b32 s28, exec_lo
	s_delay_alu instid0(VALU_DEP_1) | instskip(NEXT) | instid1(VALU_DEP_1)
	v_bfe_u32 v1, v1, 2, 5
	v_cmpx_eq_u32_e32 0, v1
	s_cbranch_execz .LBB6_3680
; %bb.3679:                             ;   in Loop: Header=BB6_3279 Depth=2
	v_clz_i32_u32_e32 v1, v3
	s_delay_alu instid0(VALU_DEP_1) | instskip(SKIP_1) | instid1(VALU_DEP_2)
	v_min_u32_e32 v1, 32, v1
	v_mov_b32_e32 v99, v5
	v_subrev_nc_u32_e32 v3, 29, v1
	v_sub_nc_u32_e32 v1, 30, v1
	s_delay_alu instid0(VALU_DEP_2) | instskip(NEXT) | instid1(VALU_DEP_1)
	v_lshlrev_b64_e32 v[6:7], v3, v[98:99]
	v_and_b32_e32 v3, 3, v6
.LBB6_3680:                             ;   in Loop: Header=BB6_3279 Depth=2
	s_or_b32 exec_lo, exec_lo, s28
	v_bfe_i32 v4, v98, 0, 16
                                        ; implicit-def: $vgpr98
	s_delay_alu instid0(VALU_DEP_1) | instskip(NEXT) | instid1(VALU_DEP_1)
	v_and_b32_e32 v4, 0x80000000, v4
	v_lshl_add_u32 v1, v1, 23, v4
	s_delay_alu instid0(VALU_DEP_1) | instskip(NEXT) | instid1(VALU_DEP_1)
	v_lshl_or_b32 v1, v3, 21, v1
                                        ; implicit-def: $vgpr3
	v_add_nc_u32_e32 v1, 0x38000000, v1
.LBB6_3681:                             ;   in Loop: Header=BB6_3279 Depth=2
	s_and_not1_saveexec_b32 s27, s27
; %bb.3682:                             ;   in Loop: Header=BB6_3279 Depth=2
	v_cmp_lt_i16_e32 vcc_lo, -1, v98
	v_cndmask_b32_e32 v1, 0xff800000, v109, vcc_lo
	v_cmp_eq_u32_e32 vcc_lo, 0, v3
	s_delay_alu instid0(VALU_DEP_2)
	v_cndmask_b32_e32 v1, 0x7f800001, v1, vcc_lo
; %bb.3683:                             ;   in Loop: Header=BB6_3279 Depth=2
	s_or_b32 exec_lo, exec_lo, s27
.LBB6_3684:                             ;   in Loop: Header=BB6_3279 Depth=2
	s_delay_alu instid0(SALU_CYCLE_1)
	s_or_b32 exec_lo, exec_lo, s26
.LBB6_3685:                             ;   in Loop: Header=BB6_3279 Depth=2
	s_delay_alu instid0(SALU_CYCLE_1) | instskip(NEXT) | instid1(SALU_CYCLE_1)
	s_or_b32 exec_lo, exec_lo, s10
	s_mov_b32 s10, exec_lo
	v_cmpx_ne_u16_e32 0, v22
	s_cbranch_execz .LBB6_3695
; %bb.3686:                             ;   in Loop: Header=BB6_3279 Depth=2
	v_bfrev_b32_e32 v0, 1
	s_mov_b32 s26, exec_lo
	v_cmpx_ne_u16_e32 0xff80, v22
	s_cbranch_execz .LBB6_3694
; %bb.3687:                             ;   in Loop: Header=BB6_3279 Depth=2
	v_and_b32_e32 v0, 0x7c, v22
	v_and_b32_e32 v3, 3, v22
	s_delay_alu instid0(VALU_DEP_2) | instskip(SKIP_1) | instid1(SALU_CYCLE_1)
	v_cmp_ne_u32_e32 vcc_lo, 0x7c, v0
                                        ; implicit-def: $vgpr0
	s_and_saveexec_b32 s27, vcc_lo
	s_xor_b32 s27, exec_lo, s27
	s_cbranch_execz .LBB6_3691
; %bb.3688:                             ;   in Loop: Header=BB6_3279 Depth=2
	v_and_b32_e32 v0, 0xff, v22
	s_mov_b32 s28, exec_lo
	s_delay_alu instid0(VALU_DEP_1) | instskip(NEXT) | instid1(VALU_DEP_1)
	v_bfe_u32 v0, v0, 2, 5
	v_cmpx_eq_u32_e32 0, v0
	s_cbranch_execz .LBB6_3690
; %bb.3689:                             ;   in Loop: Header=BB6_3279 Depth=2
	v_clz_i32_u32_e32 v0, v3
	s_delay_alu instid0(VALU_DEP_1) | instskip(SKIP_1) | instid1(VALU_DEP_2)
	v_min_u32_e32 v0, 32, v0
	v_mov_b32_e32 v23, v5
	v_subrev_nc_u32_e32 v3, 29, v0
	v_sub_nc_u32_e32 v0, 30, v0
	s_delay_alu instid0(VALU_DEP_2) | instskip(NEXT) | instid1(VALU_DEP_1)
	v_lshlrev_b64_e32 v[6:7], v3, v[22:23]
	v_and_b32_e32 v3, 3, v6
.LBB6_3690:                             ;   in Loop: Header=BB6_3279 Depth=2
	s_or_b32 exec_lo, exec_lo, s28
	v_bfe_i32 v4, v22, 0, 16
                                        ; implicit-def: $vgpr22
	s_delay_alu instid0(VALU_DEP_1) | instskip(NEXT) | instid1(VALU_DEP_1)
	v_and_b32_e32 v4, 0x80000000, v4
	v_lshl_add_u32 v0, v0, 23, v4
	s_delay_alu instid0(VALU_DEP_1) | instskip(NEXT) | instid1(VALU_DEP_1)
	v_lshl_or_b32 v0, v3, 21, v0
                                        ; implicit-def: $vgpr3
	v_add_nc_u32_e32 v0, 0x38000000, v0
.LBB6_3691:                             ;   in Loop: Header=BB6_3279 Depth=2
	s_and_not1_saveexec_b32 s27, s27
; %bb.3692:                             ;   in Loop: Header=BB6_3279 Depth=2
	v_cmp_lt_i16_e32 vcc_lo, -1, v22
	v_cndmask_b32_e32 v0, 0xff800000, v109, vcc_lo
	v_cmp_eq_u32_e32 vcc_lo, 0, v3
	s_delay_alu instid0(VALU_DEP_2)
	v_cndmask_b32_e32 v0, 0x7f800001, v0, vcc_lo
; %bb.3693:                             ;   in Loop: Header=BB6_3279 Depth=2
	s_or_b32 exec_lo, exec_lo, s27
.LBB6_3694:                             ;   in Loop: Header=BB6_3279 Depth=2
	s_delay_alu instid0(SALU_CYCLE_1)
	s_or_b32 exec_lo, exec_lo, s26
.LBB6_3695:                             ;   in Loop: Header=BB6_3279 Depth=2
	s_delay_alu instid0(SALU_CYCLE_1) | instskip(NEXT) | instid1(VALU_DEP_1)
	s_or_b32 exec_lo, exec_lo, s10
	v_mul_f32_e32 v0, v1, v0
	v_mov_b32_e32 v7, v5
                                        ; implicit-def: $vgpr22
	s_mov_b32 s10, exec_lo
	s_delay_alu instid0(VALU_DEP_2) | instskip(SKIP_1) | instid1(VALU_DEP_2)
	v_and_b32_e32 v6, 0x7f800000, v0
	v_and_b32_e32 v4, 0x7fffff, v0
	v_cmpx_ne_u64_e32 0x7f800000, v[6:7]
	s_xor_b32 s26, exec_lo, s10
	s_cbranch_execz .LBB6_3713
; %bb.3696:                             ;   in Loop: Header=BB6_3279 Depth=2
	v_dual_mov_b32 v7, v5 :: v_dual_lshrrev_b32 v1, 24, v0
	v_and_b32_e32 v6, 0x7fffffff, v0
                                        ; implicit-def: $vgpr22
	s_mov_b32 s10, exec_lo
	s_delay_alu instid0(VALU_DEP_2) | instskip(NEXT) | instid1(VALU_DEP_2)
	v_and_b32_e32 v3, 0x80, v1
	v_cmpx_gt_u64_e32 0x47600001, v[6:7]
	s_xor_b32 s27, exec_lo, s10
	s_cbranch_execz .LBB6_3710
; %bb.3697:                             ;   in Loop: Header=BB6_3279 Depth=2
	v_mov_b32_e32 v22, 0
	s_mov_b32 s28, exec_lo
	v_cmpx_ne_u32_e32 0, v0
	s_cbranch_execz .LBB6_3709
; %bb.3698:                             ;   in Loop: Header=BB6_3279 Depth=2
	v_bfe_u32 v22, v0, 23, 8
	v_or_b32_e32 v1, 0x800000, v4
	s_delay_alu instid0(VALU_DEP_2) | instskip(SKIP_2) | instid1(VALU_DEP_2)
	v_cmp_gt_u32_e64 s10, 0x72, v22
	v_sub_nc_u32_e32 v0, 0x71, v22
	v_cmp_eq_u32_e32 vcc_lo, 0, v22
	v_cndmask_b32_e64 v0, 0, v0, s10
	s_delay_alu instid0(VALU_DEP_1) | instskip(SKIP_1) | instid1(VALU_DEP_2)
	v_cndmask_b32_e64 v23, v0, 0x70, vcc_lo
	v_cndmask_b32_e32 v0, v1, v4, vcc_lo
	v_dual_mov_b32 v1, v5 :: v_dual_add_nc_u32 v4, 21, v23
	s_delay_alu instid0(VALU_DEP_1) | instskip(SKIP_1) | instid1(VALU_DEP_1)
	v_lshlrev_b64_e64 v[6:7], v4, -1
	v_add_nc_u32_e32 v4, 20, v23
	v_lshlrev_b64_e64 v[24:25], v4, 1
	s_delay_alu instid0(VALU_DEP_3) | instskip(SKIP_2) | instid1(VALU_DEP_1)
	v_bfi_b32 v6, v6, 0, v0
	v_lshrrev_b64 v[0:1], v23, v[0:1]
	v_bfi_b32 v7, v7, 0, 0
	v_cmp_eq_u64_e64 s10, v[6:7], v[24:25]
	s_delay_alu instid0(VALU_DEP_3)
	v_mov_b64_e32 v[6:7], v[0:1]
	s_and_saveexec_b32 s29, s10
; %bb.3699:                             ;   in Loop: Header=BB6_3279 Depth=2
	v_bfe_u32 v6, v0, 21, 1
	v_mov_b32_e32 v7, v5
	s_delay_alu instid0(VALU_DEP_1) | instskip(NEXT) | instid1(VALU_DEP_1)
	v_add_nc_u64_e32 v[6:7], v[0:1], v[6:7]
	v_add_nc_u64_e32 v[6:7], -1, v[6:7]
; %bb.3700:                             ;   in Loop: Header=BB6_3279 Depth=2
	s_or_b32 exec_lo, exec_lo, s29
	v_add_nc_u32_e32 v1, 0xffffff81, v22
	v_lshrrev_b32_e32 v4, 23, v0
	s_delay_alu instid0(VALU_DEP_3) | instskip(SKIP_1) | instid1(VALU_DEP_3)
	v_and_b32_e32 v6, 0x1fffff, v6
	s_mov_b32 s10, exec_lo
	v_cndmask_b32_e64 v1, v1, 0xffffff82, vcc_lo
	s_delay_alu instid0(VALU_DEP_1) | instskip(NEXT) | instid1(VALU_DEP_3)
	v_add3_u32 v7, v23, v1, v4
	v_add_nc_u32_e32 v4, v6, v0
                                        ; implicit-def: $vgpr0_vgpr1
                                        ; implicit-def: $vgpr6
	s_delay_alu instid0(VALU_DEP_2) | instskip(NEXT) | instid1(VALU_DEP_1)
	v_add_nc_u32_e32 v22, 14, v7
	v_cmpx_ne_u32_e32 0, v22
	s_xor_b32 s10, exec_lo, s10
; %bb.3701:                             ;   in Loop: Header=BB6_3279 Depth=2
	s_delay_alu instid0(VALU_DEP_3) | instskip(SKIP_1) | instid1(VALU_DEP_1)
	v_cmp_lt_u64_e32 vcc_lo, 0xffffff, v[4:5]
	v_add_nc_u32_e32 v0, 15, v7
	v_cndmask_b32_e32 v6, v22, v0, vcc_lo
	v_cndmask_b32_e64 v0, 0, 1, vcc_lo
	s_delay_alu instid0(VALU_DEP_1)
	v_lshrrev_b64 v[0:1], v0, v[4:5]
; %bb.3702:                             ;   in Loop: Header=BB6_3279 Depth=2
	s_and_not1_saveexec_b32 s10, s10
; %bb.3703:                             ;   in Loop: Header=BB6_3279 Depth=2
	v_mov_b64_e32 v[0:1], v[4:5]
	v_bfe_u32 v6, v4, 23, 1
; %bb.3704:                             ;   in Loop: Header=BB6_3279 Depth=2
	s_or_b32 exec_lo, exec_lo, s10
	s_delay_alu instid0(VALU_DEP_2) | instskip(NEXT) | instid1(VALU_DEP_2)
	v_lshrrev_b64 v[0:1], 21, v[0:1]
	v_cmp_gt_i32_e32 vcc_lo, 32, v6
	v_cmp_ne_u32_e64 s10, 0, v6
                                        ; implicit-def: $vgpr22
	s_delay_alu instid0(VALU_DEP_3) | instskip(NEXT) | instid1(VALU_DEP_1)
	v_dual_cndmask_b32 v1, 0, v1 :: v_dual_cndmask_b32 v0, 3, v0
	v_cmp_ne_u64_e32 vcc_lo, 0, v[0:1]
	s_or_b32 s10, s10, vcc_lo
	s_delay_alu instid0(SALU_CYCLE_1) | instskip(NEXT) | instid1(SALU_CYCLE_1)
	s_and_saveexec_b32 s29, s10
	s_xor_b32 s10, exec_lo, s29
; %bb.3705:                             ;   in Loop: Header=BB6_3279 Depth=2
	v_min_i32_e32 v1, 31, v6
	s_delay_alu instid0(VALU_DEP_1) | instskip(NEXT) | instid1(VALU_DEP_1)
	v_lshl_or_b32 v1, v1, 2, v3
                                        ; implicit-def: $vgpr3
	v_and_or_b32 v22, v0, 3, v1
; %bb.3706:                             ;   in Loop: Header=BB6_3279 Depth=2
	s_and_not1_saveexec_b32 s10, s10
; %bb.3707:                             ;   in Loop: Header=BB6_3279 Depth=2
	v_mov_b32_e32 v22, v3
; %bb.3708:                             ;   in Loop: Header=BB6_3279 Depth=2
	s_or_b32 exec_lo, exec_lo, s10
.LBB6_3709:                             ;   in Loop: Header=BB6_3279 Depth=2
	s_delay_alu instid0(SALU_CYCLE_1)
	s_or_b32 exec_lo, exec_lo, s28
                                        ; implicit-def: $vgpr3
.LBB6_3710:                             ;   in Loop: Header=BB6_3279 Depth=2
	s_and_not1_saveexec_b32 s10, s27
; %bb.3711:                             ;   in Loop: Header=BB6_3279 Depth=2
	v_or_b32_e32 v22, 0x7b, v3
; %bb.3712:                             ;   in Loop: Header=BB6_3279 Depth=2
	s_or_b32 exec_lo, exec_lo, s10
                                        ; implicit-def: $vgpr0
.LBB6_3713:                             ;   in Loop: Header=BB6_3279 Depth=2
	s_and_not1_saveexec_b32 s10, s26
	s_cbranch_execz .LBB6_3719
; %bb.3714:                             ;   in Loop: Header=BB6_3279 Depth=2
	s_mov_b32 s26, exec_lo
                                        ; implicit-def: $vgpr22
	v_cmpx_ne_u64_e32 0, v[4:5]
	s_xor_b32 s26, exec_lo, s26
; %bb.3715:                             ;   in Loop: Header=BB6_3279 Depth=2
	v_lshrrev_b32_e32 v0, 24, v0
	s_delay_alu instid0(VALU_DEP_1)
	v_or_b32_e32 v22, 0x7f, v0
                                        ; implicit-def: $vgpr0
; %bb.3716:                             ;   in Loop: Header=BB6_3279 Depth=2
	s_and_not1_saveexec_b32 s26, s26
; %bb.3717:                             ;   in Loop: Header=BB6_3279 Depth=2
	v_cmp_lt_i32_e32 vcc_lo, -1, v0
	v_cndmask_b32_e64 v22, -4, 0x7c, vcc_lo
; %bb.3718:                             ;   in Loop: Header=BB6_3279 Depth=2
	s_or_b32 exec_lo, exec_lo, s26
.LBB6_3719:                             ;   in Loop: Header=BB6_3279 Depth=2
	s_delay_alu instid0(SALU_CYCLE_1)
	s_or_b32 exec_lo, exec_lo, s10
	v_dual_mov_b32 v0, 0 :: v_dual_mov_b32 v1, 0
	s_mov_b32 s10, exec_lo
	v_cmpx_ne_u16_e32 0, v102
	s_cbranch_execz .LBB6_3729
; %bb.3720:                             ;   in Loop: Header=BB6_3279 Depth=2
	v_bfrev_b32_e32 v1, 1
	s_mov_b32 s26, exec_lo
	v_cmpx_ne_u16_e32 0xff80, v102
	s_cbranch_execz .LBB6_3728
; %bb.3721:                             ;   in Loop: Header=BB6_3279 Depth=2
	v_and_b32_e32 v1, 0x7c, v102
	v_and_b32_e32 v3, 3, v102
	s_delay_alu instid0(VALU_DEP_2) | instskip(SKIP_1) | instid1(SALU_CYCLE_1)
	v_cmp_ne_u32_e32 vcc_lo, 0x7c, v1
                                        ; implicit-def: $vgpr1
	s_and_saveexec_b32 s27, vcc_lo
	s_xor_b32 s27, exec_lo, s27
	s_cbranch_execz .LBB6_3725
; %bb.3722:                             ;   in Loop: Header=BB6_3279 Depth=2
	v_and_b32_e32 v1, 0xff, v102
	s_mov_b32 s28, exec_lo
	s_delay_alu instid0(VALU_DEP_1) | instskip(NEXT) | instid1(VALU_DEP_1)
	v_bfe_u32 v1, v1, 2, 5
	v_cmpx_eq_u32_e32 0, v1
	s_cbranch_execz .LBB6_3724
; %bb.3723:                             ;   in Loop: Header=BB6_3279 Depth=2
	v_clz_i32_u32_e32 v1, v3
	s_delay_alu instid0(VALU_DEP_1) | instskip(SKIP_1) | instid1(VALU_DEP_2)
	v_min_u32_e32 v1, 32, v1
	v_mov_b32_e32 v103, v5
	v_subrev_nc_u32_e32 v3, 29, v1
	v_sub_nc_u32_e32 v1, 30, v1
	s_delay_alu instid0(VALU_DEP_2) | instskip(NEXT) | instid1(VALU_DEP_1)
	v_lshlrev_b64_e32 v[6:7], v3, v[102:103]
	v_and_b32_e32 v3, 3, v6
.LBB6_3724:                             ;   in Loop: Header=BB6_3279 Depth=2
	s_or_b32 exec_lo, exec_lo, s28
	v_bfe_i32 v4, v102, 0, 16
                                        ; implicit-def: $vgpr102
	s_delay_alu instid0(VALU_DEP_1) | instskip(NEXT) | instid1(VALU_DEP_1)
	v_and_b32_e32 v4, 0x80000000, v4
	v_lshl_add_u32 v1, v1, 23, v4
	s_delay_alu instid0(VALU_DEP_1) | instskip(NEXT) | instid1(VALU_DEP_1)
	v_lshl_or_b32 v1, v3, 21, v1
                                        ; implicit-def: $vgpr3
	v_add_nc_u32_e32 v1, 0x38000000, v1
.LBB6_3725:                             ;   in Loop: Header=BB6_3279 Depth=2
	s_and_not1_saveexec_b32 s27, s27
; %bb.3726:                             ;   in Loop: Header=BB6_3279 Depth=2
	v_cmp_lt_i16_e32 vcc_lo, -1, v102
	v_cndmask_b32_e32 v1, 0xff800000, v109, vcc_lo
	v_cmp_eq_u32_e32 vcc_lo, 0, v3
	s_delay_alu instid0(VALU_DEP_2)
	v_cndmask_b32_e32 v1, 0x7f800001, v1, vcc_lo
; %bb.3727:                             ;   in Loop: Header=BB6_3279 Depth=2
	s_or_b32 exec_lo, exec_lo, s27
.LBB6_3728:                             ;   in Loop: Header=BB6_3279 Depth=2
	s_delay_alu instid0(SALU_CYCLE_1)
	s_or_b32 exec_lo, exec_lo, s26
.LBB6_3729:                             ;   in Loop: Header=BB6_3279 Depth=2
	s_delay_alu instid0(SALU_CYCLE_1) | instskip(NEXT) | instid1(SALU_CYCLE_1)
	s_or_b32 exec_lo, exec_lo, s10
	s_mov_b32 s10, exec_lo
	v_cmpx_ne_u16_e32 0, v52
	s_cbranch_execz .LBB6_3739
; %bb.3730:                             ;   in Loop: Header=BB6_3279 Depth=2
	v_bfrev_b32_e32 v0, 1
	s_mov_b32 s26, exec_lo
	v_cmpx_ne_u16_e32 0xff80, v52
	s_cbranch_execz .LBB6_3738
; %bb.3731:                             ;   in Loop: Header=BB6_3279 Depth=2
	v_and_b32_e32 v0, 0x7c, v52
	v_and_b32_e32 v3, 3, v52
	s_delay_alu instid0(VALU_DEP_2) | instskip(SKIP_1) | instid1(SALU_CYCLE_1)
	v_cmp_ne_u32_e32 vcc_lo, 0x7c, v0
                                        ; implicit-def: $vgpr0
	s_and_saveexec_b32 s27, vcc_lo
	s_xor_b32 s27, exec_lo, s27
	s_cbranch_execz .LBB6_3735
; %bb.3732:                             ;   in Loop: Header=BB6_3279 Depth=2
	v_and_b32_e32 v0, 0xff, v52
	s_mov_b32 s28, exec_lo
	s_delay_alu instid0(VALU_DEP_1) | instskip(NEXT) | instid1(VALU_DEP_1)
	v_bfe_u32 v0, v0, 2, 5
	v_cmpx_eq_u32_e32 0, v0
	s_cbranch_execz .LBB6_3734
; %bb.3733:                             ;   in Loop: Header=BB6_3279 Depth=2
	v_clz_i32_u32_e32 v0, v3
	s_delay_alu instid0(VALU_DEP_1) | instskip(SKIP_1) | instid1(VALU_DEP_2)
	v_min_u32_e32 v0, 32, v0
	v_mov_b32_e32 v53, v5
	v_subrev_nc_u32_e32 v3, 29, v0
	v_sub_nc_u32_e32 v0, 30, v0
	s_delay_alu instid0(VALU_DEP_2) | instskip(NEXT) | instid1(VALU_DEP_1)
	v_lshlrev_b64_e32 v[6:7], v3, v[52:53]
	v_and_b32_e32 v3, 3, v6
.LBB6_3734:                             ;   in Loop: Header=BB6_3279 Depth=2
	s_or_b32 exec_lo, exec_lo, s28
	v_bfe_i32 v4, v52, 0, 16
                                        ; implicit-def: $vgpr52
	s_delay_alu instid0(VALU_DEP_1) | instskip(NEXT) | instid1(VALU_DEP_1)
	v_and_b32_e32 v4, 0x80000000, v4
	v_lshl_add_u32 v0, v0, 23, v4
	s_delay_alu instid0(VALU_DEP_1) | instskip(NEXT) | instid1(VALU_DEP_1)
	v_lshl_or_b32 v0, v3, 21, v0
                                        ; implicit-def: $vgpr3
	v_add_nc_u32_e32 v0, 0x38000000, v0
.LBB6_3735:                             ;   in Loop: Header=BB6_3279 Depth=2
	s_and_not1_saveexec_b32 s27, s27
; %bb.3736:                             ;   in Loop: Header=BB6_3279 Depth=2
	v_cmp_lt_i16_e32 vcc_lo, -1, v52
	v_cndmask_b32_e32 v0, 0xff800000, v109, vcc_lo
	v_cmp_eq_u32_e32 vcc_lo, 0, v3
	s_delay_alu instid0(VALU_DEP_2)
	v_cndmask_b32_e32 v0, 0x7f800001, v0, vcc_lo
; %bb.3737:                             ;   in Loop: Header=BB6_3279 Depth=2
	s_or_b32 exec_lo, exec_lo, s27
.LBB6_3738:                             ;   in Loop: Header=BB6_3279 Depth=2
	s_delay_alu instid0(SALU_CYCLE_1)
	s_or_b32 exec_lo, exec_lo, s26
.LBB6_3739:                             ;   in Loop: Header=BB6_3279 Depth=2
	s_delay_alu instid0(SALU_CYCLE_1) | instskip(NEXT) | instid1(VALU_DEP_1)
	s_or_b32 exec_lo, exec_lo, s10
	v_mul_f32_e32 v0, v1, v0
	v_mov_b32_e32 v7, v5
                                        ; implicit-def: $vgpr23
	s_mov_b32 s10, exec_lo
	s_delay_alu instid0(VALU_DEP_2) | instskip(SKIP_1) | instid1(VALU_DEP_2)
	v_and_b32_e32 v6, 0x7f800000, v0
	v_and_b32_e32 v4, 0x7fffff, v0
	v_cmpx_ne_u64_e32 0x7f800000, v[6:7]
	s_xor_b32 s26, exec_lo, s10
	s_cbranch_execz .LBB6_3757
; %bb.3740:                             ;   in Loop: Header=BB6_3279 Depth=2
	v_dual_mov_b32 v7, v5 :: v_dual_lshrrev_b32 v1, 24, v0
	v_and_b32_e32 v6, 0x7fffffff, v0
                                        ; implicit-def: $vgpr23
	s_mov_b32 s10, exec_lo
	s_delay_alu instid0(VALU_DEP_2) | instskip(NEXT) | instid1(VALU_DEP_2)
	v_and_b32_e32 v3, 0x80, v1
	v_cmpx_gt_u64_e32 0x47600001, v[6:7]
	s_xor_b32 s27, exec_lo, s10
	s_cbranch_execz .LBB6_3754
; %bb.3741:                             ;   in Loop: Header=BB6_3279 Depth=2
	v_mov_b32_e32 v23, 0
	s_mov_b32 s28, exec_lo
	v_cmpx_ne_u32_e32 0, v0
	s_cbranch_execz .LBB6_3753
; %bb.3742:                             ;   in Loop: Header=BB6_3279 Depth=2
	v_bfe_u32 v23, v0, 23, 8
	v_or_b32_e32 v1, 0x800000, v4
	s_delay_alu instid0(VALU_DEP_2) | instskip(SKIP_2) | instid1(VALU_DEP_2)
	v_cmp_gt_u32_e64 s10, 0x72, v23
	v_sub_nc_u32_e32 v0, 0x71, v23
	v_cmp_eq_u32_e32 vcc_lo, 0, v23
	v_cndmask_b32_e64 v0, 0, v0, s10
	s_delay_alu instid0(VALU_DEP_1) | instskip(SKIP_1) | instid1(VALU_DEP_2)
	v_cndmask_b32_e64 v24, v0, 0x70, vcc_lo
	v_cndmask_b32_e32 v0, v1, v4, vcc_lo
	v_dual_mov_b32 v1, v5 :: v_dual_add_nc_u32 v4, 21, v24
	s_delay_alu instid0(VALU_DEP_1) | instskip(SKIP_1) | instid1(VALU_DEP_1)
	v_lshlrev_b64_e64 v[6:7], v4, -1
	v_add_nc_u32_e32 v4, 20, v24
	v_lshlrev_b64_e64 v[26:27], v4, 1
	s_delay_alu instid0(VALU_DEP_3) | instskip(SKIP_2) | instid1(VALU_DEP_1)
	v_bfi_b32 v6, v6, 0, v0
	v_lshrrev_b64 v[0:1], v24, v[0:1]
	v_bfi_b32 v7, v7, 0, 0
	v_cmp_eq_u64_e64 s10, v[6:7], v[26:27]
	s_delay_alu instid0(VALU_DEP_3)
	v_mov_b64_e32 v[6:7], v[0:1]
	s_and_saveexec_b32 s29, s10
; %bb.3743:                             ;   in Loop: Header=BB6_3279 Depth=2
	v_bfe_u32 v6, v0, 21, 1
	v_mov_b32_e32 v7, v5
	s_delay_alu instid0(VALU_DEP_1) | instskip(NEXT) | instid1(VALU_DEP_1)
	v_add_nc_u64_e32 v[6:7], v[0:1], v[6:7]
	v_add_nc_u64_e32 v[6:7], -1, v[6:7]
; %bb.3744:                             ;   in Loop: Header=BB6_3279 Depth=2
	s_or_b32 exec_lo, exec_lo, s29
	v_add_nc_u32_e32 v1, 0xffffff81, v23
	v_lshrrev_b32_e32 v4, 23, v0
	s_delay_alu instid0(VALU_DEP_3) | instskip(SKIP_1) | instid1(VALU_DEP_3)
	v_and_b32_e32 v6, 0x1fffff, v6
	s_mov_b32 s10, exec_lo
	v_cndmask_b32_e64 v1, v1, 0xffffff82, vcc_lo
	s_delay_alu instid0(VALU_DEP_1) | instskip(NEXT) | instid1(VALU_DEP_3)
	v_add3_u32 v7, v24, v1, v4
	v_add_nc_u32_e32 v4, v6, v0
                                        ; implicit-def: $vgpr0_vgpr1
                                        ; implicit-def: $vgpr6
	s_delay_alu instid0(VALU_DEP_2) | instskip(NEXT) | instid1(VALU_DEP_1)
	v_add_nc_u32_e32 v23, 14, v7
	v_cmpx_ne_u32_e32 0, v23
	s_xor_b32 s10, exec_lo, s10
; %bb.3745:                             ;   in Loop: Header=BB6_3279 Depth=2
	s_delay_alu instid0(VALU_DEP_3) | instskip(SKIP_1) | instid1(VALU_DEP_1)
	v_cmp_lt_u64_e32 vcc_lo, 0xffffff, v[4:5]
	v_add_nc_u32_e32 v0, 15, v7
	v_cndmask_b32_e32 v6, v23, v0, vcc_lo
	v_cndmask_b32_e64 v0, 0, 1, vcc_lo
	s_delay_alu instid0(VALU_DEP_1)
	v_lshrrev_b64 v[0:1], v0, v[4:5]
; %bb.3746:                             ;   in Loop: Header=BB6_3279 Depth=2
	s_and_not1_saveexec_b32 s10, s10
; %bb.3747:                             ;   in Loop: Header=BB6_3279 Depth=2
	v_mov_b64_e32 v[0:1], v[4:5]
	v_bfe_u32 v6, v4, 23, 1
; %bb.3748:                             ;   in Loop: Header=BB6_3279 Depth=2
	s_or_b32 exec_lo, exec_lo, s10
	s_delay_alu instid0(VALU_DEP_2) | instskip(NEXT) | instid1(VALU_DEP_2)
	v_lshrrev_b64 v[0:1], 21, v[0:1]
	v_cmp_gt_i32_e32 vcc_lo, 32, v6
	v_cmp_ne_u32_e64 s10, 0, v6
                                        ; implicit-def: $vgpr23
	s_delay_alu instid0(VALU_DEP_3) | instskip(NEXT) | instid1(VALU_DEP_1)
	v_dual_cndmask_b32 v1, 0, v1 :: v_dual_cndmask_b32 v0, 3, v0
	v_cmp_ne_u64_e32 vcc_lo, 0, v[0:1]
	s_or_b32 s10, s10, vcc_lo
	s_delay_alu instid0(SALU_CYCLE_1) | instskip(NEXT) | instid1(SALU_CYCLE_1)
	s_and_saveexec_b32 s29, s10
	s_xor_b32 s10, exec_lo, s29
; %bb.3749:                             ;   in Loop: Header=BB6_3279 Depth=2
	v_min_i32_e32 v1, 31, v6
	s_delay_alu instid0(VALU_DEP_1) | instskip(NEXT) | instid1(VALU_DEP_1)
	v_lshl_or_b32 v1, v1, 2, v3
                                        ; implicit-def: $vgpr3
	v_and_or_b32 v23, v0, 3, v1
; %bb.3750:                             ;   in Loop: Header=BB6_3279 Depth=2
	s_and_not1_saveexec_b32 s10, s10
; %bb.3751:                             ;   in Loop: Header=BB6_3279 Depth=2
	v_mov_b32_e32 v23, v3
; %bb.3752:                             ;   in Loop: Header=BB6_3279 Depth=2
	s_or_b32 exec_lo, exec_lo, s10
.LBB6_3753:                             ;   in Loop: Header=BB6_3279 Depth=2
	s_delay_alu instid0(SALU_CYCLE_1)
	s_or_b32 exec_lo, exec_lo, s28
                                        ; implicit-def: $vgpr3
.LBB6_3754:                             ;   in Loop: Header=BB6_3279 Depth=2
	s_and_not1_saveexec_b32 s10, s27
; %bb.3755:                             ;   in Loop: Header=BB6_3279 Depth=2
	v_or_b32_e32 v23, 0x7b, v3
; %bb.3756:                             ;   in Loop: Header=BB6_3279 Depth=2
	s_or_b32 exec_lo, exec_lo, s10
                                        ; implicit-def: $vgpr0
.LBB6_3757:                             ;   in Loop: Header=BB6_3279 Depth=2
	s_and_not1_saveexec_b32 s10, s26
	s_cbranch_execz .LBB6_3763
; %bb.3758:                             ;   in Loop: Header=BB6_3279 Depth=2
	s_mov_b32 s26, exec_lo
                                        ; implicit-def: $vgpr23
	v_cmpx_ne_u64_e32 0, v[4:5]
	s_xor_b32 s26, exec_lo, s26
; %bb.3759:                             ;   in Loop: Header=BB6_3279 Depth=2
	v_lshrrev_b32_e32 v0, 24, v0
	s_delay_alu instid0(VALU_DEP_1)
	v_or_b32_e32 v23, 0x7f, v0
                                        ; implicit-def: $vgpr0
; %bb.3760:                             ;   in Loop: Header=BB6_3279 Depth=2
	s_and_not1_saveexec_b32 s26, s26
; %bb.3761:                             ;   in Loop: Header=BB6_3279 Depth=2
	v_cmp_lt_i32_e32 vcc_lo, -1, v0
	v_cndmask_b32_e64 v23, -4, 0x7c, vcc_lo
; %bb.3762:                             ;   in Loop: Header=BB6_3279 Depth=2
	s_or_b32 exec_lo, exec_lo, s26
.LBB6_3763:                             ;   in Loop: Header=BB6_3279 Depth=2
	s_delay_alu instid0(SALU_CYCLE_1)
	s_or_b32 exec_lo, exec_lo, s10
	v_dual_mov_b32 v0, 0 :: v_dual_mov_b32 v1, 0
	s_mov_b32 s10, exec_lo
	v_cmpx_ne_u16_e32 0, v84
	s_cbranch_execz .LBB6_3773
; %bb.3764:                             ;   in Loop: Header=BB6_3279 Depth=2
	v_bfrev_b32_e32 v1, 1
	s_mov_b32 s26, exec_lo
	v_cmpx_ne_u16_e32 0xff80, v84
	s_cbranch_execz .LBB6_3772
; %bb.3765:                             ;   in Loop: Header=BB6_3279 Depth=2
	v_and_b32_e32 v1, 0x7c, v84
	v_and_b32_e32 v3, 3, v84
	s_delay_alu instid0(VALU_DEP_2) | instskip(SKIP_1) | instid1(SALU_CYCLE_1)
	v_cmp_ne_u32_e32 vcc_lo, 0x7c, v1
                                        ; implicit-def: $vgpr1
	s_and_saveexec_b32 s27, vcc_lo
	s_xor_b32 s27, exec_lo, s27
	s_cbranch_execz .LBB6_3769
; %bb.3766:                             ;   in Loop: Header=BB6_3279 Depth=2
	v_and_b32_e32 v1, 0xff, v84
	s_mov_b32 s28, exec_lo
	s_delay_alu instid0(VALU_DEP_1) | instskip(NEXT) | instid1(VALU_DEP_1)
	v_bfe_u32 v1, v1, 2, 5
	v_cmpx_eq_u32_e32 0, v1
	s_cbranch_execz .LBB6_3768
; %bb.3767:                             ;   in Loop: Header=BB6_3279 Depth=2
	v_clz_i32_u32_e32 v1, v3
	s_delay_alu instid0(VALU_DEP_1) | instskip(SKIP_1) | instid1(VALU_DEP_2)
	v_min_u32_e32 v1, 32, v1
	v_mov_b32_e32 v85, v5
	v_subrev_nc_u32_e32 v3, 29, v1
	v_sub_nc_u32_e32 v1, 30, v1
	s_delay_alu instid0(VALU_DEP_2) | instskip(NEXT) | instid1(VALU_DEP_1)
	v_lshlrev_b64_e32 v[6:7], v3, v[84:85]
	v_and_b32_e32 v3, 3, v6
.LBB6_3768:                             ;   in Loop: Header=BB6_3279 Depth=2
	s_or_b32 exec_lo, exec_lo, s28
	v_bfe_i32 v4, v84, 0, 16
                                        ; implicit-def: $vgpr84
	s_delay_alu instid0(VALU_DEP_1) | instskip(NEXT) | instid1(VALU_DEP_1)
	v_and_b32_e32 v4, 0x80000000, v4
	v_lshl_add_u32 v1, v1, 23, v4
	s_delay_alu instid0(VALU_DEP_1) | instskip(NEXT) | instid1(VALU_DEP_1)
	v_lshl_or_b32 v1, v3, 21, v1
                                        ; implicit-def: $vgpr3
	v_add_nc_u32_e32 v1, 0x38000000, v1
.LBB6_3769:                             ;   in Loop: Header=BB6_3279 Depth=2
	s_and_not1_saveexec_b32 s27, s27
; %bb.3770:                             ;   in Loop: Header=BB6_3279 Depth=2
	v_cmp_lt_i16_e32 vcc_lo, -1, v84
	v_cndmask_b32_e32 v1, 0xff800000, v109, vcc_lo
	v_cmp_eq_u32_e32 vcc_lo, 0, v3
	s_delay_alu instid0(VALU_DEP_2)
	v_cndmask_b32_e32 v1, 0x7f800001, v1, vcc_lo
; %bb.3771:                             ;   in Loop: Header=BB6_3279 Depth=2
	s_or_b32 exec_lo, exec_lo, s27
.LBB6_3772:                             ;   in Loop: Header=BB6_3279 Depth=2
	s_delay_alu instid0(SALU_CYCLE_1)
	s_or_b32 exec_lo, exec_lo, s26
.LBB6_3773:                             ;   in Loop: Header=BB6_3279 Depth=2
	s_delay_alu instid0(SALU_CYCLE_1) | instskip(NEXT) | instid1(SALU_CYCLE_1)
	s_or_b32 exec_lo, exec_lo, s10
	s_mov_b32 s10, exec_lo
	v_cmpx_ne_u16_e32 0, v68
	s_cbranch_execz .LBB6_3783
; %bb.3774:                             ;   in Loop: Header=BB6_3279 Depth=2
	v_bfrev_b32_e32 v0, 1
	s_mov_b32 s26, exec_lo
	v_cmpx_ne_u16_e32 0xff80, v68
	s_cbranch_execz .LBB6_3782
; %bb.3775:                             ;   in Loop: Header=BB6_3279 Depth=2
	v_and_b32_e32 v0, 0x7c, v68
	v_and_b32_e32 v3, 3, v68
	s_delay_alu instid0(VALU_DEP_2) | instskip(SKIP_1) | instid1(SALU_CYCLE_1)
	v_cmp_ne_u32_e32 vcc_lo, 0x7c, v0
                                        ; implicit-def: $vgpr0
	s_and_saveexec_b32 s27, vcc_lo
	s_xor_b32 s27, exec_lo, s27
	s_cbranch_execz .LBB6_3779
; %bb.3776:                             ;   in Loop: Header=BB6_3279 Depth=2
	v_and_b32_e32 v0, 0xff, v68
	s_mov_b32 s28, exec_lo
	s_delay_alu instid0(VALU_DEP_1) | instskip(NEXT) | instid1(VALU_DEP_1)
	v_bfe_u32 v0, v0, 2, 5
	v_cmpx_eq_u32_e32 0, v0
	s_cbranch_execz .LBB6_3778
; %bb.3777:                             ;   in Loop: Header=BB6_3279 Depth=2
	v_clz_i32_u32_e32 v0, v3
	s_delay_alu instid0(VALU_DEP_1) | instskip(SKIP_1) | instid1(VALU_DEP_2)
	v_min_u32_e32 v0, 32, v0
	v_mov_b32_e32 v69, v5
	v_subrev_nc_u32_e32 v3, 29, v0
	v_sub_nc_u32_e32 v0, 30, v0
	s_delay_alu instid0(VALU_DEP_2) | instskip(NEXT) | instid1(VALU_DEP_1)
	v_lshlrev_b64_e32 v[6:7], v3, v[68:69]
	v_and_b32_e32 v3, 3, v6
.LBB6_3778:                             ;   in Loop: Header=BB6_3279 Depth=2
	s_or_b32 exec_lo, exec_lo, s28
	v_bfe_i32 v4, v68, 0, 16
                                        ; implicit-def: $vgpr68
	s_delay_alu instid0(VALU_DEP_1) | instskip(NEXT) | instid1(VALU_DEP_1)
	v_and_b32_e32 v4, 0x80000000, v4
	v_lshl_add_u32 v0, v0, 23, v4
	s_delay_alu instid0(VALU_DEP_1) | instskip(NEXT) | instid1(VALU_DEP_1)
	v_lshl_or_b32 v0, v3, 21, v0
                                        ; implicit-def: $vgpr3
	v_add_nc_u32_e32 v0, 0x38000000, v0
.LBB6_3779:                             ;   in Loop: Header=BB6_3279 Depth=2
	s_and_not1_saveexec_b32 s27, s27
; %bb.3780:                             ;   in Loop: Header=BB6_3279 Depth=2
	v_cmp_lt_i16_e32 vcc_lo, -1, v68
	v_cndmask_b32_e32 v0, 0xff800000, v109, vcc_lo
	v_cmp_eq_u32_e32 vcc_lo, 0, v3
	s_delay_alu instid0(VALU_DEP_2)
	v_cndmask_b32_e32 v0, 0x7f800001, v0, vcc_lo
; %bb.3781:                             ;   in Loop: Header=BB6_3279 Depth=2
	s_or_b32 exec_lo, exec_lo, s27
.LBB6_3782:                             ;   in Loop: Header=BB6_3279 Depth=2
	s_delay_alu instid0(SALU_CYCLE_1)
	s_or_b32 exec_lo, exec_lo, s26
.LBB6_3783:                             ;   in Loop: Header=BB6_3279 Depth=2
	s_delay_alu instid0(SALU_CYCLE_1) | instskip(NEXT) | instid1(VALU_DEP_1)
	s_or_b32 exec_lo, exec_lo, s10
	v_mul_f32_e32 v0, v1, v0
	v_mov_b32_e32 v7, v5
                                        ; implicit-def: $vgpr24
	s_mov_b32 s10, exec_lo
	s_delay_alu instid0(VALU_DEP_2) | instskip(SKIP_1) | instid1(VALU_DEP_2)
	v_and_b32_e32 v6, 0x7f800000, v0
	v_and_b32_e32 v4, 0x7fffff, v0
	v_cmpx_ne_u64_e32 0x7f800000, v[6:7]
	s_xor_b32 s26, exec_lo, s10
	s_cbranch_execz .LBB6_3801
; %bb.3784:                             ;   in Loop: Header=BB6_3279 Depth=2
	v_dual_mov_b32 v7, v5 :: v_dual_lshrrev_b32 v1, 24, v0
	v_and_b32_e32 v6, 0x7fffffff, v0
                                        ; implicit-def: $vgpr24
	s_mov_b32 s10, exec_lo
	s_delay_alu instid0(VALU_DEP_2) | instskip(NEXT) | instid1(VALU_DEP_2)
	v_and_b32_e32 v3, 0x80, v1
	v_cmpx_gt_u64_e32 0x47600001, v[6:7]
	s_xor_b32 s27, exec_lo, s10
	s_cbranch_execz .LBB6_3798
; %bb.3785:                             ;   in Loop: Header=BB6_3279 Depth=2
	v_mov_b32_e32 v24, 0
	s_mov_b32 s28, exec_lo
	v_cmpx_ne_u32_e32 0, v0
	s_cbranch_execz .LBB6_3797
; %bb.3786:                             ;   in Loop: Header=BB6_3279 Depth=2
	v_bfe_u32 v24, v0, 23, 8
	v_or_b32_e32 v1, 0x800000, v4
	s_delay_alu instid0(VALU_DEP_2) | instskip(SKIP_2) | instid1(VALU_DEP_2)
	v_cmp_gt_u32_e64 s10, 0x72, v24
	v_sub_nc_u32_e32 v0, 0x71, v24
	v_cmp_eq_u32_e32 vcc_lo, 0, v24
	v_cndmask_b32_e64 v0, 0, v0, s10
	s_delay_alu instid0(VALU_DEP_1) | instskip(SKIP_1) | instid1(VALU_DEP_2)
	v_cndmask_b32_e64 v25, v0, 0x70, vcc_lo
	v_cndmask_b32_e32 v0, v1, v4, vcc_lo
	v_dual_mov_b32 v1, v5 :: v_dual_add_nc_u32 v4, 21, v25
	s_delay_alu instid0(VALU_DEP_1) | instskip(SKIP_1) | instid1(VALU_DEP_1)
	v_lshlrev_b64_e64 v[6:7], v4, -1
	v_add_nc_u32_e32 v4, 20, v25
	v_lshlrev_b64_e64 v[26:27], v4, 1
	s_delay_alu instid0(VALU_DEP_3) | instskip(SKIP_2) | instid1(VALU_DEP_1)
	v_bfi_b32 v6, v6, 0, v0
	v_lshrrev_b64 v[0:1], v25, v[0:1]
	v_bfi_b32 v7, v7, 0, 0
	v_cmp_eq_u64_e64 s10, v[6:7], v[26:27]
	s_delay_alu instid0(VALU_DEP_3)
	v_mov_b64_e32 v[6:7], v[0:1]
	s_and_saveexec_b32 s29, s10
; %bb.3787:                             ;   in Loop: Header=BB6_3279 Depth=2
	v_bfe_u32 v6, v0, 21, 1
	v_mov_b32_e32 v7, v5
	s_delay_alu instid0(VALU_DEP_1) | instskip(NEXT) | instid1(VALU_DEP_1)
	v_add_nc_u64_e32 v[6:7], v[0:1], v[6:7]
	v_add_nc_u64_e32 v[6:7], -1, v[6:7]
; %bb.3788:                             ;   in Loop: Header=BB6_3279 Depth=2
	s_or_b32 exec_lo, exec_lo, s29
	v_add_nc_u32_e32 v1, 0xffffff81, v24
	v_lshrrev_b32_e32 v4, 23, v0
	s_delay_alu instid0(VALU_DEP_3) | instskip(SKIP_1) | instid1(VALU_DEP_3)
	v_and_b32_e32 v6, 0x1fffff, v6
	s_mov_b32 s10, exec_lo
	v_cndmask_b32_e64 v1, v1, 0xffffff82, vcc_lo
	s_delay_alu instid0(VALU_DEP_1) | instskip(NEXT) | instid1(VALU_DEP_3)
	v_add3_u32 v7, v25, v1, v4
	v_add_nc_u32_e32 v4, v6, v0
                                        ; implicit-def: $vgpr0_vgpr1
                                        ; implicit-def: $vgpr6
	s_delay_alu instid0(VALU_DEP_2) | instskip(NEXT) | instid1(VALU_DEP_1)
	v_add_nc_u32_e32 v24, 14, v7
	v_cmpx_ne_u32_e32 0, v24
	s_xor_b32 s10, exec_lo, s10
; %bb.3789:                             ;   in Loop: Header=BB6_3279 Depth=2
	s_delay_alu instid0(VALU_DEP_3) | instskip(SKIP_1) | instid1(VALU_DEP_1)
	v_cmp_lt_u64_e32 vcc_lo, 0xffffff, v[4:5]
	v_add_nc_u32_e32 v0, 15, v7
	v_cndmask_b32_e32 v6, v24, v0, vcc_lo
	v_cndmask_b32_e64 v0, 0, 1, vcc_lo
	s_delay_alu instid0(VALU_DEP_1)
	v_lshrrev_b64 v[0:1], v0, v[4:5]
; %bb.3790:                             ;   in Loop: Header=BB6_3279 Depth=2
	s_and_not1_saveexec_b32 s10, s10
; %bb.3791:                             ;   in Loop: Header=BB6_3279 Depth=2
	v_mov_b64_e32 v[0:1], v[4:5]
	v_bfe_u32 v6, v4, 23, 1
; %bb.3792:                             ;   in Loop: Header=BB6_3279 Depth=2
	s_or_b32 exec_lo, exec_lo, s10
	s_delay_alu instid0(VALU_DEP_2) | instskip(NEXT) | instid1(VALU_DEP_2)
	v_lshrrev_b64 v[0:1], 21, v[0:1]
	v_cmp_gt_i32_e32 vcc_lo, 32, v6
	v_cmp_ne_u32_e64 s10, 0, v6
                                        ; implicit-def: $vgpr24
	s_delay_alu instid0(VALU_DEP_3) | instskip(NEXT) | instid1(VALU_DEP_1)
	v_dual_cndmask_b32 v1, 0, v1 :: v_dual_cndmask_b32 v0, 3, v0
	v_cmp_ne_u64_e32 vcc_lo, 0, v[0:1]
	s_or_b32 s10, s10, vcc_lo
	s_delay_alu instid0(SALU_CYCLE_1) | instskip(NEXT) | instid1(SALU_CYCLE_1)
	s_and_saveexec_b32 s29, s10
	s_xor_b32 s10, exec_lo, s29
; %bb.3793:                             ;   in Loop: Header=BB6_3279 Depth=2
	v_min_i32_e32 v1, 31, v6
	s_delay_alu instid0(VALU_DEP_1) | instskip(NEXT) | instid1(VALU_DEP_1)
	v_lshl_or_b32 v1, v1, 2, v3
                                        ; implicit-def: $vgpr3
	v_and_or_b32 v24, v0, 3, v1
; %bb.3794:                             ;   in Loop: Header=BB6_3279 Depth=2
	s_and_not1_saveexec_b32 s10, s10
; %bb.3795:                             ;   in Loop: Header=BB6_3279 Depth=2
	v_mov_b32_e32 v24, v3
; %bb.3796:                             ;   in Loop: Header=BB6_3279 Depth=2
	s_or_b32 exec_lo, exec_lo, s10
.LBB6_3797:                             ;   in Loop: Header=BB6_3279 Depth=2
	s_delay_alu instid0(SALU_CYCLE_1)
	s_or_b32 exec_lo, exec_lo, s28
                                        ; implicit-def: $vgpr3
.LBB6_3798:                             ;   in Loop: Header=BB6_3279 Depth=2
	s_and_not1_saveexec_b32 s10, s27
; %bb.3799:                             ;   in Loop: Header=BB6_3279 Depth=2
	v_or_b32_e32 v24, 0x7b, v3
; %bb.3800:                             ;   in Loop: Header=BB6_3279 Depth=2
	s_or_b32 exec_lo, exec_lo, s10
                                        ; implicit-def: $vgpr0
.LBB6_3801:                             ;   in Loop: Header=BB6_3279 Depth=2
	s_and_not1_saveexec_b32 s10, s26
	s_cbranch_execz .LBB6_3807
; %bb.3802:                             ;   in Loop: Header=BB6_3279 Depth=2
	s_mov_b32 s26, exec_lo
                                        ; implicit-def: $vgpr24
	v_cmpx_ne_u64_e32 0, v[4:5]
	s_xor_b32 s26, exec_lo, s26
; %bb.3803:                             ;   in Loop: Header=BB6_3279 Depth=2
	v_lshrrev_b32_e32 v0, 24, v0
	s_delay_alu instid0(VALU_DEP_1)
	v_or_b32_e32 v24, 0x7f, v0
                                        ; implicit-def: $vgpr0
; %bb.3804:                             ;   in Loop: Header=BB6_3279 Depth=2
	s_and_not1_saveexec_b32 s26, s26
; %bb.3805:                             ;   in Loop: Header=BB6_3279 Depth=2
	v_cmp_lt_i32_e32 vcc_lo, -1, v0
	v_cndmask_b32_e64 v24, -4, 0x7c, vcc_lo
; %bb.3806:                             ;   in Loop: Header=BB6_3279 Depth=2
	s_or_b32 exec_lo, exec_lo, s26
.LBB6_3807:                             ;   in Loop: Header=BB6_3279 Depth=2
	s_delay_alu instid0(SALU_CYCLE_1)
	s_or_b32 exec_lo, exec_lo, s10
	v_dual_mov_b32 v0, 0 :: v_dual_mov_b32 v1, 0
	s_mov_b32 s10, exec_lo
	v_cmpx_ne_u16_e32 0, v66
	s_cbranch_execz .LBB6_3817
; %bb.3808:                             ;   in Loop: Header=BB6_3279 Depth=2
	v_bfrev_b32_e32 v1, 1
	s_mov_b32 s26, exec_lo
	v_cmpx_ne_u16_e32 0xff80, v66
	s_cbranch_execz .LBB6_3816
; %bb.3809:                             ;   in Loop: Header=BB6_3279 Depth=2
	v_and_b32_e32 v1, 0x7c, v66
	v_and_b32_e32 v3, 3, v66
	s_delay_alu instid0(VALU_DEP_2) | instskip(SKIP_1) | instid1(SALU_CYCLE_1)
	v_cmp_ne_u32_e32 vcc_lo, 0x7c, v1
                                        ; implicit-def: $vgpr1
	s_and_saveexec_b32 s27, vcc_lo
	s_xor_b32 s27, exec_lo, s27
	s_cbranch_execz .LBB6_3813
; %bb.3810:                             ;   in Loop: Header=BB6_3279 Depth=2
	v_and_b32_e32 v1, 0xff, v66
	s_mov_b32 s28, exec_lo
	s_delay_alu instid0(VALU_DEP_1) | instskip(NEXT) | instid1(VALU_DEP_1)
	v_bfe_u32 v1, v1, 2, 5
	v_cmpx_eq_u32_e32 0, v1
	s_cbranch_execz .LBB6_3812
; %bb.3811:                             ;   in Loop: Header=BB6_3279 Depth=2
	v_clz_i32_u32_e32 v1, v3
	s_delay_alu instid0(VALU_DEP_1) | instskip(SKIP_1) | instid1(VALU_DEP_2)
	v_min_u32_e32 v1, 32, v1
	v_mov_b32_e32 v67, v5
	v_subrev_nc_u32_e32 v3, 29, v1
	v_sub_nc_u32_e32 v1, 30, v1
	s_delay_alu instid0(VALU_DEP_2) | instskip(NEXT) | instid1(VALU_DEP_1)
	v_lshlrev_b64_e32 v[6:7], v3, v[66:67]
	v_and_b32_e32 v3, 3, v6
.LBB6_3812:                             ;   in Loop: Header=BB6_3279 Depth=2
	s_or_b32 exec_lo, exec_lo, s28
	v_bfe_i32 v4, v66, 0, 16
                                        ; implicit-def: $vgpr66
	s_delay_alu instid0(VALU_DEP_1) | instskip(NEXT) | instid1(VALU_DEP_1)
	v_and_b32_e32 v4, 0x80000000, v4
	v_lshl_add_u32 v1, v1, 23, v4
	s_delay_alu instid0(VALU_DEP_1) | instskip(NEXT) | instid1(VALU_DEP_1)
	v_lshl_or_b32 v1, v3, 21, v1
                                        ; implicit-def: $vgpr3
	v_add_nc_u32_e32 v1, 0x38000000, v1
.LBB6_3813:                             ;   in Loop: Header=BB6_3279 Depth=2
	s_and_not1_saveexec_b32 s27, s27
; %bb.3814:                             ;   in Loop: Header=BB6_3279 Depth=2
	v_cmp_lt_i16_e32 vcc_lo, -1, v66
	v_cndmask_b32_e32 v1, 0xff800000, v109, vcc_lo
	v_cmp_eq_u32_e32 vcc_lo, 0, v3
	s_delay_alu instid0(VALU_DEP_2)
	v_cndmask_b32_e32 v1, 0x7f800001, v1, vcc_lo
; %bb.3815:                             ;   in Loop: Header=BB6_3279 Depth=2
	s_or_b32 exec_lo, exec_lo, s27
.LBB6_3816:                             ;   in Loop: Header=BB6_3279 Depth=2
	s_delay_alu instid0(SALU_CYCLE_1)
	s_or_b32 exec_lo, exec_lo, s26
.LBB6_3817:                             ;   in Loop: Header=BB6_3279 Depth=2
	s_delay_alu instid0(SALU_CYCLE_1) | instskip(NEXT) | instid1(SALU_CYCLE_1)
	s_or_b32 exec_lo, exec_lo, s10
	s_mov_b32 s10, exec_lo
	v_cmpx_ne_u16_e32 0, v30
	s_cbranch_execz .LBB6_3827
; %bb.3818:                             ;   in Loop: Header=BB6_3279 Depth=2
	v_bfrev_b32_e32 v0, 1
	s_mov_b32 s26, exec_lo
	v_cmpx_ne_u16_e32 0xff80, v30
	s_cbranch_execz .LBB6_3826
; %bb.3819:                             ;   in Loop: Header=BB6_3279 Depth=2
	v_and_b32_e32 v0, 0x7c, v30
	v_and_b32_e32 v3, 3, v30
	s_delay_alu instid0(VALU_DEP_2) | instskip(SKIP_1) | instid1(SALU_CYCLE_1)
	v_cmp_ne_u32_e32 vcc_lo, 0x7c, v0
                                        ; implicit-def: $vgpr0
	s_and_saveexec_b32 s27, vcc_lo
	s_xor_b32 s27, exec_lo, s27
	s_cbranch_execz .LBB6_3823
; %bb.3820:                             ;   in Loop: Header=BB6_3279 Depth=2
	v_and_b32_e32 v0, 0xff, v30
	s_mov_b32 s28, exec_lo
	s_delay_alu instid0(VALU_DEP_1) | instskip(NEXT) | instid1(VALU_DEP_1)
	v_bfe_u32 v0, v0, 2, 5
	v_cmpx_eq_u32_e32 0, v0
	s_cbranch_execz .LBB6_3822
; %bb.3821:                             ;   in Loop: Header=BB6_3279 Depth=2
	v_clz_i32_u32_e32 v0, v3
	s_delay_alu instid0(VALU_DEP_1) | instskip(SKIP_1) | instid1(VALU_DEP_2)
	v_min_u32_e32 v0, 32, v0
	v_mov_b32_e32 v31, v5
	v_subrev_nc_u32_e32 v3, 29, v0
	v_sub_nc_u32_e32 v0, 30, v0
	s_delay_alu instid0(VALU_DEP_2) | instskip(NEXT) | instid1(VALU_DEP_1)
	v_lshlrev_b64_e32 v[6:7], v3, v[30:31]
	v_and_b32_e32 v3, 3, v6
.LBB6_3822:                             ;   in Loop: Header=BB6_3279 Depth=2
	s_or_b32 exec_lo, exec_lo, s28
	v_bfe_i32 v4, v30, 0, 16
                                        ; implicit-def: $vgpr30
	s_delay_alu instid0(VALU_DEP_1) | instskip(NEXT) | instid1(VALU_DEP_1)
	v_and_b32_e32 v4, 0x80000000, v4
	v_lshl_add_u32 v0, v0, 23, v4
	s_delay_alu instid0(VALU_DEP_1) | instskip(NEXT) | instid1(VALU_DEP_1)
	v_lshl_or_b32 v0, v3, 21, v0
                                        ; implicit-def: $vgpr3
	v_add_nc_u32_e32 v0, 0x38000000, v0
.LBB6_3823:                             ;   in Loop: Header=BB6_3279 Depth=2
	s_and_not1_saveexec_b32 s27, s27
; %bb.3824:                             ;   in Loop: Header=BB6_3279 Depth=2
	v_cmp_lt_i16_e32 vcc_lo, -1, v30
	v_cndmask_b32_e32 v0, 0xff800000, v109, vcc_lo
	v_cmp_eq_u32_e32 vcc_lo, 0, v3
	s_delay_alu instid0(VALU_DEP_2)
	v_cndmask_b32_e32 v0, 0x7f800001, v0, vcc_lo
; %bb.3825:                             ;   in Loop: Header=BB6_3279 Depth=2
	s_or_b32 exec_lo, exec_lo, s27
.LBB6_3826:                             ;   in Loop: Header=BB6_3279 Depth=2
	s_delay_alu instid0(SALU_CYCLE_1)
	s_or_b32 exec_lo, exec_lo, s26
.LBB6_3827:                             ;   in Loop: Header=BB6_3279 Depth=2
	s_delay_alu instid0(SALU_CYCLE_1) | instskip(NEXT) | instid1(VALU_DEP_1)
	s_or_b32 exec_lo, exec_lo, s10
	v_mul_f32_e32 v0, v1, v0
	v_mov_b32_e32 v7, v5
                                        ; implicit-def: $vgpr25
	s_mov_b32 s10, exec_lo
	s_delay_alu instid0(VALU_DEP_2) | instskip(SKIP_1) | instid1(VALU_DEP_2)
	v_and_b32_e32 v6, 0x7f800000, v0
	v_and_b32_e32 v4, 0x7fffff, v0
	v_cmpx_ne_u64_e32 0x7f800000, v[6:7]
	s_xor_b32 s26, exec_lo, s10
	s_cbranch_execz .LBB6_3845
; %bb.3828:                             ;   in Loop: Header=BB6_3279 Depth=2
	v_dual_mov_b32 v7, v5 :: v_dual_lshrrev_b32 v1, 24, v0
	v_and_b32_e32 v6, 0x7fffffff, v0
                                        ; implicit-def: $vgpr25
	s_mov_b32 s10, exec_lo
	s_delay_alu instid0(VALU_DEP_2) | instskip(NEXT) | instid1(VALU_DEP_2)
	v_and_b32_e32 v3, 0x80, v1
	v_cmpx_gt_u64_e32 0x47600001, v[6:7]
	s_xor_b32 s27, exec_lo, s10
	s_cbranch_execz .LBB6_3842
; %bb.3829:                             ;   in Loop: Header=BB6_3279 Depth=2
	v_mov_b32_e32 v25, 0
	s_mov_b32 s28, exec_lo
	v_cmpx_ne_u32_e32 0, v0
	s_cbranch_execz .LBB6_3841
; %bb.3830:                             ;   in Loop: Header=BB6_3279 Depth=2
	v_bfe_u32 v25, v0, 23, 8
	v_or_b32_e32 v1, 0x800000, v4
	s_delay_alu instid0(VALU_DEP_2) | instskip(SKIP_2) | instid1(VALU_DEP_2)
	v_cmp_gt_u32_e64 s10, 0x72, v25
	v_sub_nc_u32_e32 v0, 0x71, v25
	v_cmp_eq_u32_e32 vcc_lo, 0, v25
	v_cndmask_b32_e64 v0, 0, v0, s10
	s_delay_alu instid0(VALU_DEP_1) | instskip(SKIP_1) | instid1(VALU_DEP_2)
	v_cndmask_b32_e64 v27, v0, 0x70, vcc_lo
	v_cndmask_b32_e32 v0, v1, v4, vcc_lo
	v_dual_mov_b32 v1, v5 :: v_dual_add_nc_u32 v4, 21, v27
	s_delay_alu instid0(VALU_DEP_1) | instskip(SKIP_1) | instid1(VALU_DEP_1)
	v_lshlrev_b64_e64 v[6:7], v4, -1
	v_add_nc_u32_e32 v4, 20, v27
	v_lshlrev_b64_e64 v[30:31], v4, 1
	s_delay_alu instid0(VALU_DEP_3) | instskip(SKIP_2) | instid1(VALU_DEP_1)
	v_bfi_b32 v6, v6, 0, v0
	v_lshrrev_b64 v[0:1], v27, v[0:1]
	v_bfi_b32 v7, v7, 0, 0
	v_cmp_eq_u64_e64 s10, v[6:7], v[30:31]
	s_delay_alu instid0(VALU_DEP_3)
	v_mov_b64_e32 v[6:7], v[0:1]
	s_and_saveexec_b32 s29, s10
; %bb.3831:                             ;   in Loop: Header=BB6_3279 Depth=2
	v_bfe_u32 v6, v0, 21, 1
	v_mov_b32_e32 v7, v5
	s_delay_alu instid0(VALU_DEP_1) | instskip(NEXT) | instid1(VALU_DEP_1)
	v_add_nc_u64_e32 v[6:7], v[0:1], v[6:7]
	v_add_nc_u64_e32 v[6:7], -1, v[6:7]
; %bb.3832:                             ;   in Loop: Header=BB6_3279 Depth=2
	s_or_b32 exec_lo, exec_lo, s29
	v_add_nc_u32_e32 v1, 0xffffff81, v25
	v_lshrrev_b32_e32 v4, 23, v0
	s_delay_alu instid0(VALU_DEP_3) | instskip(SKIP_1) | instid1(VALU_DEP_3)
	v_and_b32_e32 v6, 0x1fffff, v6
	s_mov_b32 s10, exec_lo
	v_cndmask_b32_e64 v1, v1, 0xffffff82, vcc_lo
	s_delay_alu instid0(VALU_DEP_1) | instskip(NEXT) | instid1(VALU_DEP_3)
	v_add3_u32 v7, v27, v1, v4
	v_add_nc_u32_e32 v4, v6, v0
                                        ; implicit-def: $vgpr0_vgpr1
                                        ; implicit-def: $vgpr6
	s_delay_alu instid0(VALU_DEP_2) | instskip(NEXT) | instid1(VALU_DEP_1)
	v_add_nc_u32_e32 v25, 14, v7
	v_cmpx_ne_u32_e32 0, v25
	s_xor_b32 s10, exec_lo, s10
; %bb.3833:                             ;   in Loop: Header=BB6_3279 Depth=2
	s_delay_alu instid0(VALU_DEP_3) | instskip(SKIP_1) | instid1(VALU_DEP_1)
	v_cmp_lt_u64_e32 vcc_lo, 0xffffff, v[4:5]
	v_add_nc_u32_e32 v0, 15, v7
	v_cndmask_b32_e32 v6, v25, v0, vcc_lo
	v_cndmask_b32_e64 v0, 0, 1, vcc_lo
	s_delay_alu instid0(VALU_DEP_1)
	v_lshrrev_b64 v[0:1], v0, v[4:5]
; %bb.3834:                             ;   in Loop: Header=BB6_3279 Depth=2
	s_and_not1_saveexec_b32 s10, s10
; %bb.3835:                             ;   in Loop: Header=BB6_3279 Depth=2
	v_mov_b64_e32 v[0:1], v[4:5]
	v_bfe_u32 v6, v4, 23, 1
; %bb.3836:                             ;   in Loop: Header=BB6_3279 Depth=2
	s_or_b32 exec_lo, exec_lo, s10
	s_delay_alu instid0(VALU_DEP_2) | instskip(NEXT) | instid1(VALU_DEP_2)
	v_lshrrev_b64 v[0:1], 21, v[0:1]
	v_cmp_gt_i32_e32 vcc_lo, 32, v6
	v_cmp_ne_u32_e64 s10, 0, v6
                                        ; implicit-def: $vgpr25
	s_delay_alu instid0(VALU_DEP_3) | instskip(NEXT) | instid1(VALU_DEP_1)
	v_dual_cndmask_b32 v1, 0, v1 :: v_dual_cndmask_b32 v0, 3, v0
	v_cmp_ne_u64_e32 vcc_lo, 0, v[0:1]
	s_or_b32 s10, s10, vcc_lo
	s_delay_alu instid0(SALU_CYCLE_1) | instskip(NEXT) | instid1(SALU_CYCLE_1)
	s_and_saveexec_b32 s29, s10
	s_xor_b32 s10, exec_lo, s29
; %bb.3837:                             ;   in Loop: Header=BB6_3279 Depth=2
	v_min_i32_e32 v1, 31, v6
	s_delay_alu instid0(VALU_DEP_1) | instskip(NEXT) | instid1(VALU_DEP_1)
	v_lshl_or_b32 v1, v1, 2, v3
                                        ; implicit-def: $vgpr3
	v_and_or_b32 v25, v0, 3, v1
; %bb.3838:                             ;   in Loop: Header=BB6_3279 Depth=2
	s_and_not1_saveexec_b32 s10, s10
; %bb.3839:                             ;   in Loop: Header=BB6_3279 Depth=2
	v_mov_b32_e32 v25, v3
; %bb.3840:                             ;   in Loop: Header=BB6_3279 Depth=2
	s_or_b32 exec_lo, exec_lo, s10
.LBB6_3841:                             ;   in Loop: Header=BB6_3279 Depth=2
	s_delay_alu instid0(SALU_CYCLE_1)
	s_or_b32 exec_lo, exec_lo, s28
                                        ; implicit-def: $vgpr3
.LBB6_3842:                             ;   in Loop: Header=BB6_3279 Depth=2
	s_and_not1_saveexec_b32 s10, s27
; %bb.3843:                             ;   in Loop: Header=BB6_3279 Depth=2
	v_or_b32_e32 v25, 0x7b, v3
; %bb.3844:                             ;   in Loop: Header=BB6_3279 Depth=2
	s_or_b32 exec_lo, exec_lo, s10
                                        ; implicit-def: $vgpr0
.LBB6_3845:                             ;   in Loop: Header=BB6_3279 Depth=2
	s_and_not1_saveexec_b32 s10, s26
	s_cbranch_execz .LBB6_3851
; %bb.3846:                             ;   in Loop: Header=BB6_3279 Depth=2
	s_mov_b32 s26, exec_lo
                                        ; implicit-def: $vgpr25
	v_cmpx_ne_u64_e32 0, v[4:5]
	s_xor_b32 s26, exec_lo, s26
; %bb.3847:                             ;   in Loop: Header=BB6_3279 Depth=2
	v_lshrrev_b32_e32 v0, 24, v0
	s_delay_alu instid0(VALU_DEP_1)
	v_or_b32_e32 v25, 0x7f, v0
                                        ; implicit-def: $vgpr0
; %bb.3848:                             ;   in Loop: Header=BB6_3279 Depth=2
	s_and_not1_saveexec_b32 s26, s26
; %bb.3849:                             ;   in Loop: Header=BB6_3279 Depth=2
	v_cmp_lt_i32_e32 vcc_lo, -1, v0
	v_cndmask_b32_e64 v25, -4, 0x7c, vcc_lo
; %bb.3850:                             ;   in Loop: Header=BB6_3279 Depth=2
	s_or_b32 exec_lo, exec_lo, s26
.LBB6_3851:                             ;   in Loop: Header=BB6_3279 Depth=2
	s_delay_alu instid0(SALU_CYCLE_1)
	s_or_b32 exec_lo, exec_lo, s10
	v_dual_mov_b32 v0, 0 :: v_dual_mov_b32 v1, 0
	s_mov_b32 s10, exec_lo
	v_cmpx_ne_u16_e32 0, v54
	s_cbranch_execz .LBB6_3861
; %bb.3852:                             ;   in Loop: Header=BB6_3279 Depth=2
	v_bfrev_b32_e32 v1, 1
	s_mov_b32 s26, exec_lo
	v_cmpx_ne_u16_e32 0xff80, v54
	s_cbranch_execz .LBB6_3860
; %bb.3853:                             ;   in Loop: Header=BB6_3279 Depth=2
	v_and_b32_e32 v1, 0x7c, v54
	v_and_b32_e32 v3, 3, v54
	s_delay_alu instid0(VALU_DEP_2) | instskip(SKIP_1) | instid1(SALU_CYCLE_1)
	v_cmp_ne_u32_e32 vcc_lo, 0x7c, v1
                                        ; implicit-def: $vgpr1
	s_and_saveexec_b32 s27, vcc_lo
	s_xor_b32 s27, exec_lo, s27
	s_cbranch_execz .LBB6_3857
; %bb.3854:                             ;   in Loop: Header=BB6_3279 Depth=2
	v_and_b32_e32 v1, 0xff, v54
	s_mov_b32 s28, exec_lo
	s_delay_alu instid0(VALU_DEP_1) | instskip(NEXT) | instid1(VALU_DEP_1)
	v_bfe_u32 v1, v1, 2, 5
	v_cmpx_eq_u32_e32 0, v1
	s_cbranch_execz .LBB6_3856
; %bb.3855:                             ;   in Loop: Header=BB6_3279 Depth=2
	v_clz_i32_u32_e32 v1, v3
	s_delay_alu instid0(VALU_DEP_1) | instskip(SKIP_1) | instid1(VALU_DEP_2)
	v_min_u32_e32 v1, 32, v1
	v_mov_b32_e32 v55, v5
	v_subrev_nc_u32_e32 v3, 29, v1
	v_sub_nc_u32_e32 v1, 30, v1
	s_delay_alu instid0(VALU_DEP_2) | instskip(NEXT) | instid1(VALU_DEP_1)
	v_lshlrev_b64_e32 v[6:7], v3, v[54:55]
	v_and_b32_e32 v3, 3, v6
.LBB6_3856:                             ;   in Loop: Header=BB6_3279 Depth=2
	s_or_b32 exec_lo, exec_lo, s28
	v_bfe_i32 v4, v54, 0, 16
                                        ; implicit-def: $vgpr54
	s_delay_alu instid0(VALU_DEP_1) | instskip(NEXT) | instid1(VALU_DEP_1)
	v_and_b32_e32 v4, 0x80000000, v4
	v_lshl_add_u32 v1, v1, 23, v4
	s_delay_alu instid0(VALU_DEP_1) | instskip(NEXT) | instid1(VALU_DEP_1)
	v_lshl_or_b32 v1, v3, 21, v1
                                        ; implicit-def: $vgpr3
	v_add_nc_u32_e32 v1, 0x38000000, v1
.LBB6_3857:                             ;   in Loop: Header=BB6_3279 Depth=2
	s_and_not1_saveexec_b32 s27, s27
; %bb.3858:                             ;   in Loop: Header=BB6_3279 Depth=2
	v_cmp_lt_i16_e32 vcc_lo, -1, v54
	v_cndmask_b32_e32 v1, 0xff800000, v109, vcc_lo
	v_cmp_eq_u32_e32 vcc_lo, 0, v3
	s_delay_alu instid0(VALU_DEP_2)
	v_cndmask_b32_e32 v1, 0x7f800001, v1, vcc_lo
; %bb.3859:                             ;   in Loop: Header=BB6_3279 Depth=2
	s_or_b32 exec_lo, exec_lo, s27
.LBB6_3860:                             ;   in Loop: Header=BB6_3279 Depth=2
	s_delay_alu instid0(SALU_CYCLE_1)
	s_or_b32 exec_lo, exec_lo, s26
.LBB6_3861:                             ;   in Loop: Header=BB6_3279 Depth=2
	s_delay_alu instid0(SALU_CYCLE_1) | instskip(NEXT) | instid1(SALU_CYCLE_1)
	s_or_b32 exec_lo, exec_lo, s10
	s_mov_b32 s10, exec_lo
	v_cmpx_ne_u16_e32 0, v112
	s_cbranch_execz .LBB6_3871
; %bb.3862:                             ;   in Loop: Header=BB6_3279 Depth=2
	v_bfrev_b32_e32 v0, 1
	s_mov_b32 s26, exec_lo
	v_cmpx_ne_u16_e32 0xff80, v112
	s_cbranch_execz .LBB6_3870
; %bb.3863:                             ;   in Loop: Header=BB6_3279 Depth=2
	v_and_b32_e32 v0, 0x7c, v112
	v_and_b32_e32 v3, 3, v112
	s_delay_alu instid0(VALU_DEP_2) | instskip(SKIP_1) | instid1(SALU_CYCLE_1)
	v_cmp_ne_u32_e32 vcc_lo, 0x7c, v0
                                        ; implicit-def: $vgpr0
	s_and_saveexec_b32 s27, vcc_lo
	s_xor_b32 s27, exec_lo, s27
	s_cbranch_execz .LBB6_3867
; %bb.3864:                             ;   in Loop: Header=BB6_3279 Depth=2
	v_and_b32_e32 v0, 0xff, v112
	s_mov_b32 s28, exec_lo
	s_delay_alu instid0(VALU_DEP_1) | instskip(NEXT) | instid1(VALU_DEP_1)
	v_bfe_u32 v0, v0, 2, 5
	v_cmpx_eq_u32_e32 0, v0
	s_cbranch_execz .LBB6_3866
; %bb.3865:                             ;   in Loop: Header=BB6_3279 Depth=2
	v_clz_i32_u32_e32 v0, v3
	s_delay_alu instid0(VALU_DEP_1) | instskip(SKIP_1) | instid1(VALU_DEP_2)
	v_min_u32_e32 v0, 32, v0
	v_mov_b32_e32 v113, v5
	v_subrev_nc_u32_e32 v3, 29, v0
	v_sub_nc_u32_e32 v0, 30, v0
	s_delay_alu instid0(VALU_DEP_2) | instskip(NEXT) | instid1(VALU_DEP_1)
	v_lshlrev_b64_e32 v[6:7], v3, v[112:113]
	v_and_b32_e32 v3, 3, v6
.LBB6_3866:                             ;   in Loop: Header=BB6_3279 Depth=2
	s_or_b32 exec_lo, exec_lo, s28
	v_bfe_i32 v4, v112, 0, 16
                                        ; implicit-def: $vgpr112
	s_delay_alu instid0(VALU_DEP_1) | instskip(NEXT) | instid1(VALU_DEP_1)
	v_and_b32_e32 v4, 0x80000000, v4
	v_lshl_add_u32 v0, v0, 23, v4
	s_delay_alu instid0(VALU_DEP_1) | instskip(NEXT) | instid1(VALU_DEP_1)
	v_lshl_or_b32 v0, v3, 21, v0
                                        ; implicit-def: $vgpr3
	v_add_nc_u32_e32 v0, 0x38000000, v0
.LBB6_3867:                             ;   in Loop: Header=BB6_3279 Depth=2
	s_and_not1_saveexec_b32 s27, s27
; %bb.3868:                             ;   in Loop: Header=BB6_3279 Depth=2
	v_cmp_lt_i16_e32 vcc_lo, -1, v112
	v_cndmask_b32_e32 v0, 0xff800000, v109, vcc_lo
	v_cmp_eq_u32_e32 vcc_lo, 0, v3
	s_delay_alu instid0(VALU_DEP_2)
	v_cndmask_b32_e32 v0, 0x7f800001, v0, vcc_lo
; %bb.3869:                             ;   in Loop: Header=BB6_3279 Depth=2
	s_or_b32 exec_lo, exec_lo, s27
.LBB6_3870:                             ;   in Loop: Header=BB6_3279 Depth=2
	s_delay_alu instid0(SALU_CYCLE_1)
	s_or_b32 exec_lo, exec_lo, s26
.LBB6_3871:                             ;   in Loop: Header=BB6_3279 Depth=2
	s_delay_alu instid0(SALU_CYCLE_1) | instskip(NEXT) | instid1(VALU_DEP_1)
	s_or_b32 exec_lo, exec_lo, s10
	v_mul_f32_e32 v0, v1, v0
	v_mov_b32_e32 v7, v5
	s_delay_alu instid0(VALU_DEP_2) | instskip(SKIP_1) | instid1(VALU_DEP_2)
	v_and_b32_e32 v6, 0x7f800000, v0
	v_and_b32_e32 v4, 0x7fffff, v0
	v_cmp_ne_u64_e32 vcc_lo, 0x7f800000, v[6:7]
                                        ; implicit-def: $vgpr6
	s_and_saveexec_b32 s10, vcc_lo
	s_delay_alu instid0(SALU_CYCLE_1)
	s_xor_b32 s26, exec_lo, s10
	s_cbranch_execz .LBB6_3889
; %bb.3872:                             ;   in Loop: Header=BB6_3279 Depth=2
	v_and_b32_e32 v6, 0x7fffffff, v0
	v_dual_mov_b32 v7, v5 :: v_dual_lshrrev_b32 v1, 24, v0
	s_delay_alu instid0(VALU_DEP_1) | instskip(NEXT) | instid1(VALU_DEP_2)
	v_cmp_gt_u64_e32 vcc_lo, 0x47600001, v[6:7]
	v_and_b32_e32 v3, 0x80, v1
                                        ; implicit-def: $vgpr6
	s_and_saveexec_b32 s10, vcc_lo
	s_delay_alu instid0(SALU_CYCLE_1)
	s_xor_b32 s27, exec_lo, s10
	s_cbranch_execz .LBB6_3886
; %bb.3873:                             ;   in Loop: Header=BB6_3279 Depth=2
	v_mov_b32_e32 v6, 0
	s_mov_b32 s28, exec_lo
	v_cmpx_ne_u32_e32 0, v0
	s_cbranch_execz .LBB6_3885
; %bb.3874:                             ;   in Loop: Header=BB6_3279 Depth=2
	v_bfe_u32 v27, v0, 23, 8
	v_or_b32_e32 v6, 0x800000, v4
	s_mov_b32 s29, exec_lo
	s_delay_alu instid0(VALU_DEP_2) | instskip(SKIP_1) | instid1(VALU_DEP_2)
	v_dual_mov_b32 v7, v5 :: v_dual_sub_nc_u32 v0, 0x71, v27
	v_cmp_gt_u32_e32 vcc_lo, 0x72, v27
	v_cndmask_b32_e32 v0, 0, v0, vcc_lo
	v_cmp_eq_u32_e32 vcc_lo, 0, v27
	s_delay_alu instid0(VALU_DEP_2) | instskip(NEXT) | instid1(VALU_DEP_1)
	v_cndmask_b32_e64 v29, v0, 0x70, vcc_lo
	v_dual_cndmask_b32 v6, v6, v4, vcc_lo :: v_dual_add_nc_u32 v0, 21, v29
	v_add_nc_u32_e32 v26, 20, v29
	s_delay_alu instid0(VALU_DEP_2) | instskip(NEXT) | instid1(VALU_DEP_2)
	v_lshlrev_b64_e64 v[0:1], v0, -1
	v_lshlrev_b64_e64 v[30:31], v26, 1
	s_delay_alu instid0(VALU_DEP_2) | instskip(NEXT) | instid1(VALU_DEP_3)
	v_bfi_b32 v53, v1, 0, 0
	v_bfi_b32 v52, v0, 0, v6
	v_lshrrev_b64 v[0:1], v29, v[6:7]
	s_delay_alu instid0(VALU_DEP_1) | instskip(NEXT) | instid1(VALU_DEP_3)
	v_mov_b64_e32 v[6:7], v[0:1]
	v_cmpx_eq_u64_e64 v[52:53], v[30:31]
; %bb.3875:                             ;   in Loop: Header=BB6_3279 Depth=2
	v_bfe_u32 v6, v0, 21, 1
	v_mov_b32_e32 v7, v5
	s_delay_alu instid0(VALU_DEP_1) | instskip(NEXT) | instid1(VALU_DEP_1)
	v_add_nc_u64_e32 v[6:7], v[0:1], v[6:7]
	v_add_nc_u64_e32 v[6:7], -1, v[6:7]
; %bb.3876:                             ;   in Loop: Header=BB6_3279 Depth=2
	s_or_b32 exec_lo, exec_lo, s29
	v_add_nc_u32_e32 v1, 0xffffff81, v27
	v_lshrrev_b32_e32 v4, 23, v0
	s_delay_alu instid0(VALU_DEP_3) | instskip(SKIP_1) | instid1(VALU_DEP_3)
	v_and_b32_e32 v7, 0x1fffff, v6
	s_mov_b32 s10, exec_lo
	v_cndmask_b32_e64 v1, v1, 0xffffff82, vcc_lo
	s_delay_alu instid0(VALU_DEP_1) | instskip(NEXT) | instid1(VALU_DEP_3)
	v_add3_u32 v6, v29, v1, v4
	v_add_nc_u32_e32 v4, v7, v0
                                        ; implicit-def: $vgpr0_vgpr1
                                        ; implicit-def: $vgpr7
	s_delay_alu instid0(VALU_DEP_2) | instskip(NEXT) | instid1(VALU_DEP_1)
	v_add_nc_u32_e32 v27, 14, v6
	v_cmpx_ne_u32_e32 0, v27
	s_xor_b32 s10, exec_lo, s10
; %bb.3877:                             ;   in Loop: Header=BB6_3279 Depth=2
	s_delay_alu instid0(VALU_DEP_3) | instskip(SKIP_1) | instid1(VALU_DEP_1)
	v_cmp_lt_u64_e32 vcc_lo, 0xffffff, v[4:5]
	v_add_nc_u32_e32 v0, 15, v6
	v_cndmask_b32_e32 v7, v27, v0, vcc_lo
	v_cndmask_b32_e64 v0, 0, 1, vcc_lo
	s_delay_alu instid0(VALU_DEP_1)
	v_lshrrev_b64 v[0:1], v0, v[4:5]
; %bb.3878:                             ;   in Loop: Header=BB6_3279 Depth=2
	s_and_not1_saveexec_b32 s10, s10
; %bb.3879:                             ;   in Loop: Header=BB6_3279 Depth=2
	v_mov_b64_e32 v[0:1], v[4:5]
	v_bfe_u32 v7, v4, 23, 1
; %bb.3880:                             ;   in Loop: Header=BB6_3279 Depth=2
	s_or_b32 exec_lo, exec_lo, s10
	s_delay_alu instid0(VALU_DEP_2) | instskip(NEXT) | instid1(VALU_DEP_2)
	v_lshrrev_b64 v[0:1], 21, v[0:1]
	v_cmp_gt_i32_e32 vcc_lo, 32, v7
	v_cmp_ne_u32_e64 s10, 0, v7
                                        ; implicit-def: $vgpr6
	s_delay_alu instid0(VALU_DEP_3) | instskip(NEXT) | instid1(VALU_DEP_1)
	v_dual_cndmask_b32 v1, 0, v1 :: v_dual_cndmask_b32 v0, 3, v0
	v_cmp_ne_u64_e32 vcc_lo, 0, v[0:1]
	s_or_b32 s10, s10, vcc_lo
	s_delay_alu instid0(SALU_CYCLE_1) | instskip(NEXT) | instid1(SALU_CYCLE_1)
	s_and_saveexec_b32 s29, s10
	s_xor_b32 s10, exec_lo, s29
; %bb.3881:                             ;   in Loop: Header=BB6_3279 Depth=2
	v_min_i32_e32 v1, 31, v7
	s_delay_alu instid0(VALU_DEP_1) | instskip(NEXT) | instid1(VALU_DEP_1)
	v_lshl_or_b32 v1, v1, 2, v3
                                        ; implicit-def: $vgpr3
	v_and_or_b32 v6, v0, 3, v1
; %bb.3882:                             ;   in Loop: Header=BB6_3279 Depth=2
	s_and_not1_saveexec_b32 s10, s10
; %bb.3883:                             ;   in Loop: Header=BB6_3279 Depth=2
	v_mov_b32_e32 v6, v3
; %bb.3884:                             ;   in Loop: Header=BB6_3279 Depth=2
	s_or_b32 exec_lo, exec_lo, s10
.LBB6_3885:                             ;   in Loop: Header=BB6_3279 Depth=2
	s_delay_alu instid0(SALU_CYCLE_1)
	s_or_b32 exec_lo, exec_lo, s28
                                        ; implicit-def: $vgpr3
.LBB6_3886:                             ;   in Loop: Header=BB6_3279 Depth=2
	s_and_not1_saveexec_b32 s10, s27
; %bb.3887:                             ;   in Loop: Header=BB6_3279 Depth=2
	v_or_b32_e32 v6, 0x7b, v3
; %bb.3888:                             ;   in Loop: Header=BB6_3279 Depth=2
	s_or_b32 exec_lo, exec_lo, s10
                                        ; implicit-def: $vgpr0
.LBB6_3889:                             ;   in Loop: Header=BB6_3279 Depth=2
	s_and_not1_saveexec_b32 s10, s26
	s_cbranch_execz .LBB6_3895
; %bb.3890:                             ;   in Loop: Header=BB6_3279 Depth=2
	s_mov_b32 s26, exec_lo
                                        ; implicit-def: $vgpr6
	v_cmpx_ne_u64_e32 0, v[4:5]
	s_xor_b32 s26, exec_lo, s26
; %bb.3891:                             ;   in Loop: Header=BB6_3279 Depth=2
	v_lshrrev_b32_e32 v0, 24, v0
	s_delay_alu instid0(VALU_DEP_1)
	v_or_b32_e32 v6, 0x7f, v0
                                        ; implicit-def: $vgpr0
; %bb.3892:                             ;   in Loop: Header=BB6_3279 Depth=2
	s_and_not1_saveexec_b32 s26, s26
; %bb.3893:                             ;   in Loop: Header=BB6_3279 Depth=2
	v_cmp_lt_i32_e32 vcc_lo, -1, v0
	v_cndmask_b32_e64 v6, -4, 0x7c, vcc_lo
; %bb.3894:                             ;   in Loop: Header=BB6_3279 Depth=2
	s_or_b32 exec_lo, exec_lo, s26
.LBB6_3895:                             ;   in Loop: Header=BB6_3279 Depth=2
	s_delay_alu instid0(SALU_CYCLE_1)
	s_or_b32 exec_lo, exec_lo, s10
	v_dual_mov_b32 v0, 0 :: v_dual_mov_b32 v1, 0
	s_mov_b32 s10, exec_lo
	v_cmpx_ne_u16_e32 0, v2
	s_cbranch_execz .LBB6_3905
; %bb.3896:                             ;   in Loop: Header=BB6_3279 Depth=2
	v_bfrev_b32_e32 v1, 1
	s_mov_b32 s26, exec_lo
	v_cmpx_ne_u16_e32 0xff80, v2
	s_cbranch_execz .LBB6_3904
; %bb.3897:                             ;   in Loop: Header=BB6_3279 Depth=2
	v_and_b32_e32 v1, 0x7c, v2
	v_and_b32_e32 v3, 3, v2
	s_delay_alu instid0(VALU_DEP_2) | instskip(SKIP_1) | instid1(SALU_CYCLE_1)
	v_cmp_ne_u32_e32 vcc_lo, 0x7c, v1
                                        ; implicit-def: $vgpr1
	s_and_saveexec_b32 s27, vcc_lo
	s_xor_b32 s27, exec_lo, s27
	s_cbranch_execz .LBB6_3901
; %bb.3898:                             ;   in Loop: Header=BB6_3279 Depth=2
	v_and_b32_e32 v1, 0xff, v2
	s_mov_b32 s28, exec_lo
	s_delay_alu instid0(VALU_DEP_1) | instskip(NEXT) | instid1(VALU_DEP_1)
	v_bfe_u32 v1, v1, 2, 5
	v_cmpx_eq_u32_e32 0, v1
	s_cbranch_execz .LBB6_3900
; %bb.3899:                             ;   in Loop: Header=BB6_3279 Depth=2
	v_clz_i32_u32_e32 v1, v3
	s_delay_alu instid0(VALU_DEP_1) | instskip(SKIP_1) | instid1(VALU_DEP_2)
	v_min_u32_e32 v1, 32, v1
	v_mov_b32_e32 v3, v5
	v_subrev_nc_u32_e32 v4, 29, v1
	v_sub_nc_u32_e32 v1, 30, v1
	s_delay_alu instid0(VALU_DEP_2) | instskip(NEXT) | instid1(VALU_DEP_1)
	v_lshlrev_b64_e32 v[26:27], v4, v[2:3]
	v_and_b32_e32 v3, 3, v26
.LBB6_3900:                             ;   in Loop: Header=BB6_3279 Depth=2
	s_or_b32 exec_lo, exec_lo, s28
	v_bfe_i32 v2, v2, 0, 16
	s_delay_alu instid0(VALU_DEP_1) | instskip(NEXT) | instid1(VALU_DEP_1)
	v_and_b32_e32 v2, 0x80000000, v2
	v_lshl_add_u32 v1, v1, 23, v2
                                        ; implicit-def: $vgpr2
	s_delay_alu instid0(VALU_DEP_1) | instskip(NEXT) | instid1(VALU_DEP_1)
	v_lshl_or_b32 v1, v3, 21, v1
                                        ; implicit-def: $vgpr3
	v_add_nc_u32_e32 v1, 0x38000000, v1
.LBB6_3901:                             ;   in Loop: Header=BB6_3279 Depth=2
	s_and_not1_saveexec_b32 s27, s27
; %bb.3902:                             ;   in Loop: Header=BB6_3279 Depth=2
	v_cmp_lt_i16_e32 vcc_lo, -1, v2
	v_cndmask_b32_e32 v1, 0xff800000, v109, vcc_lo
	v_cmp_eq_u32_e32 vcc_lo, 0, v3
	s_delay_alu instid0(VALU_DEP_2)
	v_cndmask_b32_e32 v1, 0x7f800001, v1, vcc_lo
; %bb.3903:                             ;   in Loop: Header=BB6_3279 Depth=2
	s_or_b32 exec_lo, exec_lo, s27
.LBB6_3904:                             ;   in Loop: Header=BB6_3279 Depth=2
	s_delay_alu instid0(SALU_CYCLE_1)
	s_or_b32 exec_lo, exec_lo, s26
.LBB6_3905:                             ;   in Loop: Header=BB6_3279 Depth=2
	s_delay_alu instid0(SALU_CYCLE_1) | instskip(NEXT) | instid1(SALU_CYCLE_1)
	s_or_b32 exec_lo, exec_lo, s10
	s_mov_b32 s10, exec_lo
	v_cmpx_ne_u16_e32 0, v124
	s_cbranch_execz .LBB6_3915
; %bb.3906:                             ;   in Loop: Header=BB6_3279 Depth=2
	v_bfrev_b32_e32 v0, 1
	s_mov_b32 s26, exec_lo
	v_cmpx_ne_u16_e32 0xff80, v124
	s_cbranch_execz .LBB6_3914
; %bb.3907:                             ;   in Loop: Header=BB6_3279 Depth=2
	v_and_b32_e32 v0, 0x7c, v124
	v_and_b32_e32 v2, 3, v124
	s_delay_alu instid0(VALU_DEP_2) | instskip(SKIP_1) | instid1(SALU_CYCLE_1)
	v_cmp_ne_u32_e32 vcc_lo, 0x7c, v0
                                        ; implicit-def: $vgpr0
	s_and_saveexec_b32 s27, vcc_lo
	s_xor_b32 s27, exec_lo, s27
	s_cbranch_execz .LBB6_3911
; %bb.3908:                             ;   in Loop: Header=BB6_3279 Depth=2
	v_and_b32_e32 v0, 0xff, v124
	s_mov_b32 s28, exec_lo
	s_delay_alu instid0(VALU_DEP_1) | instskip(NEXT) | instid1(VALU_DEP_1)
	v_bfe_u32 v0, v0, 2, 5
	v_cmpx_eq_u32_e32 0, v0
	s_cbranch_execz .LBB6_3910
; %bb.3909:                             ;   in Loop: Header=BB6_3279 Depth=2
	v_clz_i32_u32_e32 v0, v2
	s_delay_alu instid0(VALU_DEP_1) | instskip(SKIP_1) | instid1(VALU_DEP_2)
	v_min_u32_e32 v0, 32, v0
	v_mov_b32_e32 v125, v5
	v_subrev_nc_u32_e32 v2, 29, v0
	v_sub_nc_u32_e32 v0, 30, v0
	s_delay_alu instid0(VALU_DEP_2) | instskip(NEXT) | instid1(VALU_DEP_1)
	v_lshlrev_b64_e32 v[2:3], v2, v[124:125]
	v_and_b32_e32 v2, 3, v2
.LBB6_3910:                             ;   in Loop: Header=BB6_3279 Depth=2
	s_or_b32 exec_lo, exec_lo, s28
	v_bfe_i32 v3, v124, 0, 16
                                        ; implicit-def: $vgpr124
	s_delay_alu instid0(VALU_DEP_1) | instskip(NEXT) | instid1(VALU_DEP_1)
	v_and_b32_e32 v3, 0x80000000, v3
	v_lshl_add_u32 v0, v0, 23, v3
	s_delay_alu instid0(VALU_DEP_1) | instskip(NEXT) | instid1(VALU_DEP_1)
	v_lshl_or_b32 v0, v2, 21, v0
                                        ; implicit-def: $vgpr2
	v_add_nc_u32_e32 v0, 0x38000000, v0
.LBB6_3911:                             ;   in Loop: Header=BB6_3279 Depth=2
	s_and_not1_saveexec_b32 s27, s27
; %bb.3912:                             ;   in Loop: Header=BB6_3279 Depth=2
	v_cmp_lt_i16_e32 vcc_lo, -1, v124
	v_cndmask_b32_e32 v0, 0xff800000, v109, vcc_lo
	v_cmp_eq_u32_e32 vcc_lo, 0, v2
	s_delay_alu instid0(VALU_DEP_2)
	v_cndmask_b32_e32 v0, 0x7f800001, v0, vcc_lo
; %bb.3913:                             ;   in Loop: Header=BB6_3279 Depth=2
	s_or_b32 exec_lo, exec_lo, s27
.LBB6_3914:                             ;   in Loop: Header=BB6_3279 Depth=2
	s_delay_alu instid0(SALU_CYCLE_1)
	s_or_b32 exec_lo, exec_lo, s26
.LBB6_3915:                             ;   in Loop: Header=BB6_3279 Depth=2
	s_delay_alu instid0(SALU_CYCLE_1) | instskip(NEXT) | instid1(VALU_DEP_1)
	s_or_b32 exec_lo, exec_lo, s10
	v_mul_f32_e32 v0, v1, v0
	v_mov_b32_e32 v3, v5
                                        ; implicit-def: $vgpr7
	s_mov_b32 s10, exec_lo
	s_delay_alu instid0(VALU_DEP_2) | instskip(SKIP_1) | instid1(VALU_DEP_2)
	v_and_b32_e32 v2, 0x7f800000, v0
	v_and_b32_e32 v4, 0x7fffff, v0
	v_cmpx_ne_u64_e32 0x7f800000, v[2:3]
	s_xor_b32 s26, exec_lo, s10
	s_cbranch_execz .LBB6_3933
; %bb.3916:                             ;   in Loop: Header=BB6_3279 Depth=2
	v_dual_mov_b32 v3, v5 :: v_dual_lshrrev_b32 v1, 24, v0
	v_and_b32_e32 v2, 0x7fffffff, v0
                                        ; implicit-def: $vgpr7
	s_mov_b32 s10, exec_lo
	s_delay_alu instid0(VALU_DEP_2) | instskip(NEXT) | instid1(VALU_DEP_2)
	v_and_b32_e32 v27, 0x80, v1
	v_cmpx_gt_u64_e32 0x47600001, v[2:3]
	s_xor_b32 s27, exec_lo, s10
	s_cbranch_execz .LBB6_3930
; %bb.3917:                             ;   in Loop: Header=BB6_3279 Depth=2
	v_mov_b32_e32 v7, 0
	s_mov_b32 s28, exec_lo
	v_cmpx_ne_u32_e32 0, v0
	s_cbranch_execz .LBB6_3929
; %bb.3918:                             ;   in Loop: Header=BB6_3279 Depth=2
	v_bfe_u32 v7, v0, 23, 8
	v_or_b32_e32 v2, 0x800000, v4
	s_mov_b32 s29, exec_lo
	s_delay_alu instid0(VALU_DEP_2) | instskip(SKIP_1) | instid1(VALU_DEP_2)
	v_dual_mov_b32 v3, v5 :: v_dual_sub_nc_u32 v0, 0x71, v7
	v_cmp_gt_u32_e32 vcc_lo, 0x72, v7
	v_cndmask_b32_e32 v0, 0, v0, vcc_lo
	v_cmp_eq_u32_e32 vcc_lo, 0, v7
	s_delay_alu instid0(VALU_DEP_2) | instskip(NEXT) | instid1(VALU_DEP_1)
	v_cndmask_b32_e64 v29, v0, 0x70, vcc_lo
	v_dual_cndmask_b32 v2, v2, v4, vcc_lo :: v_dual_add_nc_u32 v0, 21, v29
	v_add_nc_u32_e32 v26, 20, v29
	s_delay_alu instid0(VALU_DEP_2) | instskip(NEXT) | instid1(VALU_DEP_2)
	v_lshlrev_b64_e64 v[0:1], v0, -1
	v_lshlrev_b64_e64 v[30:31], v26, 1
	s_delay_alu instid0(VALU_DEP_2) | instskip(NEXT) | instid1(VALU_DEP_3)
	v_bfi_b32 v53, v1, 0, 0
	v_bfi_b32 v52, v0, 0, v2
	v_lshrrev_b64 v[0:1], v29, v[2:3]
	s_delay_alu instid0(VALU_DEP_1) | instskip(NEXT) | instid1(VALU_DEP_3)
	v_mov_b64_e32 v[2:3], v[0:1]
	v_cmpx_eq_u64_e64 v[52:53], v[30:31]
; %bb.3919:                             ;   in Loop: Header=BB6_3279 Depth=2
	v_bfe_u32 v2, v0, 21, 1
	v_mov_b32_e32 v3, v5
	s_delay_alu instid0(VALU_DEP_1) | instskip(NEXT) | instid1(VALU_DEP_1)
	v_add_nc_u64_e32 v[2:3], v[0:1], v[2:3]
	v_add_nc_u64_e32 v[2:3], -1, v[2:3]
; %bb.3920:                             ;   in Loop: Header=BB6_3279 Depth=2
	s_or_b32 exec_lo, exec_lo, s29
	v_add_nc_u32_e32 v1, 0xffffff81, v7
	s_delay_alu instid0(VALU_DEP_2) | instskip(SKIP_2) | instid1(VALU_DEP_3)
	v_and_b32_e32 v2, 0x1fffff, v2
	v_lshrrev_b32_e32 v3, 23, v0
	s_mov_b32 s10, exec_lo
	v_cndmask_b32_e64 v1, v1, 0xffffff82, vcc_lo
	s_delay_alu instid0(VALU_DEP_3) | instskip(NEXT) | instid1(VALU_DEP_2)
	v_add_nc_u32_e32 v4, v2, v0
                                        ; implicit-def: $vgpr2
	v_add3_u32 v3, v29, v1, v3
                                        ; implicit-def: $vgpr0_vgpr1
	s_delay_alu instid0(VALU_DEP_1) | instskip(NEXT) | instid1(VALU_DEP_1)
	v_add_nc_u32_e32 v7, 14, v3
	v_cmpx_ne_u32_e32 0, v7
	s_xor_b32 s10, exec_lo, s10
; %bb.3921:                             ;   in Loop: Header=BB6_3279 Depth=2
	v_cmp_lt_u64_e32 vcc_lo, 0xffffff, v[4:5]
	v_add_nc_u32_e32 v0, 15, v3
	s_delay_alu instid0(VALU_DEP_1) | instskip(SKIP_1) | instid1(VALU_DEP_1)
	v_cndmask_b32_e32 v2, v7, v0, vcc_lo
	v_cndmask_b32_e64 v0, 0, 1, vcc_lo
	v_lshrrev_b64 v[0:1], v0, v[4:5]
; %bb.3922:                             ;   in Loop: Header=BB6_3279 Depth=2
	s_and_not1_saveexec_b32 s10, s10
; %bb.3923:                             ;   in Loop: Header=BB6_3279 Depth=2
	v_mov_b64_e32 v[0:1], v[4:5]
	v_bfe_u32 v2, v4, 23, 1
; %bb.3924:                             ;   in Loop: Header=BB6_3279 Depth=2
	s_or_b32 exec_lo, exec_lo, s10
	s_delay_alu instid0(VALU_DEP_2) | instskip(NEXT) | instid1(VALU_DEP_2)
	v_lshrrev_b64 v[0:1], 21, v[0:1]
	v_cmp_gt_i32_e32 vcc_lo, 32, v2
	v_cmp_ne_u32_e64 s10, 0, v2
                                        ; implicit-def: $vgpr7
	s_delay_alu instid0(VALU_DEP_3) | instskip(NEXT) | instid1(VALU_DEP_1)
	v_dual_cndmask_b32 v1, 0, v1 :: v_dual_cndmask_b32 v0, 3, v0
	v_cmp_ne_u64_e32 vcc_lo, 0, v[0:1]
	s_or_b32 s10, s10, vcc_lo
	s_delay_alu instid0(SALU_CYCLE_1) | instskip(NEXT) | instid1(SALU_CYCLE_1)
	s_and_saveexec_b32 s29, s10
	s_xor_b32 s10, exec_lo, s29
; %bb.3925:                             ;   in Loop: Header=BB6_3279 Depth=2
	v_min_i32_e32 v1, 31, v2
	s_delay_alu instid0(VALU_DEP_1) | instskip(NEXT) | instid1(VALU_DEP_1)
	v_lshl_or_b32 v1, v1, 2, v27
                                        ; implicit-def: $vgpr27
	v_and_or_b32 v7, v0, 3, v1
; %bb.3926:                             ;   in Loop: Header=BB6_3279 Depth=2
	s_and_not1_saveexec_b32 s10, s10
; %bb.3927:                             ;   in Loop: Header=BB6_3279 Depth=2
	v_mov_b32_e32 v7, v27
; %bb.3928:                             ;   in Loop: Header=BB6_3279 Depth=2
	s_or_b32 exec_lo, exec_lo, s10
.LBB6_3929:                             ;   in Loop: Header=BB6_3279 Depth=2
	s_delay_alu instid0(SALU_CYCLE_1)
	s_or_b32 exec_lo, exec_lo, s28
                                        ; implicit-def: $vgpr27
.LBB6_3930:                             ;   in Loop: Header=BB6_3279 Depth=2
	s_and_not1_saveexec_b32 s10, s27
; %bb.3931:                             ;   in Loop: Header=BB6_3279 Depth=2
	v_or_b32_e32 v7, 0x7b, v27
; %bb.3932:                             ;   in Loop: Header=BB6_3279 Depth=2
	s_or_b32 exec_lo, exec_lo, s10
                                        ; implicit-def: $vgpr0
.LBB6_3933:                             ;   in Loop: Header=BB6_3279 Depth=2
	s_and_not1_saveexec_b32 s10, s26
	s_cbranch_execz .LBB6_3939
; %bb.3934:                             ;   in Loop: Header=BB6_3279 Depth=2
	s_mov_b32 s26, exec_lo
                                        ; implicit-def: $vgpr7
	v_cmpx_ne_u64_e32 0, v[4:5]
	s_xor_b32 s26, exec_lo, s26
; %bb.3935:                             ;   in Loop: Header=BB6_3279 Depth=2
	v_lshrrev_b32_e32 v0, 24, v0
	s_delay_alu instid0(VALU_DEP_1)
	v_or_b32_e32 v7, 0x7f, v0
                                        ; implicit-def: $vgpr0
; %bb.3936:                             ;   in Loop: Header=BB6_3279 Depth=2
	s_and_not1_saveexec_b32 s26, s26
; %bb.3937:                             ;   in Loop: Header=BB6_3279 Depth=2
	v_cmp_lt_i32_e32 vcc_lo, -1, v0
	v_cndmask_b32_e64 v7, -4, 0x7c, vcc_lo
; %bb.3938:                             ;   in Loop: Header=BB6_3279 Depth=2
	s_or_b32 exec_lo, exec_lo, s26
.LBB6_3939:                             ;   in Loop: Header=BB6_3279 Depth=2
	s_delay_alu instid0(SALU_CYCLE_1)
	s_or_b32 exec_lo, exec_lo, s10
	v_dual_mov_b32 v0, 0 :: v_dual_mov_b32 v1, 0
	s_mov_b32 s10, exec_lo
	v_cmpx_ne_u16_e32 0, v122
	s_cbranch_execz .LBB6_3949
; %bb.3940:                             ;   in Loop: Header=BB6_3279 Depth=2
	v_bfrev_b32_e32 v1, 1
	s_mov_b32 s26, exec_lo
	v_cmpx_ne_u16_e32 0xff80, v122
	s_cbranch_execz .LBB6_3948
; %bb.3941:                             ;   in Loop: Header=BB6_3279 Depth=2
	v_and_b32_e32 v1, 0x7c, v122
	v_and_b32_e32 v2, 3, v122
	s_delay_alu instid0(VALU_DEP_2) | instskip(SKIP_1) | instid1(SALU_CYCLE_1)
	v_cmp_ne_u32_e32 vcc_lo, 0x7c, v1
                                        ; implicit-def: $vgpr1
	s_and_saveexec_b32 s27, vcc_lo
	s_xor_b32 s27, exec_lo, s27
	s_cbranch_execz .LBB6_3945
; %bb.3942:                             ;   in Loop: Header=BB6_3279 Depth=2
	v_and_b32_e32 v1, 0xff, v122
	s_mov_b32 s28, exec_lo
	s_delay_alu instid0(VALU_DEP_1) | instskip(NEXT) | instid1(VALU_DEP_1)
	v_bfe_u32 v1, v1, 2, 5
	v_cmpx_eq_u32_e32 0, v1
	s_cbranch_execz .LBB6_3944
; %bb.3943:                             ;   in Loop: Header=BB6_3279 Depth=2
	v_clz_i32_u32_e32 v1, v2
	s_delay_alu instid0(VALU_DEP_1) | instskip(SKIP_1) | instid1(VALU_DEP_2)
	v_min_u32_e32 v1, 32, v1
	v_mov_b32_e32 v123, v5
	v_subrev_nc_u32_e32 v2, 29, v1
	v_sub_nc_u32_e32 v1, 30, v1
	s_delay_alu instid0(VALU_DEP_2) | instskip(NEXT) | instid1(VALU_DEP_1)
	v_lshlrev_b64_e32 v[2:3], v2, v[122:123]
	v_and_b32_e32 v2, 3, v2
.LBB6_3944:                             ;   in Loop: Header=BB6_3279 Depth=2
	s_or_b32 exec_lo, exec_lo, s28
	v_bfe_i32 v3, v122, 0, 16
                                        ; implicit-def: $vgpr122
	s_delay_alu instid0(VALU_DEP_1) | instskip(NEXT) | instid1(VALU_DEP_1)
	v_and_b32_e32 v3, 0x80000000, v3
	v_lshl_add_u32 v1, v1, 23, v3
	s_delay_alu instid0(VALU_DEP_1) | instskip(NEXT) | instid1(VALU_DEP_1)
	v_lshl_or_b32 v1, v2, 21, v1
                                        ; implicit-def: $vgpr2
	v_add_nc_u32_e32 v1, 0x38000000, v1
.LBB6_3945:                             ;   in Loop: Header=BB6_3279 Depth=2
	s_and_not1_saveexec_b32 s27, s27
; %bb.3946:                             ;   in Loop: Header=BB6_3279 Depth=2
	v_cmp_lt_i16_e32 vcc_lo, -1, v122
	v_cndmask_b32_e32 v1, 0xff800000, v109, vcc_lo
	v_cmp_eq_u32_e32 vcc_lo, 0, v2
	s_delay_alu instid0(VALU_DEP_2)
	v_cndmask_b32_e32 v1, 0x7f800001, v1, vcc_lo
; %bb.3947:                             ;   in Loop: Header=BB6_3279 Depth=2
	s_or_b32 exec_lo, exec_lo, s27
.LBB6_3948:                             ;   in Loop: Header=BB6_3279 Depth=2
	s_delay_alu instid0(SALU_CYCLE_1)
	s_or_b32 exec_lo, exec_lo, s26
.LBB6_3949:                             ;   in Loop: Header=BB6_3279 Depth=2
	s_delay_alu instid0(SALU_CYCLE_1) | instskip(NEXT) | instid1(SALU_CYCLE_1)
	s_or_b32 exec_lo, exec_lo, s10
	s_mov_b32 s10, exec_lo
	v_cmpx_ne_u16_e32 0, v120
	s_cbranch_execz .LBB6_3959
; %bb.3950:                             ;   in Loop: Header=BB6_3279 Depth=2
	v_bfrev_b32_e32 v0, 1
	s_mov_b32 s26, exec_lo
	v_cmpx_ne_u16_e32 0xff80, v120
	s_cbranch_execz .LBB6_3958
; %bb.3951:                             ;   in Loop: Header=BB6_3279 Depth=2
	v_and_b32_e32 v0, 0x7c, v120
	v_and_b32_e32 v2, 3, v120
	s_delay_alu instid0(VALU_DEP_2) | instskip(SKIP_1) | instid1(SALU_CYCLE_1)
	v_cmp_ne_u32_e32 vcc_lo, 0x7c, v0
                                        ; implicit-def: $vgpr0
	s_and_saveexec_b32 s27, vcc_lo
	s_xor_b32 s27, exec_lo, s27
	s_cbranch_execz .LBB6_3955
; %bb.3952:                             ;   in Loop: Header=BB6_3279 Depth=2
	v_and_b32_e32 v0, 0xff, v120
	s_mov_b32 s28, exec_lo
	s_delay_alu instid0(VALU_DEP_1) | instskip(NEXT) | instid1(VALU_DEP_1)
	v_bfe_u32 v0, v0, 2, 5
	v_cmpx_eq_u32_e32 0, v0
	s_cbranch_execz .LBB6_3954
; %bb.3953:                             ;   in Loop: Header=BB6_3279 Depth=2
	v_clz_i32_u32_e32 v0, v2
	s_delay_alu instid0(VALU_DEP_1) | instskip(SKIP_1) | instid1(VALU_DEP_2)
	v_min_u32_e32 v0, 32, v0
	v_mov_b32_e32 v121, v5
	v_subrev_nc_u32_e32 v2, 29, v0
	v_sub_nc_u32_e32 v0, 30, v0
	s_delay_alu instid0(VALU_DEP_2) | instskip(NEXT) | instid1(VALU_DEP_1)
	v_lshlrev_b64_e32 v[2:3], v2, v[120:121]
	v_and_b32_e32 v2, 3, v2
.LBB6_3954:                             ;   in Loop: Header=BB6_3279 Depth=2
	s_or_b32 exec_lo, exec_lo, s28
	v_bfe_i32 v3, v120, 0, 16
                                        ; implicit-def: $vgpr120
	s_delay_alu instid0(VALU_DEP_1) | instskip(NEXT) | instid1(VALU_DEP_1)
	v_and_b32_e32 v3, 0x80000000, v3
	v_lshl_add_u32 v0, v0, 23, v3
	s_delay_alu instid0(VALU_DEP_1) | instskip(NEXT) | instid1(VALU_DEP_1)
	v_lshl_or_b32 v0, v2, 21, v0
                                        ; implicit-def: $vgpr2
	v_add_nc_u32_e32 v0, 0x38000000, v0
.LBB6_3955:                             ;   in Loop: Header=BB6_3279 Depth=2
	s_and_not1_saveexec_b32 s27, s27
; %bb.3956:                             ;   in Loop: Header=BB6_3279 Depth=2
	v_cmp_lt_i16_e32 vcc_lo, -1, v120
	v_cndmask_b32_e32 v0, 0xff800000, v109, vcc_lo
	v_cmp_eq_u32_e32 vcc_lo, 0, v2
	s_delay_alu instid0(VALU_DEP_2)
	v_cndmask_b32_e32 v0, 0x7f800001, v0, vcc_lo
; %bb.3957:                             ;   in Loop: Header=BB6_3279 Depth=2
	s_or_b32 exec_lo, exec_lo, s27
.LBB6_3958:                             ;   in Loop: Header=BB6_3279 Depth=2
	s_delay_alu instid0(SALU_CYCLE_1)
	s_or_b32 exec_lo, exec_lo, s26
.LBB6_3959:                             ;   in Loop: Header=BB6_3279 Depth=2
	s_delay_alu instid0(SALU_CYCLE_1) | instskip(NEXT) | instid1(VALU_DEP_1)
	s_or_b32 exec_lo, exec_lo, s10
	v_mul_f32_e32 v0, v1, v0
	v_mov_b32_e32 v3, v5
                                        ; implicit-def: $vgpr30
	s_mov_b32 s10, exec_lo
	s_delay_alu instid0(VALU_DEP_2) | instskip(SKIP_1) | instid1(VALU_DEP_2)
	v_and_b32_e32 v2, 0x7f800000, v0
	v_and_b32_e32 v4, 0x7fffff, v0
	v_cmpx_ne_u64_e32 0x7f800000, v[2:3]
	s_xor_b32 s26, exec_lo, s10
	s_cbranch_execz .LBB6_3977
; %bb.3960:                             ;   in Loop: Header=BB6_3279 Depth=2
	v_dual_mov_b32 v3, v5 :: v_dual_lshrrev_b32 v1, 24, v0
	v_and_b32_e32 v2, 0x7fffffff, v0
                                        ; implicit-def: $vgpr30
	s_mov_b32 s10, exec_lo
	s_delay_alu instid0(VALU_DEP_2) | instskip(NEXT) | instid1(VALU_DEP_2)
	v_and_b32_e32 v27, 0x80, v1
	v_cmpx_gt_u64_e32 0x47600001, v[2:3]
	s_xor_b32 s27, exec_lo, s10
	s_cbranch_execz .LBB6_3974
; %bb.3961:                             ;   in Loop: Header=BB6_3279 Depth=2
	v_mov_b32_e32 v30, 0
	s_mov_b32 s28, exec_lo
	v_cmpx_ne_u32_e32 0, v0
	s_cbranch_execz .LBB6_3973
; %bb.3962:                             ;   in Loop: Header=BB6_3279 Depth=2
	v_bfe_u32 v29, v0, 23, 8
	v_or_b32_e32 v2, 0x800000, v4
	s_mov_b32 s29, exec_lo
	s_delay_alu instid0(VALU_DEP_2) | instskip(SKIP_1) | instid1(VALU_DEP_2)
	v_dual_mov_b32 v3, v5 :: v_dual_sub_nc_u32 v0, 0x71, v29
	v_cmp_gt_u32_e32 vcc_lo, 0x72, v29
	v_cndmask_b32_e32 v0, 0, v0, vcc_lo
	v_cmp_eq_u32_e32 vcc_lo, 0, v29
	s_delay_alu instid0(VALU_DEP_2) | instskip(NEXT) | instid1(VALU_DEP_1)
	v_cndmask_b32_e64 v30, v0, 0x70, vcc_lo
	v_dual_cndmask_b32 v2, v2, v4, vcc_lo :: v_dual_add_nc_u32 v0, 21, v30
	v_add_nc_u32_e32 v26, 20, v30
	s_delay_alu instid0(VALU_DEP_2) | instskip(NEXT) | instid1(VALU_DEP_2)
	v_lshlrev_b64_e64 v[0:1], v0, -1
	v_lshlrev_b64_e64 v[52:53], v26, 1
	s_delay_alu instid0(VALU_DEP_2) | instskip(NEXT) | instid1(VALU_DEP_3)
	v_bfi_b32 v55, v1, 0, 0
	v_bfi_b32 v54, v0, 0, v2
	v_lshrrev_b64 v[0:1], v30, v[2:3]
	s_delay_alu instid0(VALU_DEP_1) | instskip(NEXT) | instid1(VALU_DEP_3)
	v_mov_b64_e32 v[2:3], v[0:1]
	v_cmpx_eq_u64_e64 v[54:55], v[52:53]
; %bb.3963:                             ;   in Loop: Header=BB6_3279 Depth=2
	v_bfe_u32 v2, v0, 21, 1
	v_mov_b32_e32 v3, v5
	s_delay_alu instid0(VALU_DEP_1) | instskip(NEXT) | instid1(VALU_DEP_1)
	v_add_nc_u64_e32 v[2:3], v[0:1], v[2:3]
	v_add_nc_u64_e32 v[2:3], -1, v[2:3]
; %bb.3964:                             ;   in Loop: Header=BB6_3279 Depth=2
	s_or_b32 exec_lo, exec_lo, s29
	v_add_nc_u32_e32 v1, 0xffffff81, v29
	s_delay_alu instid0(VALU_DEP_2) | instskip(SKIP_2) | instid1(VALU_DEP_3)
	v_and_b32_e32 v2, 0x1fffff, v2
	v_lshrrev_b32_e32 v3, 23, v0
	s_mov_b32 s10, exec_lo
	v_cndmask_b32_e64 v1, v1, 0xffffff82, vcc_lo
	s_delay_alu instid0(VALU_DEP_3) | instskip(NEXT) | instid1(VALU_DEP_2)
	v_add_nc_u32_e32 v4, v2, v0
                                        ; implicit-def: $vgpr2
	v_add3_u32 v3, v30, v1, v3
                                        ; implicit-def: $vgpr0_vgpr1
	s_delay_alu instid0(VALU_DEP_1) | instskip(NEXT) | instid1(VALU_DEP_1)
	v_add_nc_u32_e32 v29, 14, v3
	v_cmpx_ne_u32_e32 0, v29
	s_xor_b32 s10, exec_lo, s10
; %bb.3965:                             ;   in Loop: Header=BB6_3279 Depth=2
	v_cmp_lt_u64_e32 vcc_lo, 0xffffff, v[4:5]
	v_add_nc_u32_e32 v0, 15, v3
	s_delay_alu instid0(VALU_DEP_1) | instskip(SKIP_1) | instid1(VALU_DEP_1)
	v_cndmask_b32_e32 v2, v29, v0, vcc_lo
	v_cndmask_b32_e64 v0, 0, 1, vcc_lo
	v_lshrrev_b64 v[0:1], v0, v[4:5]
; %bb.3966:                             ;   in Loop: Header=BB6_3279 Depth=2
	s_and_not1_saveexec_b32 s10, s10
; %bb.3967:                             ;   in Loop: Header=BB6_3279 Depth=2
	v_mov_b64_e32 v[0:1], v[4:5]
	v_bfe_u32 v2, v4, 23, 1
; %bb.3968:                             ;   in Loop: Header=BB6_3279 Depth=2
	s_or_b32 exec_lo, exec_lo, s10
	s_delay_alu instid0(VALU_DEP_2) | instskip(NEXT) | instid1(VALU_DEP_2)
	v_lshrrev_b64 v[0:1], 21, v[0:1]
	v_cmp_gt_i32_e32 vcc_lo, 32, v2
	v_cmp_ne_u32_e64 s10, 0, v2
                                        ; implicit-def: $vgpr30
	s_delay_alu instid0(VALU_DEP_3) | instskip(NEXT) | instid1(VALU_DEP_1)
	v_dual_cndmask_b32 v1, 0, v1 :: v_dual_cndmask_b32 v0, 3, v0
	v_cmp_ne_u64_e32 vcc_lo, 0, v[0:1]
	s_or_b32 s10, s10, vcc_lo
	s_delay_alu instid0(SALU_CYCLE_1) | instskip(NEXT) | instid1(SALU_CYCLE_1)
	s_and_saveexec_b32 s29, s10
	s_xor_b32 s10, exec_lo, s29
; %bb.3969:                             ;   in Loop: Header=BB6_3279 Depth=2
	v_min_i32_e32 v1, 31, v2
	s_delay_alu instid0(VALU_DEP_1) | instskip(NEXT) | instid1(VALU_DEP_1)
	v_lshl_or_b32 v1, v1, 2, v27
                                        ; implicit-def: $vgpr27
	v_and_or_b32 v30, v0, 3, v1
; %bb.3970:                             ;   in Loop: Header=BB6_3279 Depth=2
	s_and_not1_saveexec_b32 s10, s10
; %bb.3971:                             ;   in Loop: Header=BB6_3279 Depth=2
	v_mov_b32_e32 v30, v27
; %bb.3972:                             ;   in Loop: Header=BB6_3279 Depth=2
	s_or_b32 exec_lo, exec_lo, s10
.LBB6_3973:                             ;   in Loop: Header=BB6_3279 Depth=2
	s_delay_alu instid0(SALU_CYCLE_1)
	s_or_b32 exec_lo, exec_lo, s28
                                        ; implicit-def: $vgpr27
.LBB6_3974:                             ;   in Loop: Header=BB6_3279 Depth=2
	s_and_not1_saveexec_b32 s10, s27
; %bb.3975:                             ;   in Loop: Header=BB6_3279 Depth=2
	v_or_b32_e32 v30, 0x7b, v27
; %bb.3976:                             ;   in Loop: Header=BB6_3279 Depth=2
	s_or_b32 exec_lo, exec_lo, s10
                                        ; implicit-def: $vgpr0
.LBB6_3977:                             ;   in Loop: Header=BB6_3279 Depth=2
	s_and_not1_saveexec_b32 s10, s26
	s_cbranch_execz .LBB6_3983
; %bb.3978:                             ;   in Loop: Header=BB6_3279 Depth=2
	s_mov_b32 s26, exec_lo
                                        ; implicit-def: $vgpr30
	v_cmpx_ne_u64_e32 0, v[4:5]
	s_xor_b32 s26, exec_lo, s26
; %bb.3979:                             ;   in Loop: Header=BB6_3279 Depth=2
	v_lshrrev_b32_e32 v0, 24, v0
	s_delay_alu instid0(VALU_DEP_1)
	v_or_b32_e32 v30, 0x7f, v0
                                        ; implicit-def: $vgpr0
; %bb.3980:                             ;   in Loop: Header=BB6_3279 Depth=2
	s_and_not1_saveexec_b32 s26, s26
; %bb.3981:                             ;   in Loop: Header=BB6_3279 Depth=2
	v_cmp_lt_i32_e32 vcc_lo, -1, v0
	v_cndmask_b32_e64 v30, -4, 0x7c, vcc_lo
; %bb.3982:                             ;   in Loop: Header=BB6_3279 Depth=2
	s_or_b32 exec_lo, exec_lo, s26
.LBB6_3983:                             ;   in Loop: Header=BB6_3279 Depth=2
	s_delay_alu instid0(SALU_CYCLE_1)
	s_or_b32 exec_lo, exec_lo, s10
	v_dual_mov_b32 v0, 0 :: v_dual_mov_b32 v1, 0
	s_mov_b32 s10, exec_lo
	v_cmpx_ne_u16_e32 0, v110
	s_cbranch_execz .LBB6_3993
; %bb.3984:                             ;   in Loop: Header=BB6_3279 Depth=2
	v_bfrev_b32_e32 v1, 1
	s_mov_b32 s26, exec_lo
	v_cmpx_ne_u16_e32 0xff80, v110
	s_cbranch_execz .LBB6_3992
; %bb.3985:                             ;   in Loop: Header=BB6_3279 Depth=2
	v_and_b32_e32 v1, 0x7c, v110
	v_and_b32_e32 v2, 3, v110
	s_delay_alu instid0(VALU_DEP_2) | instskip(SKIP_1) | instid1(SALU_CYCLE_1)
	v_cmp_ne_u32_e32 vcc_lo, 0x7c, v1
                                        ; implicit-def: $vgpr1
	s_and_saveexec_b32 s27, vcc_lo
	s_xor_b32 s27, exec_lo, s27
	s_cbranch_execz .LBB6_3989
; %bb.3986:                             ;   in Loop: Header=BB6_3279 Depth=2
	v_and_b32_e32 v1, 0xff, v110
	s_mov_b32 s28, exec_lo
	s_delay_alu instid0(VALU_DEP_1) | instskip(NEXT) | instid1(VALU_DEP_1)
	v_bfe_u32 v1, v1, 2, 5
	v_cmpx_eq_u32_e32 0, v1
	s_cbranch_execz .LBB6_3988
; %bb.3987:                             ;   in Loop: Header=BB6_3279 Depth=2
	v_clz_i32_u32_e32 v1, v2
	s_delay_alu instid0(VALU_DEP_1) | instskip(SKIP_1) | instid1(VALU_DEP_2)
	v_min_u32_e32 v1, 32, v1
	v_mov_b32_e32 v111, v5
	v_subrev_nc_u32_e32 v2, 29, v1
	v_sub_nc_u32_e32 v1, 30, v1
	s_delay_alu instid0(VALU_DEP_2) | instskip(NEXT) | instid1(VALU_DEP_1)
	v_lshlrev_b64_e32 v[2:3], v2, v[110:111]
	v_and_b32_e32 v2, 3, v2
.LBB6_3988:                             ;   in Loop: Header=BB6_3279 Depth=2
	s_or_b32 exec_lo, exec_lo, s28
	v_bfe_i32 v3, v110, 0, 16
                                        ; implicit-def: $vgpr110
	s_delay_alu instid0(VALU_DEP_1) | instskip(NEXT) | instid1(VALU_DEP_1)
	v_and_b32_e32 v3, 0x80000000, v3
	v_lshl_add_u32 v1, v1, 23, v3
	s_delay_alu instid0(VALU_DEP_1) | instskip(NEXT) | instid1(VALU_DEP_1)
	v_lshl_or_b32 v1, v2, 21, v1
                                        ; implicit-def: $vgpr2
	v_add_nc_u32_e32 v1, 0x38000000, v1
.LBB6_3989:                             ;   in Loop: Header=BB6_3279 Depth=2
	s_and_not1_saveexec_b32 s27, s27
; %bb.3990:                             ;   in Loop: Header=BB6_3279 Depth=2
	v_cmp_lt_i16_e32 vcc_lo, -1, v110
	v_cndmask_b32_e32 v1, 0xff800000, v109, vcc_lo
	v_cmp_eq_u32_e32 vcc_lo, 0, v2
	s_delay_alu instid0(VALU_DEP_2)
	v_cndmask_b32_e32 v1, 0x7f800001, v1, vcc_lo
; %bb.3991:                             ;   in Loop: Header=BB6_3279 Depth=2
	s_or_b32 exec_lo, exec_lo, s27
.LBB6_3992:                             ;   in Loop: Header=BB6_3279 Depth=2
	s_delay_alu instid0(SALU_CYCLE_1)
	s_or_b32 exec_lo, exec_lo, s26
.LBB6_3993:                             ;   in Loop: Header=BB6_3279 Depth=2
	s_delay_alu instid0(SALU_CYCLE_1) | instskip(NEXT) | instid1(SALU_CYCLE_1)
	s_or_b32 exec_lo, exec_lo, s10
	s_mov_b32 s10, exec_lo
	v_cmpx_ne_u16_e32 0, v108
	s_cbranch_execz .LBB6_4003
; %bb.3994:                             ;   in Loop: Header=BB6_3279 Depth=2
	v_bfrev_b32_e32 v0, 1
	s_mov_b32 s26, exec_lo
	v_cmpx_ne_u16_e32 0xff80, v108
	s_cbranch_execz .LBB6_4002
; %bb.3995:                             ;   in Loop: Header=BB6_3279 Depth=2
	v_and_b32_e32 v0, 0x7c, v108
	v_and_b32_e32 v2, 3, v108
	s_delay_alu instid0(VALU_DEP_2) | instskip(SKIP_1) | instid1(SALU_CYCLE_1)
	v_cmp_ne_u32_e32 vcc_lo, 0x7c, v0
                                        ; implicit-def: $vgpr0
	s_and_saveexec_b32 s27, vcc_lo
	s_xor_b32 s27, exec_lo, s27
	s_cbranch_execz .LBB6_3999
; %bb.3996:                             ;   in Loop: Header=BB6_3279 Depth=2
	v_and_b32_e32 v0, 0xff, v108
	s_mov_b32 s28, exec_lo
	s_delay_alu instid0(VALU_DEP_1) | instskip(NEXT) | instid1(VALU_DEP_1)
	v_bfe_u32 v0, v0, 2, 5
	v_cmpx_eq_u32_e32 0, v0
	s_cbranch_execz .LBB6_3998
; %bb.3997:                             ;   in Loop: Header=BB6_3279 Depth=2
	v_clz_i32_u32_e32 v0, v2
	s_delay_alu instid0(VALU_DEP_1) | instskip(SKIP_1) | instid1(VALU_DEP_2)
	v_min_u32_e32 v0, 32, v0
	v_mov_b32_e32 v109, v5
	v_subrev_nc_u32_e32 v2, 29, v0
	v_sub_nc_u32_e32 v0, 30, v0
	s_delay_alu instid0(VALU_DEP_2) | instskip(SKIP_1) | instid1(VALU_DEP_2)
	v_lshlrev_b64_e32 v[2:3], v2, v[108:109]
	v_mov_b32_e32 v109, 0x7f800000
	v_and_b32_e32 v2, 3, v2
.LBB6_3998:                             ;   in Loop: Header=BB6_3279 Depth=2
	s_or_b32 exec_lo, exec_lo, s28
	v_bfe_i32 v3, v108, 0, 16
                                        ; implicit-def: $vgpr108
	s_delay_alu instid0(VALU_DEP_1) | instskip(NEXT) | instid1(VALU_DEP_1)
	v_and_b32_e32 v3, 0x80000000, v3
	v_lshl_add_u32 v0, v0, 23, v3
	s_delay_alu instid0(VALU_DEP_1) | instskip(NEXT) | instid1(VALU_DEP_1)
	v_lshl_or_b32 v0, v2, 21, v0
                                        ; implicit-def: $vgpr2
	v_add_nc_u32_e32 v0, 0x38000000, v0
.LBB6_3999:                             ;   in Loop: Header=BB6_3279 Depth=2
	s_and_not1_saveexec_b32 s27, s27
; %bb.4000:                             ;   in Loop: Header=BB6_3279 Depth=2
	v_cmp_lt_i16_e32 vcc_lo, -1, v108
	v_cndmask_b32_e32 v0, 0xff800000, v109, vcc_lo
	v_cmp_eq_u32_e32 vcc_lo, 0, v2
	s_delay_alu instid0(VALU_DEP_2)
	v_cndmask_b32_e32 v0, 0x7f800001, v0, vcc_lo
; %bb.4001:                             ;   in Loop: Header=BB6_3279 Depth=2
	s_or_b32 exec_lo, exec_lo, s27
.LBB6_4002:                             ;   in Loop: Header=BB6_3279 Depth=2
	s_delay_alu instid0(SALU_CYCLE_1)
	s_or_b32 exec_lo, exec_lo, s26
.LBB6_4003:                             ;   in Loop: Header=BB6_3279 Depth=2
	s_delay_alu instid0(SALU_CYCLE_1) | instskip(NEXT) | instid1(VALU_DEP_1)
	s_or_b32 exec_lo, exec_lo, s10
	v_mul_f32_e32 v0, v1, v0
	v_mov_b32_e32 v3, v5
                                        ; implicit-def: $vgpr31
	s_mov_b32 s10, exec_lo
	s_delay_alu instid0(VALU_DEP_2) | instskip(SKIP_1) | instid1(VALU_DEP_2)
	v_and_b32_e32 v2, 0x7f800000, v0
	v_and_b32_e32 v4, 0x7fffff, v0
	v_cmpx_ne_u64_e32 0x7f800000, v[2:3]
	s_xor_b32 s26, exec_lo, s10
	s_cbranch_execz .LBB6_4021
; %bb.4004:                             ;   in Loop: Header=BB6_3279 Depth=2
	v_dual_mov_b32 v3, v5 :: v_dual_lshrrev_b32 v1, 24, v0
	v_and_b32_e32 v2, 0x7fffffff, v0
                                        ; implicit-def: $vgpr31
	s_mov_b32 s10, exec_lo
	s_delay_alu instid0(VALU_DEP_2) | instskip(NEXT) | instid1(VALU_DEP_2)
	v_and_b32_e32 v27, 0x80, v1
	v_cmpx_gt_u64_e32 0x47600001, v[2:3]
	s_xor_b32 s27, exec_lo, s10
	s_cbranch_execz .LBB6_4018
; %bb.4005:                             ;   in Loop: Header=BB6_3279 Depth=2
	v_mov_b32_e32 v31, 0
	s_mov_b32 s28, exec_lo
	v_cmpx_ne_u32_e32 0, v0
	s_cbranch_execz .LBB6_4017
; %bb.4006:                             ;   in Loop: Header=BB6_3279 Depth=2
	v_bfe_u32 v29, v0, 23, 8
	v_or_b32_e32 v2, 0x800000, v4
	s_mov_b32 s29, exec_lo
	s_delay_alu instid0(VALU_DEP_2) | instskip(SKIP_1) | instid1(VALU_DEP_2)
	v_dual_mov_b32 v3, v5 :: v_dual_sub_nc_u32 v0, 0x71, v29
	v_cmp_gt_u32_e32 vcc_lo, 0x72, v29
	v_cndmask_b32_e32 v0, 0, v0, vcc_lo
	v_cmp_eq_u32_e32 vcc_lo, 0, v29
	s_delay_alu instid0(VALU_DEP_2) | instskip(NEXT) | instid1(VALU_DEP_1)
	v_cndmask_b32_e64 v31, v0, 0x70, vcc_lo
	v_dual_cndmask_b32 v2, v2, v4, vcc_lo :: v_dual_add_nc_u32 v0, 21, v31
	v_add_nc_u32_e32 v26, 20, v31
	s_delay_alu instid0(VALU_DEP_2) | instskip(NEXT) | instid1(VALU_DEP_2)
	v_lshlrev_b64_e64 v[0:1], v0, -1
	v_lshlrev_b64_e64 v[52:53], v26, 1
	s_delay_alu instid0(VALU_DEP_2) | instskip(NEXT) | instid1(VALU_DEP_3)
	v_bfi_b32 v55, v1, 0, 0
	v_bfi_b32 v54, v0, 0, v2
	v_lshrrev_b64 v[0:1], v31, v[2:3]
	s_delay_alu instid0(VALU_DEP_1) | instskip(NEXT) | instid1(VALU_DEP_3)
	v_mov_b64_e32 v[2:3], v[0:1]
	v_cmpx_eq_u64_e64 v[54:55], v[52:53]
; %bb.4007:                             ;   in Loop: Header=BB6_3279 Depth=2
	v_bfe_u32 v2, v0, 21, 1
	v_mov_b32_e32 v3, v5
	s_delay_alu instid0(VALU_DEP_1) | instskip(NEXT) | instid1(VALU_DEP_1)
	v_add_nc_u64_e32 v[2:3], v[0:1], v[2:3]
	v_add_nc_u64_e32 v[2:3], -1, v[2:3]
; %bb.4008:                             ;   in Loop: Header=BB6_3279 Depth=2
	s_or_b32 exec_lo, exec_lo, s29
	v_add_nc_u32_e32 v1, 0xffffff81, v29
	s_delay_alu instid0(VALU_DEP_2) | instskip(SKIP_2) | instid1(VALU_DEP_3)
	v_and_b32_e32 v2, 0x1fffff, v2
	v_lshrrev_b32_e32 v3, 23, v0
	s_mov_b32 s10, exec_lo
	v_cndmask_b32_e64 v1, v1, 0xffffff82, vcc_lo
	s_delay_alu instid0(VALU_DEP_3) | instskip(NEXT) | instid1(VALU_DEP_2)
	v_add_nc_u32_e32 v4, v2, v0
                                        ; implicit-def: $vgpr2
	v_add3_u32 v3, v31, v1, v3
                                        ; implicit-def: $vgpr0_vgpr1
	s_delay_alu instid0(VALU_DEP_1) | instskip(NEXT) | instid1(VALU_DEP_1)
	v_add_nc_u32_e32 v29, 14, v3
	v_cmpx_ne_u32_e32 0, v29
	s_xor_b32 s10, exec_lo, s10
; %bb.4009:                             ;   in Loop: Header=BB6_3279 Depth=2
	v_cmp_lt_u64_e32 vcc_lo, 0xffffff, v[4:5]
	v_add_nc_u32_e32 v0, 15, v3
	s_delay_alu instid0(VALU_DEP_1) | instskip(SKIP_1) | instid1(VALU_DEP_1)
	v_cndmask_b32_e32 v2, v29, v0, vcc_lo
	v_cndmask_b32_e64 v0, 0, 1, vcc_lo
	v_lshrrev_b64 v[0:1], v0, v[4:5]
; %bb.4010:                             ;   in Loop: Header=BB6_3279 Depth=2
	s_and_not1_saveexec_b32 s10, s10
; %bb.4011:                             ;   in Loop: Header=BB6_3279 Depth=2
	v_mov_b64_e32 v[0:1], v[4:5]
	v_bfe_u32 v2, v4, 23, 1
; %bb.4012:                             ;   in Loop: Header=BB6_3279 Depth=2
	s_or_b32 exec_lo, exec_lo, s10
	s_delay_alu instid0(VALU_DEP_2) | instskip(NEXT) | instid1(VALU_DEP_2)
	v_lshrrev_b64 v[0:1], 21, v[0:1]
	v_cmp_gt_i32_e32 vcc_lo, 32, v2
	v_cmp_ne_u32_e64 s10, 0, v2
                                        ; implicit-def: $vgpr31
	s_delay_alu instid0(VALU_DEP_3) | instskip(NEXT) | instid1(VALU_DEP_1)
	v_dual_cndmask_b32 v1, 0, v1 :: v_dual_cndmask_b32 v0, 3, v0
	v_cmp_ne_u64_e32 vcc_lo, 0, v[0:1]
	s_or_b32 s10, s10, vcc_lo
	s_delay_alu instid0(SALU_CYCLE_1) | instskip(NEXT) | instid1(SALU_CYCLE_1)
	s_and_saveexec_b32 s29, s10
	s_xor_b32 s10, exec_lo, s29
; %bb.4013:                             ;   in Loop: Header=BB6_3279 Depth=2
	v_min_i32_e32 v1, 31, v2
	s_delay_alu instid0(VALU_DEP_1) | instskip(NEXT) | instid1(VALU_DEP_1)
	v_lshl_or_b32 v1, v1, 2, v27
                                        ; implicit-def: $vgpr27
	v_and_or_b32 v31, v0, 3, v1
; %bb.4014:                             ;   in Loop: Header=BB6_3279 Depth=2
	s_and_not1_saveexec_b32 s10, s10
; %bb.4015:                             ;   in Loop: Header=BB6_3279 Depth=2
	v_mov_b32_e32 v31, v27
; %bb.4016:                             ;   in Loop: Header=BB6_3279 Depth=2
	s_or_b32 exec_lo, exec_lo, s10
.LBB6_4017:                             ;   in Loop: Header=BB6_3279 Depth=2
	s_delay_alu instid0(SALU_CYCLE_1)
	s_or_b32 exec_lo, exec_lo, s28
                                        ; implicit-def: $vgpr27
.LBB6_4018:                             ;   in Loop: Header=BB6_3279 Depth=2
	s_and_not1_saveexec_b32 s10, s27
; %bb.4019:                             ;   in Loop: Header=BB6_3279 Depth=2
	v_or_b32_e32 v31, 0x7b, v27
; %bb.4020:                             ;   in Loop: Header=BB6_3279 Depth=2
	s_or_b32 exec_lo, exec_lo, s10
                                        ; implicit-def: $vgpr0
.LBB6_4021:                             ;   in Loop: Header=BB6_3279 Depth=2
	s_and_not1_saveexec_b32 s10, s26
	s_cbranch_execz .LBB6_4027
; %bb.4022:                             ;   in Loop: Header=BB6_3279 Depth=2
	s_mov_b32 s26, exec_lo
                                        ; implicit-def: $vgpr31
	v_cmpx_ne_u64_e32 0, v[4:5]
	s_xor_b32 s26, exec_lo, s26
; %bb.4023:                             ;   in Loop: Header=BB6_3279 Depth=2
	v_lshrrev_b32_e32 v0, 24, v0
	s_delay_alu instid0(VALU_DEP_1)
	v_or_b32_e32 v31, 0x7f, v0
                                        ; implicit-def: $vgpr0
; %bb.4024:                             ;   in Loop: Header=BB6_3279 Depth=2
	s_and_not1_saveexec_b32 s26, s26
; %bb.4025:                             ;   in Loop: Header=BB6_3279 Depth=2
	v_cmp_lt_i32_e32 vcc_lo, -1, v0
	v_cndmask_b32_e64 v31, -4, 0x7c, vcc_lo
; %bb.4026:                             ;   in Loop: Header=BB6_3279 Depth=2
	s_or_b32 exec_lo, exec_lo, s26
.LBB6_4027:                             ;   in Loop: Header=BB6_3279 Depth=2
	s_delay_alu instid0(SALU_CYCLE_1)
	s_or_b32 exec_lo, exec_lo, s10
	v_dual_mov_b32 v0, 0 :: v_dual_mov_b32 v1, 0
	s_mov_b32 s10, exec_lo
	v_cmpx_ne_u16_e32 0, v106
	s_cbranch_execz .LBB6_4037
; %bb.4028:                             ;   in Loop: Header=BB6_3279 Depth=2
	v_bfrev_b32_e32 v1, 1
	s_mov_b32 s26, exec_lo
	v_cmpx_ne_u16_e32 0xff80, v106
	s_cbranch_execz .LBB6_4036
; %bb.4029:                             ;   in Loop: Header=BB6_3279 Depth=2
	v_and_b32_e32 v1, 0x7c, v106
	v_and_b32_e32 v2, 3, v106
	s_delay_alu instid0(VALU_DEP_2) | instskip(SKIP_1) | instid1(SALU_CYCLE_1)
	v_cmp_ne_u32_e32 vcc_lo, 0x7c, v1
                                        ; implicit-def: $vgpr1
	s_and_saveexec_b32 s27, vcc_lo
	s_xor_b32 s27, exec_lo, s27
	s_cbranch_execz .LBB6_4033
; %bb.4030:                             ;   in Loop: Header=BB6_3279 Depth=2
	v_and_b32_e32 v1, 0xff, v106
	s_mov_b32 s28, exec_lo
	s_delay_alu instid0(VALU_DEP_1) | instskip(NEXT) | instid1(VALU_DEP_1)
	v_bfe_u32 v1, v1, 2, 5
	v_cmpx_eq_u32_e32 0, v1
	s_cbranch_execz .LBB6_4032
; %bb.4031:                             ;   in Loop: Header=BB6_3279 Depth=2
	v_clz_i32_u32_e32 v1, v2
	s_delay_alu instid0(VALU_DEP_1) | instskip(SKIP_1) | instid1(VALU_DEP_2)
	v_min_u32_e32 v1, 32, v1
	v_mov_b32_e32 v107, v5
	v_subrev_nc_u32_e32 v2, 29, v1
	v_sub_nc_u32_e32 v1, 30, v1
	s_delay_alu instid0(VALU_DEP_2) | instskip(NEXT) | instid1(VALU_DEP_1)
	v_lshlrev_b64_e32 v[2:3], v2, v[106:107]
	v_and_b32_e32 v2, 3, v2
.LBB6_4032:                             ;   in Loop: Header=BB6_3279 Depth=2
	s_or_b32 exec_lo, exec_lo, s28
	v_bfe_i32 v3, v106, 0, 16
                                        ; implicit-def: $vgpr106
	s_delay_alu instid0(VALU_DEP_1) | instskip(NEXT) | instid1(VALU_DEP_1)
	v_and_b32_e32 v3, 0x80000000, v3
	v_lshl_add_u32 v1, v1, 23, v3
	s_delay_alu instid0(VALU_DEP_1) | instskip(NEXT) | instid1(VALU_DEP_1)
	v_lshl_or_b32 v1, v2, 21, v1
                                        ; implicit-def: $vgpr2
	v_add_nc_u32_e32 v1, 0x38000000, v1
.LBB6_4033:                             ;   in Loop: Header=BB6_3279 Depth=2
	s_and_not1_saveexec_b32 s27, s27
; %bb.4034:                             ;   in Loop: Header=BB6_3279 Depth=2
	v_cmp_lt_i16_e32 vcc_lo, -1, v106
	v_cndmask_b32_e32 v1, 0xff800000, v109, vcc_lo
	v_cmp_eq_u32_e32 vcc_lo, 0, v2
	s_delay_alu instid0(VALU_DEP_2)
	v_cndmask_b32_e32 v1, 0x7f800001, v1, vcc_lo
; %bb.4035:                             ;   in Loop: Header=BB6_3279 Depth=2
	s_or_b32 exec_lo, exec_lo, s27
.LBB6_4036:                             ;   in Loop: Header=BB6_3279 Depth=2
	s_delay_alu instid0(SALU_CYCLE_1)
	s_or_b32 exec_lo, exec_lo, s26
.LBB6_4037:                             ;   in Loop: Header=BB6_3279 Depth=2
	s_delay_alu instid0(SALU_CYCLE_1) | instskip(NEXT) | instid1(SALU_CYCLE_1)
	s_or_b32 exec_lo, exec_lo, s10
	s_mov_b32 s10, exec_lo
	v_cmpx_ne_u16_e32 0, v104
	s_cbranch_execz .LBB6_4047
; %bb.4038:                             ;   in Loop: Header=BB6_3279 Depth=2
	v_bfrev_b32_e32 v0, 1
	s_mov_b32 s26, exec_lo
	v_cmpx_ne_u16_e32 0xff80, v104
	s_cbranch_execz .LBB6_4046
; %bb.4039:                             ;   in Loop: Header=BB6_3279 Depth=2
	v_and_b32_e32 v0, 0x7c, v104
	v_and_b32_e32 v2, 3, v104
	s_delay_alu instid0(VALU_DEP_2) | instskip(SKIP_1) | instid1(SALU_CYCLE_1)
	v_cmp_ne_u32_e32 vcc_lo, 0x7c, v0
                                        ; implicit-def: $vgpr0
	s_and_saveexec_b32 s27, vcc_lo
	s_xor_b32 s27, exec_lo, s27
	s_cbranch_execz .LBB6_4043
; %bb.4040:                             ;   in Loop: Header=BB6_3279 Depth=2
	v_and_b32_e32 v0, 0xff, v104
	s_mov_b32 s28, exec_lo
	s_delay_alu instid0(VALU_DEP_1) | instskip(NEXT) | instid1(VALU_DEP_1)
	v_bfe_u32 v0, v0, 2, 5
	v_cmpx_eq_u32_e32 0, v0
	s_cbranch_execz .LBB6_4042
; %bb.4041:                             ;   in Loop: Header=BB6_3279 Depth=2
	v_clz_i32_u32_e32 v0, v2
	s_delay_alu instid0(VALU_DEP_1) | instskip(SKIP_1) | instid1(VALU_DEP_2)
	v_min_u32_e32 v0, 32, v0
	v_mov_b32_e32 v105, v5
	v_subrev_nc_u32_e32 v2, 29, v0
	v_sub_nc_u32_e32 v0, 30, v0
	s_delay_alu instid0(VALU_DEP_2) | instskip(NEXT) | instid1(VALU_DEP_1)
	v_lshlrev_b64_e32 v[2:3], v2, v[104:105]
	v_and_b32_e32 v2, 3, v2
.LBB6_4042:                             ;   in Loop: Header=BB6_3279 Depth=2
	s_or_b32 exec_lo, exec_lo, s28
	v_bfe_i32 v3, v104, 0, 16
                                        ; implicit-def: $vgpr104
	s_delay_alu instid0(VALU_DEP_1) | instskip(NEXT) | instid1(VALU_DEP_1)
	v_and_b32_e32 v3, 0x80000000, v3
	v_lshl_add_u32 v0, v0, 23, v3
	s_delay_alu instid0(VALU_DEP_1) | instskip(NEXT) | instid1(VALU_DEP_1)
	v_lshl_or_b32 v0, v2, 21, v0
                                        ; implicit-def: $vgpr2
	v_add_nc_u32_e32 v0, 0x38000000, v0
.LBB6_4043:                             ;   in Loop: Header=BB6_3279 Depth=2
	s_and_not1_saveexec_b32 s27, s27
; %bb.4044:                             ;   in Loop: Header=BB6_3279 Depth=2
	v_cmp_lt_i16_e32 vcc_lo, -1, v104
	v_cndmask_b32_e32 v0, 0xff800000, v109, vcc_lo
	v_cmp_eq_u32_e32 vcc_lo, 0, v2
	s_delay_alu instid0(VALU_DEP_2)
	v_cndmask_b32_e32 v0, 0x7f800001, v0, vcc_lo
; %bb.4045:                             ;   in Loop: Header=BB6_3279 Depth=2
	s_or_b32 exec_lo, exec_lo, s27
.LBB6_4046:                             ;   in Loop: Header=BB6_3279 Depth=2
	s_delay_alu instid0(SALU_CYCLE_1)
	s_or_b32 exec_lo, exec_lo, s26
.LBB6_4047:                             ;   in Loop: Header=BB6_3279 Depth=2
	s_delay_alu instid0(SALU_CYCLE_1) | instskip(NEXT) | instid1(VALU_DEP_1)
	s_or_b32 exec_lo, exec_lo, s10
	v_mul_f32_e32 v0, v1, v0
	v_mov_b32_e32 v3, v5
                                        ; implicit-def: $vgpr52
	s_mov_b32 s10, exec_lo
	s_delay_alu instid0(VALU_DEP_2) | instskip(SKIP_1) | instid1(VALU_DEP_2)
	v_and_b32_e32 v2, 0x7f800000, v0
	v_and_b32_e32 v4, 0x7fffff, v0
	v_cmpx_ne_u64_e32 0x7f800000, v[2:3]
	s_xor_b32 s26, exec_lo, s10
	s_cbranch_execz .LBB6_4065
; %bb.4048:                             ;   in Loop: Header=BB6_3279 Depth=2
	v_dual_mov_b32 v3, v5 :: v_dual_lshrrev_b32 v1, 24, v0
	v_and_b32_e32 v2, 0x7fffffff, v0
                                        ; implicit-def: $vgpr52
	s_mov_b32 s10, exec_lo
	s_delay_alu instid0(VALU_DEP_2) | instskip(NEXT) | instid1(VALU_DEP_2)
	v_and_b32_e32 v27, 0x80, v1
	v_cmpx_gt_u64_e32 0x47600001, v[2:3]
	s_xor_b32 s27, exec_lo, s10
	s_cbranch_execz .LBB6_4062
; %bb.4049:                             ;   in Loop: Header=BB6_3279 Depth=2
	v_mov_b32_e32 v52, 0
	s_mov_b32 s28, exec_lo
	v_cmpx_ne_u32_e32 0, v0
	s_cbranch_execz .LBB6_4061
; %bb.4050:                             ;   in Loop: Header=BB6_3279 Depth=2
	v_bfe_u32 v29, v0, 23, 8
	v_or_b32_e32 v2, 0x800000, v4
	s_mov_b32 s29, exec_lo
	s_delay_alu instid0(VALU_DEP_2) | instskip(SKIP_1) | instid1(VALU_DEP_2)
	v_dual_mov_b32 v3, v5 :: v_dual_sub_nc_u32 v0, 0x71, v29
	v_cmp_gt_u32_e32 vcc_lo, 0x72, v29
	v_cndmask_b32_e32 v0, 0, v0, vcc_lo
	v_cmp_eq_u32_e32 vcc_lo, 0, v29
	s_delay_alu instid0(VALU_DEP_2) | instskip(NEXT) | instid1(VALU_DEP_1)
	v_cndmask_b32_e64 v33, v0, 0x70, vcc_lo
	v_dual_cndmask_b32 v2, v2, v4, vcc_lo :: v_dual_add_nc_u32 v0, 21, v33
	v_add_nc_u32_e32 v26, 20, v33
	s_delay_alu instid0(VALU_DEP_2) | instskip(NEXT) | instid1(VALU_DEP_2)
	v_lshlrev_b64_e64 v[0:1], v0, -1
	v_lshlrev_b64_e64 v[52:53], v26, 1
	s_delay_alu instid0(VALU_DEP_2) | instskip(NEXT) | instid1(VALU_DEP_3)
	v_bfi_b32 v55, v1, 0, 0
	v_bfi_b32 v54, v0, 0, v2
	v_lshrrev_b64 v[0:1], v33, v[2:3]
	s_delay_alu instid0(VALU_DEP_1) | instskip(NEXT) | instid1(VALU_DEP_3)
	v_mov_b64_e32 v[2:3], v[0:1]
	v_cmpx_eq_u64_e64 v[54:55], v[52:53]
; %bb.4051:                             ;   in Loop: Header=BB6_3279 Depth=2
	v_bfe_u32 v2, v0, 21, 1
	v_mov_b32_e32 v3, v5
	s_delay_alu instid0(VALU_DEP_1) | instskip(NEXT) | instid1(VALU_DEP_1)
	v_add_nc_u64_e32 v[2:3], v[0:1], v[2:3]
	v_add_nc_u64_e32 v[2:3], -1, v[2:3]
; %bb.4052:                             ;   in Loop: Header=BB6_3279 Depth=2
	s_or_b32 exec_lo, exec_lo, s29
	v_add_nc_u32_e32 v1, 0xffffff81, v29
	s_delay_alu instid0(VALU_DEP_2) | instskip(SKIP_2) | instid1(VALU_DEP_3)
	v_and_b32_e32 v2, 0x1fffff, v2
	v_lshrrev_b32_e32 v3, 23, v0
	s_mov_b32 s10, exec_lo
	v_cndmask_b32_e64 v1, v1, 0xffffff82, vcc_lo
	s_delay_alu instid0(VALU_DEP_3) | instskip(NEXT) | instid1(VALU_DEP_2)
	v_add_nc_u32_e32 v4, v2, v0
                                        ; implicit-def: $vgpr2
	v_add3_u32 v3, v33, v1, v3
                                        ; implicit-def: $vgpr0_vgpr1
	s_delay_alu instid0(VALU_DEP_1) | instskip(NEXT) | instid1(VALU_DEP_1)
	v_add_nc_u32_e32 v29, 14, v3
	v_cmpx_ne_u32_e32 0, v29
	s_xor_b32 s10, exec_lo, s10
; %bb.4053:                             ;   in Loop: Header=BB6_3279 Depth=2
	v_cmp_lt_u64_e32 vcc_lo, 0xffffff, v[4:5]
	v_add_nc_u32_e32 v0, 15, v3
	s_delay_alu instid0(VALU_DEP_1) | instskip(SKIP_1) | instid1(VALU_DEP_1)
	v_cndmask_b32_e32 v2, v29, v0, vcc_lo
	v_cndmask_b32_e64 v0, 0, 1, vcc_lo
	v_lshrrev_b64 v[0:1], v0, v[4:5]
; %bb.4054:                             ;   in Loop: Header=BB6_3279 Depth=2
	s_and_not1_saveexec_b32 s10, s10
; %bb.4055:                             ;   in Loop: Header=BB6_3279 Depth=2
	v_mov_b64_e32 v[0:1], v[4:5]
	v_bfe_u32 v2, v4, 23, 1
; %bb.4056:                             ;   in Loop: Header=BB6_3279 Depth=2
	s_or_b32 exec_lo, exec_lo, s10
	s_delay_alu instid0(VALU_DEP_2) | instskip(NEXT) | instid1(VALU_DEP_2)
	v_lshrrev_b64 v[0:1], 21, v[0:1]
	v_cmp_gt_i32_e32 vcc_lo, 32, v2
	v_cmp_ne_u32_e64 s10, 0, v2
                                        ; implicit-def: $vgpr52
	s_delay_alu instid0(VALU_DEP_3) | instskip(NEXT) | instid1(VALU_DEP_1)
	v_dual_cndmask_b32 v1, 0, v1 :: v_dual_cndmask_b32 v0, 3, v0
	v_cmp_ne_u64_e32 vcc_lo, 0, v[0:1]
	s_or_b32 s10, s10, vcc_lo
	s_delay_alu instid0(SALU_CYCLE_1) | instskip(NEXT) | instid1(SALU_CYCLE_1)
	s_and_saveexec_b32 s29, s10
	s_xor_b32 s10, exec_lo, s29
; %bb.4057:                             ;   in Loop: Header=BB6_3279 Depth=2
	v_min_i32_e32 v1, 31, v2
	s_delay_alu instid0(VALU_DEP_1) | instskip(NEXT) | instid1(VALU_DEP_1)
	v_lshl_or_b32 v1, v1, 2, v27
                                        ; implicit-def: $vgpr27
	v_and_or_b32 v52, v0, 3, v1
; %bb.4058:                             ;   in Loop: Header=BB6_3279 Depth=2
	s_and_not1_saveexec_b32 s10, s10
; %bb.4059:                             ;   in Loop: Header=BB6_3279 Depth=2
	v_mov_b32_e32 v52, v27
; %bb.4060:                             ;   in Loop: Header=BB6_3279 Depth=2
	s_or_b32 exec_lo, exec_lo, s10
.LBB6_4061:                             ;   in Loop: Header=BB6_3279 Depth=2
	s_delay_alu instid0(SALU_CYCLE_1)
	s_or_b32 exec_lo, exec_lo, s28
                                        ; implicit-def: $vgpr27
.LBB6_4062:                             ;   in Loop: Header=BB6_3279 Depth=2
	s_and_not1_saveexec_b32 s10, s27
; %bb.4063:                             ;   in Loop: Header=BB6_3279 Depth=2
	v_or_b32_e32 v52, 0x7b, v27
; %bb.4064:                             ;   in Loop: Header=BB6_3279 Depth=2
	s_or_b32 exec_lo, exec_lo, s10
                                        ; implicit-def: $vgpr0
.LBB6_4065:                             ;   in Loop: Header=BB6_3279 Depth=2
	s_and_not1_saveexec_b32 s10, s26
	s_cbranch_execz .LBB6_4071
; %bb.4066:                             ;   in Loop: Header=BB6_3279 Depth=2
	s_mov_b32 s26, exec_lo
                                        ; implicit-def: $vgpr52
	v_cmpx_ne_u64_e32 0, v[4:5]
	s_xor_b32 s26, exec_lo, s26
; %bb.4067:                             ;   in Loop: Header=BB6_3279 Depth=2
	v_lshrrev_b32_e32 v0, 24, v0
	s_delay_alu instid0(VALU_DEP_1)
	v_or_b32_e32 v52, 0x7f, v0
                                        ; implicit-def: $vgpr0
; %bb.4068:                             ;   in Loop: Header=BB6_3279 Depth=2
	s_and_not1_saveexec_b32 s26, s26
; %bb.4069:                             ;   in Loop: Header=BB6_3279 Depth=2
	v_cmp_lt_i32_e32 vcc_lo, -1, v0
	v_cndmask_b32_e64 v52, -4, 0x7c, vcc_lo
; %bb.4070:                             ;   in Loop: Header=BB6_3279 Depth=2
	s_or_b32 exec_lo, exec_lo, s26
.LBB6_4071:                             ;   in Loop: Header=BB6_3279 Depth=2
	s_delay_alu instid0(SALU_CYCLE_1)
	s_or_b32 exec_lo, exec_lo, s10
	v_dual_mov_b32 v0, 0 :: v_dual_mov_b32 v1, 0
	s_mov_b32 s10, exec_lo
	v_cmpx_ne_u16_e32 0, v94
	s_cbranch_execz .LBB6_4081
; %bb.4072:                             ;   in Loop: Header=BB6_3279 Depth=2
	v_bfrev_b32_e32 v1, 1
	s_mov_b32 s26, exec_lo
	v_cmpx_ne_u16_e32 0xff80, v94
	s_cbranch_execz .LBB6_4080
; %bb.4073:                             ;   in Loop: Header=BB6_3279 Depth=2
	v_and_b32_e32 v1, 0x7c, v94
	v_and_b32_e32 v2, 3, v94
	s_delay_alu instid0(VALU_DEP_2) | instskip(SKIP_1) | instid1(SALU_CYCLE_1)
	v_cmp_ne_u32_e32 vcc_lo, 0x7c, v1
                                        ; implicit-def: $vgpr1
	s_and_saveexec_b32 s27, vcc_lo
	s_xor_b32 s27, exec_lo, s27
	s_cbranch_execz .LBB6_4077
; %bb.4074:                             ;   in Loop: Header=BB6_3279 Depth=2
	v_and_b32_e32 v1, 0xff, v94
	s_mov_b32 s28, exec_lo
	s_delay_alu instid0(VALU_DEP_1) | instskip(NEXT) | instid1(VALU_DEP_1)
	v_bfe_u32 v1, v1, 2, 5
	v_cmpx_eq_u32_e32 0, v1
	s_cbranch_execz .LBB6_4076
; %bb.4075:                             ;   in Loop: Header=BB6_3279 Depth=2
	v_clz_i32_u32_e32 v1, v2
	s_delay_alu instid0(VALU_DEP_1) | instskip(SKIP_1) | instid1(VALU_DEP_2)
	v_min_u32_e32 v1, 32, v1
	v_mov_b32_e32 v95, v5
	v_subrev_nc_u32_e32 v2, 29, v1
	v_sub_nc_u32_e32 v1, 30, v1
	s_delay_alu instid0(VALU_DEP_2) | instskip(NEXT) | instid1(VALU_DEP_1)
	v_lshlrev_b64_e32 v[2:3], v2, v[94:95]
	v_and_b32_e32 v2, 3, v2
.LBB6_4076:                             ;   in Loop: Header=BB6_3279 Depth=2
	s_or_b32 exec_lo, exec_lo, s28
	v_bfe_i32 v3, v94, 0, 16
                                        ; implicit-def: $vgpr94
	s_delay_alu instid0(VALU_DEP_1) | instskip(NEXT) | instid1(VALU_DEP_1)
	v_and_b32_e32 v3, 0x80000000, v3
	v_lshl_add_u32 v1, v1, 23, v3
	s_delay_alu instid0(VALU_DEP_1) | instskip(NEXT) | instid1(VALU_DEP_1)
	v_lshl_or_b32 v1, v2, 21, v1
                                        ; implicit-def: $vgpr2
	v_add_nc_u32_e32 v1, 0x38000000, v1
.LBB6_4077:                             ;   in Loop: Header=BB6_3279 Depth=2
	s_and_not1_saveexec_b32 s27, s27
; %bb.4078:                             ;   in Loop: Header=BB6_3279 Depth=2
	v_cmp_lt_i16_e32 vcc_lo, -1, v94
	v_cndmask_b32_e32 v1, 0xff800000, v109, vcc_lo
	v_cmp_eq_u32_e32 vcc_lo, 0, v2
	s_delay_alu instid0(VALU_DEP_2)
	v_cndmask_b32_e32 v1, 0x7f800001, v1, vcc_lo
; %bb.4079:                             ;   in Loop: Header=BB6_3279 Depth=2
	s_or_b32 exec_lo, exec_lo, s27
.LBB6_4080:                             ;   in Loop: Header=BB6_3279 Depth=2
	s_delay_alu instid0(SALU_CYCLE_1)
	s_or_b32 exec_lo, exec_lo, s26
.LBB6_4081:                             ;   in Loop: Header=BB6_3279 Depth=2
	s_delay_alu instid0(SALU_CYCLE_1) | instskip(NEXT) | instid1(SALU_CYCLE_1)
	s_or_b32 exec_lo, exec_lo, s10
	s_mov_b32 s10, exec_lo
	v_cmpx_ne_u16_e32 0, v92
	s_cbranch_execz .LBB6_4091
; %bb.4082:                             ;   in Loop: Header=BB6_3279 Depth=2
	v_bfrev_b32_e32 v0, 1
	s_mov_b32 s26, exec_lo
	v_cmpx_ne_u16_e32 0xff80, v92
	s_cbranch_execz .LBB6_4090
; %bb.4083:                             ;   in Loop: Header=BB6_3279 Depth=2
	v_and_b32_e32 v0, 0x7c, v92
	v_and_b32_e32 v2, 3, v92
	s_delay_alu instid0(VALU_DEP_2) | instskip(SKIP_1) | instid1(SALU_CYCLE_1)
	v_cmp_ne_u32_e32 vcc_lo, 0x7c, v0
                                        ; implicit-def: $vgpr0
	s_and_saveexec_b32 s27, vcc_lo
	s_xor_b32 s27, exec_lo, s27
	s_cbranch_execz .LBB6_4087
; %bb.4084:                             ;   in Loop: Header=BB6_3279 Depth=2
	v_and_b32_e32 v0, 0xff, v92
	s_mov_b32 s28, exec_lo
	s_delay_alu instid0(VALU_DEP_1) | instskip(NEXT) | instid1(VALU_DEP_1)
	v_bfe_u32 v0, v0, 2, 5
	v_cmpx_eq_u32_e32 0, v0
	s_cbranch_execz .LBB6_4086
; %bb.4085:                             ;   in Loop: Header=BB6_3279 Depth=2
	v_clz_i32_u32_e32 v0, v2
	s_delay_alu instid0(VALU_DEP_1) | instskip(SKIP_1) | instid1(VALU_DEP_2)
	v_min_u32_e32 v0, 32, v0
	v_mov_b32_e32 v93, v5
	v_subrev_nc_u32_e32 v2, 29, v0
	v_sub_nc_u32_e32 v0, 30, v0
	s_delay_alu instid0(VALU_DEP_2) | instskip(NEXT) | instid1(VALU_DEP_1)
	v_lshlrev_b64_e32 v[2:3], v2, v[92:93]
	v_and_b32_e32 v2, 3, v2
.LBB6_4086:                             ;   in Loop: Header=BB6_3279 Depth=2
	s_or_b32 exec_lo, exec_lo, s28
	v_bfe_i32 v3, v92, 0, 16
                                        ; implicit-def: $vgpr92
	s_delay_alu instid0(VALU_DEP_1) | instskip(NEXT) | instid1(VALU_DEP_1)
	v_and_b32_e32 v3, 0x80000000, v3
	v_lshl_add_u32 v0, v0, 23, v3
	s_delay_alu instid0(VALU_DEP_1) | instskip(NEXT) | instid1(VALU_DEP_1)
	v_lshl_or_b32 v0, v2, 21, v0
                                        ; implicit-def: $vgpr2
	v_add_nc_u32_e32 v0, 0x38000000, v0
.LBB6_4087:                             ;   in Loop: Header=BB6_3279 Depth=2
	s_and_not1_saveexec_b32 s27, s27
; %bb.4088:                             ;   in Loop: Header=BB6_3279 Depth=2
	v_cmp_lt_i16_e32 vcc_lo, -1, v92
	v_cndmask_b32_e32 v0, 0xff800000, v109, vcc_lo
	v_cmp_eq_u32_e32 vcc_lo, 0, v2
	s_delay_alu instid0(VALU_DEP_2)
	v_cndmask_b32_e32 v0, 0x7f800001, v0, vcc_lo
; %bb.4089:                             ;   in Loop: Header=BB6_3279 Depth=2
	s_or_b32 exec_lo, exec_lo, s27
.LBB6_4090:                             ;   in Loop: Header=BB6_3279 Depth=2
	s_delay_alu instid0(SALU_CYCLE_1)
	s_or_b32 exec_lo, exec_lo, s26
.LBB6_4091:                             ;   in Loop: Header=BB6_3279 Depth=2
	s_delay_alu instid0(SALU_CYCLE_1) | instskip(NEXT) | instid1(VALU_DEP_1)
	s_or_b32 exec_lo, exec_lo, s10
	v_mul_f32_e32 v0, v1, v0
	v_mov_b32_e32 v3, v5
                                        ; implicit-def: $vgpr53
	s_mov_b32 s10, exec_lo
	s_delay_alu instid0(VALU_DEP_2) | instskip(SKIP_1) | instid1(VALU_DEP_2)
	v_and_b32_e32 v2, 0x7f800000, v0
	v_and_b32_e32 v4, 0x7fffff, v0
	v_cmpx_ne_u64_e32 0x7f800000, v[2:3]
	s_xor_b32 s26, exec_lo, s10
	s_cbranch_execz .LBB6_4109
; %bb.4092:                             ;   in Loop: Header=BB6_3279 Depth=2
	v_dual_mov_b32 v3, v5 :: v_dual_lshrrev_b32 v1, 24, v0
	v_and_b32_e32 v2, 0x7fffffff, v0
                                        ; implicit-def: $vgpr53
	s_mov_b32 s10, exec_lo
	s_delay_alu instid0(VALU_DEP_2) | instskip(NEXT) | instid1(VALU_DEP_2)
	v_and_b32_e32 v27, 0x80, v1
	v_cmpx_gt_u64_e32 0x47600001, v[2:3]
	s_xor_b32 s27, exec_lo, s10
	s_cbranch_execz .LBB6_4106
; %bb.4093:                             ;   in Loop: Header=BB6_3279 Depth=2
	v_mov_b32_e32 v53, 0
	s_mov_b32 s28, exec_lo
	v_cmpx_ne_u32_e32 0, v0
	s_cbranch_execz .LBB6_4105
; %bb.4094:                             ;   in Loop: Header=BB6_3279 Depth=2
	v_bfe_u32 v29, v0, 23, 8
	v_or_b32_e32 v2, 0x800000, v4
	s_mov_b32 s29, exec_lo
	s_delay_alu instid0(VALU_DEP_2) | instskip(SKIP_1) | instid1(VALU_DEP_2)
	v_dual_mov_b32 v3, v5 :: v_dual_sub_nc_u32 v0, 0x71, v29
	v_cmp_gt_u32_e32 vcc_lo, 0x72, v29
	v_cndmask_b32_e32 v0, 0, v0, vcc_lo
	v_cmp_eq_u32_e32 vcc_lo, 0, v29
	s_delay_alu instid0(VALU_DEP_2) | instskip(NEXT) | instid1(VALU_DEP_1)
	v_cndmask_b32_e64 v33, v0, 0x70, vcc_lo
	v_dual_cndmask_b32 v2, v2, v4, vcc_lo :: v_dual_add_nc_u32 v0, 21, v33
	v_add_nc_u32_e32 v26, 20, v33
	s_delay_alu instid0(VALU_DEP_2) | instskip(NEXT) | instid1(VALU_DEP_2)
	v_lshlrev_b64_e64 v[0:1], v0, -1
	v_lshlrev_b64_e64 v[54:55], v26, 1
	s_delay_alu instid0(VALU_DEP_2) | instskip(NEXT) | instid1(VALU_DEP_3)
	v_bfi_b32 v65, v1, 0, 0
	v_bfi_b32 v64, v0, 0, v2
	v_lshrrev_b64 v[0:1], v33, v[2:3]
	s_delay_alu instid0(VALU_DEP_1) | instskip(NEXT) | instid1(VALU_DEP_3)
	v_mov_b64_e32 v[2:3], v[0:1]
	v_cmpx_eq_u64_e64 v[64:65], v[54:55]
; %bb.4095:                             ;   in Loop: Header=BB6_3279 Depth=2
	v_bfe_u32 v2, v0, 21, 1
	v_mov_b32_e32 v3, v5
	s_delay_alu instid0(VALU_DEP_1) | instskip(NEXT) | instid1(VALU_DEP_1)
	v_add_nc_u64_e32 v[2:3], v[0:1], v[2:3]
	v_add_nc_u64_e32 v[2:3], -1, v[2:3]
; %bb.4096:                             ;   in Loop: Header=BB6_3279 Depth=2
	s_or_b32 exec_lo, exec_lo, s29
	v_add_nc_u32_e32 v1, 0xffffff81, v29
	s_delay_alu instid0(VALU_DEP_2) | instskip(SKIP_2) | instid1(VALU_DEP_3)
	v_and_b32_e32 v2, 0x1fffff, v2
	v_lshrrev_b32_e32 v3, 23, v0
	s_mov_b32 s10, exec_lo
	v_cndmask_b32_e64 v1, v1, 0xffffff82, vcc_lo
	s_delay_alu instid0(VALU_DEP_3) | instskip(NEXT) | instid1(VALU_DEP_2)
	v_add_nc_u32_e32 v4, v2, v0
                                        ; implicit-def: $vgpr2
	v_add3_u32 v3, v33, v1, v3
                                        ; implicit-def: $vgpr0_vgpr1
	s_delay_alu instid0(VALU_DEP_1) | instskip(NEXT) | instid1(VALU_DEP_1)
	v_add_nc_u32_e32 v29, 14, v3
	v_cmpx_ne_u32_e32 0, v29
	s_xor_b32 s10, exec_lo, s10
; %bb.4097:                             ;   in Loop: Header=BB6_3279 Depth=2
	v_cmp_lt_u64_e32 vcc_lo, 0xffffff, v[4:5]
	v_add_nc_u32_e32 v0, 15, v3
	s_delay_alu instid0(VALU_DEP_1) | instskip(SKIP_1) | instid1(VALU_DEP_1)
	v_cndmask_b32_e32 v2, v29, v0, vcc_lo
	v_cndmask_b32_e64 v0, 0, 1, vcc_lo
	v_lshrrev_b64 v[0:1], v0, v[4:5]
; %bb.4098:                             ;   in Loop: Header=BB6_3279 Depth=2
	s_and_not1_saveexec_b32 s10, s10
; %bb.4099:                             ;   in Loop: Header=BB6_3279 Depth=2
	v_mov_b64_e32 v[0:1], v[4:5]
	v_bfe_u32 v2, v4, 23, 1
; %bb.4100:                             ;   in Loop: Header=BB6_3279 Depth=2
	s_or_b32 exec_lo, exec_lo, s10
	s_delay_alu instid0(VALU_DEP_2) | instskip(NEXT) | instid1(VALU_DEP_2)
	v_lshrrev_b64 v[0:1], 21, v[0:1]
	v_cmp_gt_i32_e32 vcc_lo, 32, v2
	v_cmp_ne_u32_e64 s10, 0, v2
                                        ; implicit-def: $vgpr53
	s_delay_alu instid0(VALU_DEP_3) | instskip(NEXT) | instid1(VALU_DEP_1)
	v_dual_cndmask_b32 v1, 0, v1 :: v_dual_cndmask_b32 v0, 3, v0
	v_cmp_ne_u64_e32 vcc_lo, 0, v[0:1]
	s_or_b32 s10, s10, vcc_lo
	s_delay_alu instid0(SALU_CYCLE_1) | instskip(NEXT) | instid1(SALU_CYCLE_1)
	s_and_saveexec_b32 s29, s10
	s_xor_b32 s10, exec_lo, s29
; %bb.4101:                             ;   in Loop: Header=BB6_3279 Depth=2
	v_min_i32_e32 v1, 31, v2
	s_delay_alu instid0(VALU_DEP_1) | instskip(NEXT) | instid1(VALU_DEP_1)
	v_lshl_or_b32 v1, v1, 2, v27
                                        ; implicit-def: $vgpr27
	v_and_or_b32 v53, v0, 3, v1
; %bb.4102:                             ;   in Loop: Header=BB6_3279 Depth=2
	s_and_not1_saveexec_b32 s10, s10
; %bb.4103:                             ;   in Loop: Header=BB6_3279 Depth=2
	v_mov_b32_e32 v53, v27
; %bb.4104:                             ;   in Loop: Header=BB6_3279 Depth=2
	s_or_b32 exec_lo, exec_lo, s10
.LBB6_4105:                             ;   in Loop: Header=BB6_3279 Depth=2
	s_delay_alu instid0(SALU_CYCLE_1)
	s_or_b32 exec_lo, exec_lo, s28
                                        ; implicit-def: $vgpr27
.LBB6_4106:                             ;   in Loop: Header=BB6_3279 Depth=2
	s_and_not1_saveexec_b32 s10, s27
; %bb.4107:                             ;   in Loop: Header=BB6_3279 Depth=2
	v_or_b32_e32 v53, 0x7b, v27
; %bb.4108:                             ;   in Loop: Header=BB6_3279 Depth=2
	s_or_b32 exec_lo, exec_lo, s10
                                        ; implicit-def: $vgpr0
.LBB6_4109:                             ;   in Loop: Header=BB6_3279 Depth=2
	s_and_not1_saveexec_b32 s10, s26
	s_cbranch_execz .LBB6_4115
; %bb.4110:                             ;   in Loop: Header=BB6_3279 Depth=2
	s_mov_b32 s26, exec_lo
                                        ; implicit-def: $vgpr53
	v_cmpx_ne_u64_e32 0, v[4:5]
	s_xor_b32 s26, exec_lo, s26
; %bb.4111:                             ;   in Loop: Header=BB6_3279 Depth=2
	v_lshrrev_b32_e32 v0, 24, v0
	s_delay_alu instid0(VALU_DEP_1)
	v_or_b32_e32 v53, 0x7f, v0
                                        ; implicit-def: $vgpr0
; %bb.4112:                             ;   in Loop: Header=BB6_3279 Depth=2
	s_and_not1_saveexec_b32 s26, s26
; %bb.4113:                             ;   in Loop: Header=BB6_3279 Depth=2
	v_cmp_lt_i32_e32 vcc_lo, -1, v0
	v_cndmask_b32_e64 v53, -4, 0x7c, vcc_lo
; %bb.4114:                             ;   in Loop: Header=BB6_3279 Depth=2
	s_or_b32 exec_lo, exec_lo, s26
.LBB6_4115:                             ;   in Loop: Header=BB6_3279 Depth=2
	s_delay_alu instid0(SALU_CYCLE_1)
	s_or_b32 exec_lo, exec_lo, s10
	v_dual_mov_b32 v0, 0 :: v_dual_mov_b32 v1, 0
	s_mov_b32 s10, exec_lo
	v_cmpx_ne_u16_e32 0, v90
	s_cbranch_execz .LBB6_4125
; %bb.4116:                             ;   in Loop: Header=BB6_3279 Depth=2
	v_bfrev_b32_e32 v1, 1
	s_mov_b32 s26, exec_lo
	v_cmpx_ne_u16_e32 0xff80, v90
	s_cbranch_execz .LBB6_4124
; %bb.4117:                             ;   in Loop: Header=BB6_3279 Depth=2
	v_and_b32_e32 v1, 0x7c, v90
	v_and_b32_e32 v2, 3, v90
	s_delay_alu instid0(VALU_DEP_2) | instskip(SKIP_1) | instid1(SALU_CYCLE_1)
	v_cmp_ne_u32_e32 vcc_lo, 0x7c, v1
                                        ; implicit-def: $vgpr1
	s_and_saveexec_b32 s27, vcc_lo
	s_xor_b32 s27, exec_lo, s27
	s_cbranch_execz .LBB6_4121
; %bb.4118:                             ;   in Loop: Header=BB6_3279 Depth=2
	v_and_b32_e32 v1, 0xff, v90
	s_mov_b32 s28, exec_lo
	s_delay_alu instid0(VALU_DEP_1) | instskip(NEXT) | instid1(VALU_DEP_1)
	v_bfe_u32 v1, v1, 2, 5
	v_cmpx_eq_u32_e32 0, v1
	s_cbranch_execz .LBB6_4120
; %bb.4119:                             ;   in Loop: Header=BB6_3279 Depth=2
	v_clz_i32_u32_e32 v1, v2
	s_delay_alu instid0(VALU_DEP_1) | instskip(SKIP_1) | instid1(VALU_DEP_2)
	v_min_u32_e32 v1, 32, v1
	v_mov_b32_e32 v91, v5
	v_subrev_nc_u32_e32 v2, 29, v1
	v_sub_nc_u32_e32 v1, 30, v1
	s_delay_alu instid0(VALU_DEP_2) | instskip(NEXT) | instid1(VALU_DEP_1)
	v_lshlrev_b64_e32 v[2:3], v2, v[90:91]
	v_and_b32_e32 v2, 3, v2
.LBB6_4120:                             ;   in Loop: Header=BB6_3279 Depth=2
	s_or_b32 exec_lo, exec_lo, s28
	v_bfe_i32 v3, v90, 0, 16
                                        ; implicit-def: $vgpr90
	s_delay_alu instid0(VALU_DEP_1) | instskip(NEXT) | instid1(VALU_DEP_1)
	v_and_b32_e32 v3, 0x80000000, v3
	v_lshl_add_u32 v1, v1, 23, v3
	s_delay_alu instid0(VALU_DEP_1) | instskip(NEXT) | instid1(VALU_DEP_1)
	v_lshl_or_b32 v1, v2, 21, v1
                                        ; implicit-def: $vgpr2
	v_add_nc_u32_e32 v1, 0x38000000, v1
.LBB6_4121:                             ;   in Loop: Header=BB6_3279 Depth=2
	s_and_not1_saveexec_b32 s27, s27
; %bb.4122:                             ;   in Loop: Header=BB6_3279 Depth=2
	v_cmp_lt_i16_e32 vcc_lo, -1, v90
	v_cndmask_b32_e32 v1, 0xff800000, v109, vcc_lo
	v_cmp_eq_u32_e32 vcc_lo, 0, v2
	s_delay_alu instid0(VALU_DEP_2)
	v_cndmask_b32_e32 v1, 0x7f800001, v1, vcc_lo
; %bb.4123:                             ;   in Loop: Header=BB6_3279 Depth=2
	s_or_b32 exec_lo, exec_lo, s27
.LBB6_4124:                             ;   in Loop: Header=BB6_3279 Depth=2
	s_delay_alu instid0(SALU_CYCLE_1)
	s_or_b32 exec_lo, exec_lo, s26
.LBB6_4125:                             ;   in Loop: Header=BB6_3279 Depth=2
	s_delay_alu instid0(SALU_CYCLE_1) | instskip(NEXT) | instid1(SALU_CYCLE_1)
	s_or_b32 exec_lo, exec_lo, s10
	s_mov_b32 s10, exec_lo
	v_cmpx_ne_u16_e32 0, v88
	s_cbranch_execz .LBB6_4135
; %bb.4126:                             ;   in Loop: Header=BB6_3279 Depth=2
	v_bfrev_b32_e32 v0, 1
	s_mov_b32 s26, exec_lo
	v_cmpx_ne_u16_e32 0xff80, v88
	s_cbranch_execz .LBB6_4134
; %bb.4127:                             ;   in Loop: Header=BB6_3279 Depth=2
	v_and_b32_e32 v0, 0x7c, v88
	v_and_b32_e32 v2, 3, v88
	s_delay_alu instid0(VALU_DEP_2) | instskip(SKIP_1) | instid1(SALU_CYCLE_1)
	v_cmp_ne_u32_e32 vcc_lo, 0x7c, v0
                                        ; implicit-def: $vgpr0
	s_and_saveexec_b32 s27, vcc_lo
	s_xor_b32 s27, exec_lo, s27
	s_cbranch_execz .LBB6_4131
; %bb.4128:                             ;   in Loop: Header=BB6_3279 Depth=2
	v_and_b32_e32 v0, 0xff, v88
	s_mov_b32 s28, exec_lo
	s_delay_alu instid0(VALU_DEP_1) | instskip(NEXT) | instid1(VALU_DEP_1)
	v_bfe_u32 v0, v0, 2, 5
	v_cmpx_eq_u32_e32 0, v0
	s_cbranch_execz .LBB6_4130
; %bb.4129:                             ;   in Loop: Header=BB6_3279 Depth=2
	v_clz_i32_u32_e32 v0, v2
	s_delay_alu instid0(VALU_DEP_1) | instskip(SKIP_1) | instid1(VALU_DEP_2)
	v_min_u32_e32 v0, 32, v0
	v_mov_b32_e32 v89, v5
	v_subrev_nc_u32_e32 v2, 29, v0
	v_sub_nc_u32_e32 v0, 30, v0
	s_delay_alu instid0(VALU_DEP_2) | instskip(NEXT) | instid1(VALU_DEP_1)
	v_lshlrev_b64_e32 v[2:3], v2, v[88:89]
	v_and_b32_e32 v2, 3, v2
.LBB6_4130:                             ;   in Loop: Header=BB6_3279 Depth=2
	s_or_b32 exec_lo, exec_lo, s28
	v_bfe_i32 v3, v88, 0, 16
                                        ; implicit-def: $vgpr88
	s_delay_alu instid0(VALU_DEP_1) | instskip(NEXT) | instid1(VALU_DEP_1)
	v_and_b32_e32 v3, 0x80000000, v3
	v_lshl_add_u32 v0, v0, 23, v3
	s_delay_alu instid0(VALU_DEP_1) | instskip(NEXT) | instid1(VALU_DEP_1)
	v_lshl_or_b32 v0, v2, 21, v0
                                        ; implicit-def: $vgpr2
	v_add_nc_u32_e32 v0, 0x38000000, v0
.LBB6_4131:                             ;   in Loop: Header=BB6_3279 Depth=2
	s_and_not1_saveexec_b32 s27, s27
; %bb.4132:                             ;   in Loop: Header=BB6_3279 Depth=2
	v_cmp_lt_i16_e32 vcc_lo, -1, v88
	v_cndmask_b32_e32 v0, 0xff800000, v109, vcc_lo
	v_cmp_eq_u32_e32 vcc_lo, 0, v2
	s_delay_alu instid0(VALU_DEP_2)
	v_cndmask_b32_e32 v0, 0x7f800001, v0, vcc_lo
; %bb.4133:                             ;   in Loop: Header=BB6_3279 Depth=2
	s_or_b32 exec_lo, exec_lo, s27
.LBB6_4134:                             ;   in Loop: Header=BB6_3279 Depth=2
	s_delay_alu instid0(SALU_CYCLE_1)
	s_or_b32 exec_lo, exec_lo, s26
.LBB6_4135:                             ;   in Loop: Header=BB6_3279 Depth=2
	s_delay_alu instid0(SALU_CYCLE_1) | instskip(NEXT) | instid1(VALU_DEP_1)
	s_or_b32 exec_lo, exec_lo, s10
	v_mul_f32_e32 v0, v1, v0
	v_mov_b32_e32 v3, v5
                                        ; implicit-def: $vgpr54
	s_mov_b32 s10, exec_lo
	s_delay_alu instid0(VALU_DEP_2) | instskip(SKIP_1) | instid1(VALU_DEP_2)
	v_and_b32_e32 v2, 0x7f800000, v0
	v_and_b32_e32 v4, 0x7fffff, v0
	v_cmpx_ne_u64_e32 0x7f800000, v[2:3]
	s_xor_b32 s26, exec_lo, s10
	s_cbranch_execz .LBB6_4153
; %bb.4136:                             ;   in Loop: Header=BB6_3279 Depth=2
	v_dual_mov_b32 v3, v5 :: v_dual_lshrrev_b32 v1, 24, v0
	v_and_b32_e32 v2, 0x7fffffff, v0
                                        ; implicit-def: $vgpr54
	s_mov_b32 s10, exec_lo
	s_delay_alu instid0(VALU_DEP_2) | instskip(NEXT) | instid1(VALU_DEP_2)
	v_and_b32_e32 v27, 0x80, v1
	v_cmpx_gt_u64_e32 0x47600001, v[2:3]
	s_xor_b32 s27, exec_lo, s10
	s_cbranch_execz .LBB6_4150
; %bb.4137:                             ;   in Loop: Header=BB6_3279 Depth=2
	v_mov_b32_e32 v54, 0
	s_mov_b32 s28, exec_lo
	v_cmpx_ne_u32_e32 0, v0
	s_cbranch_execz .LBB6_4149
; %bb.4138:                             ;   in Loop: Header=BB6_3279 Depth=2
	v_bfe_u32 v29, v0, 23, 8
	v_or_b32_e32 v2, 0x800000, v4
	s_mov_b32 s29, exec_lo
	s_delay_alu instid0(VALU_DEP_2) | instskip(SKIP_1) | instid1(VALU_DEP_2)
	v_dual_mov_b32 v3, v5 :: v_dual_sub_nc_u32 v0, 0x71, v29
	v_cmp_gt_u32_e32 vcc_lo, 0x72, v29
	v_cndmask_b32_e32 v0, 0, v0, vcc_lo
	v_cmp_eq_u32_e32 vcc_lo, 0, v29
	s_delay_alu instid0(VALU_DEP_2) | instskip(NEXT) | instid1(VALU_DEP_1)
	v_cndmask_b32_e64 v33, v0, 0x70, vcc_lo
	v_dual_cndmask_b32 v2, v2, v4, vcc_lo :: v_dual_add_nc_u32 v0, 21, v33
	v_add_nc_u32_e32 v26, 20, v33
	s_delay_alu instid0(VALU_DEP_2) | instskip(NEXT) | instid1(VALU_DEP_2)
	v_lshlrev_b64_e64 v[0:1], v0, -1
	v_lshlrev_b64_e64 v[54:55], v26, 1
	s_delay_alu instid0(VALU_DEP_2) | instskip(NEXT) | instid1(VALU_DEP_3)
	v_bfi_b32 v65, v1, 0, 0
	v_bfi_b32 v64, v0, 0, v2
	v_lshrrev_b64 v[0:1], v33, v[2:3]
	s_delay_alu instid0(VALU_DEP_1) | instskip(NEXT) | instid1(VALU_DEP_3)
	v_mov_b64_e32 v[2:3], v[0:1]
	v_cmpx_eq_u64_e64 v[64:65], v[54:55]
; %bb.4139:                             ;   in Loop: Header=BB6_3279 Depth=2
	v_bfe_u32 v2, v0, 21, 1
	v_mov_b32_e32 v3, v5
	s_delay_alu instid0(VALU_DEP_1) | instskip(NEXT) | instid1(VALU_DEP_1)
	v_add_nc_u64_e32 v[2:3], v[0:1], v[2:3]
	v_add_nc_u64_e32 v[2:3], -1, v[2:3]
; %bb.4140:                             ;   in Loop: Header=BB6_3279 Depth=2
	s_or_b32 exec_lo, exec_lo, s29
	v_add_nc_u32_e32 v1, 0xffffff81, v29
	s_delay_alu instid0(VALU_DEP_2) | instskip(SKIP_2) | instid1(VALU_DEP_3)
	v_and_b32_e32 v2, 0x1fffff, v2
	v_lshrrev_b32_e32 v3, 23, v0
	s_mov_b32 s10, exec_lo
	v_cndmask_b32_e64 v1, v1, 0xffffff82, vcc_lo
	s_delay_alu instid0(VALU_DEP_3) | instskip(NEXT) | instid1(VALU_DEP_2)
	v_add_nc_u32_e32 v4, v2, v0
                                        ; implicit-def: $vgpr2
	v_add3_u32 v3, v33, v1, v3
                                        ; implicit-def: $vgpr0_vgpr1
	s_delay_alu instid0(VALU_DEP_1) | instskip(NEXT) | instid1(VALU_DEP_1)
	v_add_nc_u32_e32 v29, 14, v3
	v_cmpx_ne_u32_e32 0, v29
	s_xor_b32 s10, exec_lo, s10
; %bb.4141:                             ;   in Loop: Header=BB6_3279 Depth=2
	v_cmp_lt_u64_e32 vcc_lo, 0xffffff, v[4:5]
	v_add_nc_u32_e32 v0, 15, v3
	s_delay_alu instid0(VALU_DEP_1) | instskip(SKIP_1) | instid1(VALU_DEP_1)
	v_cndmask_b32_e32 v2, v29, v0, vcc_lo
	v_cndmask_b32_e64 v0, 0, 1, vcc_lo
	v_lshrrev_b64 v[0:1], v0, v[4:5]
; %bb.4142:                             ;   in Loop: Header=BB6_3279 Depth=2
	s_and_not1_saveexec_b32 s10, s10
; %bb.4143:                             ;   in Loop: Header=BB6_3279 Depth=2
	v_mov_b64_e32 v[0:1], v[4:5]
	v_bfe_u32 v2, v4, 23, 1
; %bb.4144:                             ;   in Loop: Header=BB6_3279 Depth=2
	s_or_b32 exec_lo, exec_lo, s10
	s_delay_alu instid0(VALU_DEP_2) | instskip(NEXT) | instid1(VALU_DEP_2)
	v_lshrrev_b64 v[0:1], 21, v[0:1]
	v_cmp_gt_i32_e32 vcc_lo, 32, v2
	v_cmp_ne_u32_e64 s10, 0, v2
                                        ; implicit-def: $vgpr54
	s_delay_alu instid0(VALU_DEP_3) | instskip(NEXT) | instid1(VALU_DEP_1)
	v_dual_cndmask_b32 v1, 0, v1 :: v_dual_cndmask_b32 v0, 3, v0
	v_cmp_ne_u64_e32 vcc_lo, 0, v[0:1]
	s_or_b32 s10, s10, vcc_lo
	s_delay_alu instid0(SALU_CYCLE_1) | instskip(NEXT) | instid1(SALU_CYCLE_1)
	s_and_saveexec_b32 s29, s10
	s_xor_b32 s10, exec_lo, s29
; %bb.4145:                             ;   in Loop: Header=BB6_3279 Depth=2
	v_min_i32_e32 v1, 31, v2
	s_delay_alu instid0(VALU_DEP_1) | instskip(NEXT) | instid1(VALU_DEP_1)
	v_lshl_or_b32 v1, v1, 2, v27
                                        ; implicit-def: $vgpr27
	v_and_or_b32 v54, v0, 3, v1
; %bb.4146:                             ;   in Loop: Header=BB6_3279 Depth=2
	s_and_not1_saveexec_b32 s10, s10
; %bb.4147:                             ;   in Loop: Header=BB6_3279 Depth=2
	v_mov_b32_e32 v54, v27
; %bb.4148:                             ;   in Loop: Header=BB6_3279 Depth=2
	s_or_b32 exec_lo, exec_lo, s10
.LBB6_4149:                             ;   in Loop: Header=BB6_3279 Depth=2
	s_delay_alu instid0(SALU_CYCLE_1)
	s_or_b32 exec_lo, exec_lo, s28
                                        ; implicit-def: $vgpr27
.LBB6_4150:                             ;   in Loop: Header=BB6_3279 Depth=2
	s_and_not1_saveexec_b32 s10, s27
; %bb.4151:                             ;   in Loop: Header=BB6_3279 Depth=2
	v_or_b32_e32 v54, 0x7b, v27
; %bb.4152:                             ;   in Loop: Header=BB6_3279 Depth=2
	s_or_b32 exec_lo, exec_lo, s10
                                        ; implicit-def: $vgpr0
.LBB6_4153:                             ;   in Loop: Header=BB6_3279 Depth=2
	s_and_not1_saveexec_b32 s10, s26
	s_cbranch_execz .LBB6_4159
; %bb.4154:                             ;   in Loop: Header=BB6_3279 Depth=2
	s_mov_b32 s26, exec_lo
                                        ; implicit-def: $vgpr54
	v_cmpx_ne_u64_e32 0, v[4:5]
	s_xor_b32 s26, exec_lo, s26
; %bb.4155:                             ;   in Loop: Header=BB6_3279 Depth=2
	v_lshrrev_b32_e32 v0, 24, v0
	s_delay_alu instid0(VALU_DEP_1)
	v_or_b32_e32 v54, 0x7f, v0
                                        ; implicit-def: $vgpr0
; %bb.4156:                             ;   in Loop: Header=BB6_3279 Depth=2
	s_and_not1_saveexec_b32 s26, s26
; %bb.4157:                             ;   in Loop: Header=BB6_3279 Depth=2
	v_cmp_lt_i32_e32 vcc_lo, -1, v0
	v_cndmask_b32_e64 v54, -4, 0x7c, vcc_lo
; %bb.4158:                             ;   in Loop: Header=BB6_3279 Depth=2
	s_or_b32 exec_lo, exec_lo, s26
.LBB6_4159:                             ;   in Loop: Header=BB6_3279 Depth=2
	s_delay_alu instid0(SALU_CYCLE_1)
	s_or_b32 exec_lo, exec_lo, s10
	v_dual_mov_b32 v0, 0 :: v_dual_mov_b32 v1, 0
	s_mov_b32 s10, exec_lo
	v_cmpx_ne_u16_e32 0, v78
	s_cbranch_execz .LBB6_4169
; %bb.4160:                             ;   in Loop: Header=BB6_3279 Depth=2
	v_bfrev_b32_e32 v1, 1
	s_mov_b32 s26, exec_lo
	v_cmpx_ne_u16_e32 0xff80, v78
	s_cbranch_execz .LBB6_4168
; %bb.4161:                             ;   in Loop: Header=BB6_3279 Depth=2
	v_and_b32_e32 v1, 0x7c, v78
	v_and_b32_e32 v2, 3, v78
	s_delay_alu instid0(VALU_DEP_2) | instskip(SKIP_1) | instid1(SALU_CYCLE_1)
	v_cmp_ne_u32_e32 vcc_lo, 0x7c, v1
                                        ; implicit-def: $vgpr1
	s_and_saveexec_b32 s27, vcc_lo
	s_xor_b32 s27, exec_lo, s27
	s_cbranch_execz .LBB6_4165
; %bb.4162:                             ;   in Loop: Header=BB6_3279 Depth=2
	v_and_b32_e32 v1, 0xff, v78
	s_mov_b32 s28, exec_lo
	s_delay_alu instid0(VALU_DEP_1) | instskip(NEXT) | instid1(VALU_DEP_1)
	v_bfe_u32 v1, v1, 2, 5
	v_cmpx_eq_u32_e32 0, v1
	s_cbranch_execz .LBB6_4164
; %bb.4163:                             ;   in Loop: Header=BB6_3279 Depth=2
	v_clz_i32_u32_e32 v1, v2
	s_delay_alu instid0(VALU_DEP_1) | instskip(SKIP_1) | instid1(VALU_DEP_2)
	v_min_u32_e32 v1, 32, v1
	v_mov_b32_e32 v79, v5
	v_subrev_nc_u32_e32 v2, 29, v1
	v_sub_nc_u32_e32 v1, 30, v1
	s_delay_alu instid0(VALU_DEP_2) | instskip(NEXT) | instid1(VALU_DEP_1)
	v_lshlrev_b64_e32 v[2:3], v2, v[78:79]
	v_and_b32_e32 v2, 3, v2
.LBB6_4164:                             ;   in Loop: Header=BB6_3279 Depth=2
	s_or_b32 exec_lo, exec_lo, s28
	v_bfe_i32 v3, v78, 0, 16
                                        ; implicit-def: $vgpr78
	s_delay_alu instid0(VALU_DEP_1) | instskip(NEXT) | instid1(VALU_DEP_1)
	v_and_b32_e32 v3, 0x80000000, v3
	v_lshl_add_u32 v1, v1, 23, v3
	s_delay_alu instid0(VALU_DEP_1) | instskip(NEXT) | instid1(VALU_DEP_1)
	v_lshl_or_b32 v1, v2, 21, v1
                                        ; implicit-def: $vgpr2
	v_add_nc_u32_e32 v1, 0x38000000, v1
.LBB6_4165:                             ;   in Loop: Header=BB6_3279 Depth=2
	s_and_not1_saveexec_b32 s27, s27
; %bb.4166:                             ;   in Loop: Header=BB6_3279 Depth=2
	v_cmp_lt_i16_e32 vcc_lo, -1, v78
	v_cndmask_b32_e32 v1, 0xff800000, v109, vcc_lo
	v_cmp_eq_u32_e32 vcc_lo, 0, v2
	s_delay_alu instid0(VALU_DEP_2)
	v_cndmask_b32_e32 v1, 0x7f800001, v1, vcc_lo
; %bb.4167:                             ;   in Loop: Header=BB6_3279 Depth=2
	s_or_b32 exec_lo, exec_lo, s27
.LBB6_4168:                             ;   in Loop: Header=BB6_3279 Depth=2
	s_delay_alu instid0(SALU_CYCLE_1)
	s_or_b32 exec_lo, exec_lo, s26
.LBB6_4169:                             ;   in Loop: Header=BB6_3279 Depth=2
	s_delay_alu instid0(SALU_CYCLE_1) | instskip(NEXT) | instid1(SALU_CYCLE_1)
	s_or_b32 exec_lo, exec_lo, s10
	s_mov_b32 s10, exec_lo
	v_cmpx_ne_u16_e32 0, v76
	s_cbranch_execz .LBB6_4179
; %bb.4170:                             ;   in Loop: Header=BB6_3279 Depth=2
	v_bfrev_b32_e32 v0, 1
	s_mov_b32 s26, exec_lo
	v_cmpx_ne_u16_e32 0xff80, v76
	s_cbranch_execz .LBB6_4178
; %bb.4171:                             ;   in Loop: Header=BB6_3279 Depth=2
	v_and_b32_e32 v0, 0x7c, v76
	v_and_b32_e32 v2, 3, v76
	s_delay_alu instid0(VALU_DEP_2) | instskip(SKIP_1) | instid1(SALU_CYCLE_1)
	v_cmp_ne_u32_e32 vcc_lo, 0x7c, v0
                                        ; implicit-def: $vgpr0
	s_and_saveexec_b32 s27, vcc_lo
	s_xor_b32 s27, exec_lo, s27
	s_cbranch_execz .LBB6_4175
; %bb.4172:                             ;   in Loop: Header=BB6_3279 Depth=2
	v_and_b32_e32 v0, 0xff, v76
	s_mov_b32 s28, exec_lo
	s_delay_alu instid0(VALU_DEP_1) | instskip(NEXT) | instid1(VALU_DEP_1)
	v_bfe_u32 v0, v0, 2, 5
	v_cmpx_eq_u32_e32 0, v0
	s_cbranch_execz .LBB6_4174
; %bb.4173:                             ;   in Loop: Header=BB6_3279 Depth=2
	v_clz_i32_u32_e32 v0, v2
	s_delay_alu instid0(VALU_DEP_1) | instskip(SKIP_1) | instid1(VALU_DEP_2)
	v_min_u32_e32 v0, 32, v0
	v_mov_b32_e32 v77, v5
	v_subrev_nc_u32_e32 v2, 29, v0
	v_sub_nc_u32_e32 v0, 30, v0
	s_delay_alu instid0(VALU_DEP_2) | instskip(NEXT) | instid1(VALU_DEP_1)
	v_lshlrev_b64_e32 v[2:3], v2, v[76:77]
	v_and_b32_e32 v2, 3, v2
.LBB6_4174:                             ;   in Loop: Header=BB6_3279 Depth=2
	s_or_b32 exec_lo, exec_lo, s28
	v_bfe_i32 v3, v76, 0, 16
                                        ; implicit-def: $vgpr76
	s_delay_alu instid0(VALU_DEP_1) | instskip(NEXT) | instid1(VALU_DEP_1)
	v_and_b32_e32 v3, 0x80000000, v3
	v_lshl_add_u32 v0, v0, 23, v3
	s_delay_alu instid0(VALU_DEP_1) | instskip(NEXT) | instid1(VALU_DEP_1)
	v_lshl_or_b32 v0, v2, 21, v0
                                        ; implicit-def: $vgpr2
	v_add_nc_u32_e32 v0, 0x38000000, v0
.LBB6_4175:                             ;   in Loop: Header=BB6_3279 Depth=2
	s_and_not1_saveexec_b32 s27, s27
; %bb.4176:                             ;   in Loop: Header=BB6_3279 Depth=2
	v_cmp_lt_i16_e32 vcc_lo, -1, v76
	v_cndmask_b32_e32 v0, 0xff800000, v109, vcc_lo
	v_cmp_eq_u32_e32 vcc_lo, 0, v2
	s_delay_alu instid0(VALU_DEP_2)
	v_cndmask_b32_e32 v0, 0x7f800001, v0, vcc_lo
; %bb.4177:                             ;   in Loop: Header=BB6_3279 Depth=2
	s_or_b32 exec_lo, exec_lo, s27
.LBB6_4178:                             ;   in Loop: Header=BB6_3279 Depth=2
	s_delay_alu instid0(SALU_CYCLE_1)
	s_or_b32 exec_lo, exec_lo, s26
.LBB6_4179:                             ;   in Loop: Header=BB6_3279 Depth=2
	s_delay_alu instid0(SALU_CYCLE_1) | instskip(NEXT) | instid1(VALU_DEP_1)
	s_or_b32 exec_lo, exec_lo, s10
	v_mul_f32_e32 v0, v1, v0
	v_mov_b32_e32 v3, v5
                                        ; implicit-def: $vgpr55
	s_mov_b32 s10, exec_lo
	s_delay_alu instid0(VALU_DEP_2) | instskip(SKIP_1) | instid1(VALU_DEP_2)
	v_and_b32_e32 v2, 0x7f800000, v0
	v_and_b32_e32 v4, 0x7fffff, v0
	v_cmpx_ne_u64_e32 0x7f800000, v[2:3]
	s_xor_b32 s26, exec_lo, s10
	s_cbranch_execz .LBB6_4197
; %bb.4180:                             ;   in Loop: Header=BB6_3279 Depth=2
	v_dual_mov_b32 v3, v5 :: v_dual_lshrrev_b32 v1, 24, v0
	v_and_b32_e32 v2, 0x7fffffff, v0
                                        ; implicit-def: $vgpr55
	s_mov_b32 s10, exec_lo
	s_delay_alu instid0(VALU_DEP_2) | instskip(NEXT) | instid1(VALU_DEP_2)
	v_and_b32_e32 v27, 0x80, v1
	v_cmpx_gt_u64_e32 0x47600001, v[2:3]
	s_xor_b32 s27, exec_lo, s10
	s_cbranch_execz .LBB6_4194
; %bb.4181:                             ;   in Loop: Header=BB6_3279 Depth=2
	v_mov_b32_e32 v55, 0
	s_mov_b32 s28, exec_lo
	v_cmpx_ne_u32_e32 0, v0
	s_cbranch_execz .LBB6_4193
; %bb.4182:                             ;   in Loop: Header=BB6_3279 Depth=2
	v_bfe_u32 v29, v0, 23, 8
	v_or_b32_e32 v2, 0x800000, v4
	s_mov_b32 s29, exec_lo
	s_delay_alu instid0(VALU_DEP_2) | instskip(SKIP_1) | instid1(VALU_DEP_2)
	v_dual_mov_b32 v3, v5 :: v_dual_sub_nc_u32 v0, 0x71, v29
	v_cmp_gt_u32_e32 vcc_lo, 0x72, v29
	v_cndmask_b32_e32 v0, 0, v0, vcc_lo
	v_cmp_eq_u32_e32 vcc_lo, 0, v29
	s_delay_alu instid0(VALU_DEP_2) | instskip(NEXT) | instid1(VALU_DEP_1)
	v_cndmask_b32_e64 v33, v0, 0x70, vcc_lo
	v_dual_cndmask_b32 v2, v2, v4, vcc_lo :: v_dual_add_nc_u32 v0, 21, v33
	v_add_nc_u32_e32 v26, 20, v33
	s_delay_alu instid0(VALU_DEP_2) | instskip(NEXT) | instid1(VALU_DEP_2)
	v_lshlrev_b64_e64 v[0:1], v0, -1
	v_lshlrev_b64_e64 v[64:65], v26, 1
	s_delay_alu instid0(VALU_DEP_2) | instskip(NEXT) | instid1(VALU_DEP_3)
	v_bfi_b32 v67, v1, 0, 0
	v_bfi_b32 v66, v0, 0, v2
	v_lshrrev_b64 v[0:1], v33, v[2:3]
	s_delay_alu instid0(VALU_DEP_1) | instskip(NEXT) | instid1(VALU_DEP_3)
	v_mov_b64_e32 v[2:3], v[0:1]
	v_cmpx_eq_u64_e64 v[66:67], v[64:65]
; %bb.4183:                             ;   in Loop: Header=BB6_3279 Depth=2
	v_bfe_u32 v2, v0, 21, 1
	v_mov_b32_e32 v3, v5
	s_delay_alu instid0(VALU_DEP_1) | instskip(NEXT) | instid1(VALU_DEP_1)
	v_add_nc_u64_e32 v[2:3], v[0:1], v[2:3]
	v_add_nc_u64_e32 v[2:3], -1, v[2:3]
; %bb.4184:                             ;   in Loop: Header=BB6_3279 Depth=2
	s_or_b32 exec_lo, exec_lo, s29
	v_add_nc_u32_e32 v1, 0xffffff81, v29
	s_delay_alu instid0(VALU_DEP_2) | instskip(SKIP_2) | instid1(VALU_DEP_3)
	v_and_b32_e32 v2, 0x1fffff, v2
	v_lshrrev_b32_e32 v3, 23, v0
	s_mov_b32 s10, exec_lo
	v_cndmask_b32_e64 v1, v1, 0xffffff82, vcc_lo
	s_delay_alu instid0(VALU_DEP_3) | instskip(NEXT) | instid1(VALU_DEP_2)
	v_add_nc_u32_e32 v4, v2, v0
                                        ; implicit-def: $vgpr2
	v_add3_u32 v3, v33, v1, v3
                                        ; implicit-def: $vgpr0_vgpr1
	s_delay_alu instid0(VALU_DEP_1) | instskip(NEXT) | instid1(VALU_DEP_1)
	v_add_nc_u32_e32 v29, 14, v3
	v_cmpx_ne_u32_e32 0, v29
	s_xor_b32 s10, exec_lo, s10
; %bb.4185:                             ;   in Loop: Header=BB6_3279 Depth=2
	v_cmp_lt_u64_e32 vcc_lo, 0xffffff, v[4:5]
	v_add_nc_u32_e32 v0, 15, v3
	s_delay_alu instid0(VALU_DEP_1) | instskip(SKIP_1) | instid1(VALU_DEP_1)
	v_cndmask_b32_e32 v2, v29, v0, vcc_lo
	v_cndmask_b32_e64 v0, 0, 1, vcc_lo
	v_lshrrev_b64 v[0:1], v0, v[4:5]
; %bb.4186:                             ;   in Loop: Header=BB6_3279 Depth=2
	s_and_not1_saveexec_b32 s10, s10
; %bb.4187:                             ;   in Loop: Header=BB6_3279 Depth=2
	v_mov_b64_e32 v[0:1], v[4:5]
	v_bfe_u32 v2, v4, 23, 1
; %bb.4188:                             ;   in Loop: Header=BB6_3279 Depth=2
	s_or_b32 exec_lo, exec_lo, s10
	s_delay_alu instid0(VALU_DEP_2) | instskip(NEXT) | instid1(VALU_DEP_2)
	v_lshrrev_b64 v[0:1], 21, v[0:1]
	v_cmp_gt_i32_e32 vcc_lo, 32, v2
	v_cmp_ne_u32_e64 s10, 0, v2
                                        ; implicit-def: $vgpr55
	s_delay_alu instid0(VALU_DEP_3) | instskip(NEXT) | instid1(VALU_DEP_1)
	v_dual_cndmask_b32 v1, 0, v1 :: v_dual_cndmask_b32 v0, 3, v0
	v_cmp_ne_u64_e32 vcc_lo, 0, v[0:1]
	s_or_b32 s10, s10, vcc_lo
	s_delay_alu instid0(SALU_CYCLE_1) | instskip(NEXT) | instid1(SALU_CYCLE_1)
	s_and_saveexec_b32 s29, s10
	s_xor_b32 s10, exec_lo, s29
; %bb.4189:                             ;   in Loop: Header=BB6_3279 Depth=2
	v_min_i32_e32 v1, 31, v2
	s_delay_alu instid0(VALU_DEP_1) | instskip(NEXT) | instid1(VALU_DEP_1)
	v_lshl_or_b32 v1, v1, 2, v27
                                        ; implicit-def: $vgpr27
	v_and_or_b32 v55, v0, 3, v1
; %bb.4190:                             ;   in Loop: Header=BB6_3279 Depth=2
	s_and_not1_saveexec_b32 s10, s10
; %bb.4191:                             ;   in Loop: Header=BB6_3279 Depth=2
	v_mov_b32_e32 v55, v27
; %bb.4192:                             ;   in Loop: Header=BB6_3279 Depth=2
	s_or_b32 exec_lo, exec_lo, s10
.LBB6_4193:                             ;   in Loop: Header=BB6_3279 Depth=2
	s_delay_alu instid0(SALU_CYCLE_1)
	s_or_b32 exec_lo, exec_lo, s28
                                        ; implicit-def: $vgpr27
.LBB6_4194:                             ;   in Loop: Header=BB6_3279 Depth=2
	s_and_not1_saveexec_b32 s10, s27
; %bb.4195:                             ;   in Loop: Header=BB6_3279 Depth=2
	v_or_b32_e32 v55, 0x7b, v27
; %bb.4196:                             ;   in Loop: Header=BB6_3279 Depth=2
	s_or_b32 exec_lo, exec_lo, s10
                                        ; implicit-def: $vgpr0
.LBB6_4197:                             ;   in Loop: Header=BB6_3279 Depth=2
	s_and_not1_saveexec_b32 s10, s26
	s_cbranch_execz .LBB6_4203
; %bb.4198:                             ;   in Loop: Header=BB6_3279 Depth=2
	s_mov_b32 s26, exec_lo
                                        ; implicit-def: $vgpr55
	v_cmpx_ne_u64_e32 0, v[4:5]
	s_xor_b32 s26, exec_lo, s26
; %bb.4199:                             ;   in Loop: Header=BB6_3279 Depth=2
	v_lshrrev_b32_e32 v0, 24, v0
	s_delay_alu instid0(VALU_DEP_1)
	v_or_b32_e32 v55, 0x7f, v0
                                        ; implicit-def: $vgpr0
; %bb.4200:                             ;   in Loop: Header=BB6_3279 Depth=2
	s_and_not1_saveexec_b32 s26, s26
; %bb.4201:                             ;   in Loop: Header=BB6_3279 Depth=2
	v_cmp_lt_i32_e32 vcc_lo, -1, v0
	v_cndmask_b32_e64 v55, -4, 0x7c, vcc_lo
; %bb.4202:                             ;   in Loop: Header=BB6_3279 Depth=2
	s_or_b32 exec_lo, exec_lo, s26
.LBB6_4203:                             ;   in Loop: Header=BB6_3279 Depth=2
	s_delay_alu instid0(SALU_CYCLE_1)
	s_or_b32 exec_lo, exec_lo, s10
	v_dual_mov_b32 v0, 0 :: v_dual_mov_b32 v1, 0
	s_mov_b32 s10, exec_lo
	v_cmpx_ne_u16_e32 0, v74
	s_cbranch_execz .LBB6_4213
; %bb.4204:                             ;   in Loop: Header=BB6_3279 Depth=2
	v_bfrev_b32_e32 v1, 1
	s_mov_b32 s26, exec_lo
	v_cmpx_ne_u16_e32 0xff80, v74
	s_cbranch_execz .LBB6_4212
; %bb.4205:                             ;   in Loop: Header=BB6_3279 Depth=2
	v_and_b32_e32 v1, 0x7c, v74
	v_and_b32_e32 v2, 3, v74
	s_delay_alu instid0(VALU_DEP_2) | instskip(SKIP_1) | instid1(SALU_CYCLE_1)
	v_cmp_ne_u32_e32 vcc_lo, 0x7c, v1
                                        ; implicit-def: $vgpr1
	s_and_saveexec_b32 s27, vcc_lo
	s_xor_b32 s27, exec_lo, s27
	s_cbranch_execz .LBB6_4209
; %bb.4206:                             ;   in Loop: Header=BB6_3279 Depth=2
	v_and_b32_e32 v1, 0xff, v74
	s_mov_b32 s28, exec_lo
	s_delay_alu instid0(VALU_DEP_1) | instskip(NEXT) | instid1(VALU_DEP_1)
	v_bfe_u32 v1, v1, 2, 5
	v_cmpx_eq_u32_e32 0, v1
	s_cbranch_execz .LBB6_4208
; %bb.4207:                             ;   in Loop: Header=BB6_3279 Depth=2
	v_clz_i32_u32_e32 v1, v2
	s_delay_alu instid0(VALU_DEP_1) | instskip(SKIP_1) | instid1(VALU_DEP_2)
	v_min_u32_e32 v1, 32, v1
	v_mov_b32_e32 v75, v5
	v_subrev_nc_u32_e32 v2, 29, v1
	v_sub_nc_u32_e32 v1, 30, v1
	s_delay_alu instid0(VALU_DEP_2) | instskip(NEXT) | instid1(VALU_DEP_1)
	v_lshlrev_b64_e32 v[2:3], v2, v[74:75]
	v_and_b32_e32 v2, 3, v2
.LBB6_4208:                             ;   in Loop: Header=BB6_3279 Depth=2
	s_or_b32 exec_lo, exec_lo, s28
	v_bfe_i32 v3, v74, 0, 16
                                        ; implicit-def: $vgpr74
	s_delay_alu instid0(VALU_DEP_1) | instskip(NEXT) | instid1(VALU_DEP_1)
	v_and_b32_e32 v3, 0x80000000, v3
	v_lshl_add_u32 v1, v1, 23, v3
	s_delay_alu instid0(VALU_DEP_1) | instskip(NEXT) | instid1(VALU_DEP_1)
	v_lshl_or_b32 v1, v2, 21, v1
                                        ; implicit-def: $vgpr2
	v_add_nc_u32_e32 v1, 0x38000000, v1
.LBB6_4209:                             ;   in Loop: Header=BB6_3279 Depth=2
	s_and_not1_saveexec_b32 s27, s27
; %bb.4210:                             ;   in Loop: Header=BB6_3279 Depth=2
	v_cmp_lt_i16_e32 vcc_lo, -1, v74
	v_cndmask_b32_e32 v1, 0xff800000, v109, vcc_lo
	v_cmp_eq_u32_e32 vcc_lo, 0, v2
	s_delay_alu instid0(VALU_DEP_2)
	v_cndmask_b32_e32 v1, 0x7f800001, v1, vcc_lo
; %bb.4211:                             ;   in Loop: Header=BB6_3279 Depth=2
	s_or_b32 exec_lo, exec_lo, s27
.LBB6_4212:                             ;   in Loop: Header=BB6_3279 Depth=2
	s_delay_alu instid0(SALU_CYCLE_1)
	s_or_b32 exec_lo, exec_lo, s26
.LBB6_4213:                             ;   in Loop: Header=BB6_3279 Depth=2
	s_delay_alu instid0(SALU_CYCLE_1) | instskip(NEXT) | instid1(SALU_CYCLE_1)
	s_or_b32 exec_lo, exec_lo, s10
	s_mov_b32 s10, exec_lo
	v_cmpx_ne_u16_e32 0, v72
	s_cbranch_execz .LBB6_4223
; %bb.4214:                             ;   in Loop: Header=BB6_3279 Depth=2
	v_bfrev_b32_e32 v0, 1
	s_mov_b32 s26, exec_lo
	v_cmpx_ne_u16_e32 0xff80, v72
	s_cbranch_execz .LBB6_4222
; %bb.4215:                             ;   in Loop: Header=BB6_3279 Depth=2
	v_and_b32_e32 v0, 0x7c, v72
	v_and_b32_e32 v2, 3, v72
	s_delay_alu instid0(VALU_DEP_2) | instskip(SKIP_1) | instid1(SALU_CYCLE_1)
	v_cmp_ne_u32_e32 vcc_lo, 0x7c, v0
                                        ; implicit-def: $vgpr0
	s_and_saveexec_b32 s27, vcc_lo
	s_xor_b32 s27, exec_lo, s27
	s_cbranch_execz .LBB6_4219
; %bb.4216:                             ;   in Loop: Header=BB6_3279 Depth=2
	v_and_b32_e32 v0, 0xff, v72
	s_mov_b32 s28, exec_lo
	s_delay_alu instid0(VALU_DEP_1) | instskip(NEXT) | instid1(VALU_DEP_1)
	v_bfe_u32 v0, v0, 2, 5
	v_cmpx_eq_u32_e32 0, v0
	s_cbranch_execz .LBB6_4218
; %bb.4217:                             ;   in Loop: Header=BB6_3279 Depth=2
	v_clz_i32_u32_e32 v0, v2
	s_delay_alu instid0(VALU_DEP_1) | instskip(SKIP_1) | instid1(VALU_DEP_2)
	v_min_u32_e32 v0, 32, v0
	v_mov_b32_e32 v73, v5
	v_subrev_nc_u32_e32 v2, 29, v0
	v_sub_nc_u32_e32 v0, 30, v0
	s_delay_alu instid0(VALU_DEP_2) | instskip(NEXT) | instid1(VALU_DEP_1)
	v_lshlrev_b64_e32 v[2:3], v2, v[72:73]
	v_and_b32_e32 v2, 3, v2
.LBB6_4218:                             ;   in Loop: Header=BB6_3279 Depth=2
	s_or_b32 exec_lo, exec_lo, s28
	v_bfe_i32 v3, v72, 0, 16
                                        ; implicit-def: $vgpr72
	s_delay_alu instid0(VALU_DEP_1) | instskip(NEXT) | instid1(VALU_DEP_1)
	v_and_b32_e32 v3, 0x80000000, v3
	v_lshl_add_u32 v0, v0, 23, v3
	s_delay_alu instid0(VALU_DEP_1) | instskip(NEXT) | instid1(VALU_DEP_1)
	v_lshl_or_b32 v0, v2, 21, v0
                                        ; implicit-def: $vgpr2
	v_add_nc_u32_e32 v0, 0x38000000, v0
.LBB6_4219:                             ;   in Loop: Header=BB6_3279 Depth=2
	s_and_not1_saveexec_b32 s27, s27
; %bb.4220:                             ;   in Loop: Header=BB6_3279 Depth=2
	v_cmp_lt_i16_e32 vcc_lo, -1, v72
	v_cndmask_b32_e32 v0, 0xff800000, v109, vcc_lo
	v_cmp_eq_u32_e32 vcc_lo, 0, v2
	s_delay_alu instid0(VALU_DEP_2)
	v_cndmask_b32_e32 v0, 0x7f800001, v0, vcc_lo
; %bb.4221:                             ;   in Loop: Header=BB6_3279 Depth=2
	s_or_b32 exec_lo, exec_lo, s27
.LBB6_4222:                             ;   in Loop: Header=BB6_3279 Depth=2
	s_delay_alu instid0(SALU_CYCLE_1)
	s_or_b32 exec_lo, exec_lo, s26
.LBB6_4223:                             ;   in Loop: Header=BB6_3279 Depth=2
	s_delay_alu instid0(SALU_CYCLE_1) | instskip(NEXT) | instid1(VALU_DEP_1)
	s_or_b32 exec_lo, exec_lo, s10
	v_mul_f32_e32 v0, v1, v0
	v_mov_b32_e32 v3, v5
                                        ; implicit-def: $vgpr64
	s_mov_b32 s10, exec_lo
	s_delay_alu instid0(VALU_DEP_2) | instskip(SKIP_1) | instid1(VALU_DEP_2)
	v_and_b32_e32 v2, 0x7f800000, v0
	v_and_b32_e32 v4, 0x7fffff, v0
	v_cmpx_ne_u64_e32 0x7f800000, v[2:3]
	s_xor_b32 s26, exec_lo, s10
	s_cbranch_execz .LBB6_4241
; %bb.4224:                             ;   in Loop: Header=BB6_3279 Depth=2
	v_dual_mov_b32 v3, v5 :: v_dual_lshrrev_b32 v1, 24, v0
	v_and_b32_e32 v2, 0x7fffffff, v0
                                        ; implicit-def: $vgpr64
	s_mov_b32 s10, exec_lo
	s_delay_alu instid0(VALU_DEP_2) | instskip(NEXT) | instid1(VALU_DEP_2)
	v_and_b32_e32 v27, 0x80, v1
	v_cmpx_gt_u64_e32 0x47600001, v[2:3]
	s_xor_b32 s27, exec_lo, s10
	s_cbranch_execz .LBB6_4238
; %bb.4225:                             ;   in Loop: Header=BB6_3279 Depth=2
	v_mov_b32_e32 v64, 0
	s_mov_b32 s28, exec_lo
	v_cmpx_ne_u32_e32 0, v0
	s_cbranch_execz .LBB6_4237
; %bb.4226:                             ;   in Loop: Header=BB6_3279 Depth=2
	v_bfe_u32 v29, v0, 23, 8
	v_or_b32_e32 v2, 0x800000, v4
	s_mov_b32 s29, exec_lo
	s_delay_alu instid0(VALU_DEP_2) | instskip(SKIP_1) | instid1(VALU_DEP_2)
	v_dual_mov_b32 v3, v5 :: v_dual_sub_nc_u32 v0, 0x71, v29
	v_cmp_gt_u32_e32 vcc_lo, 0x72, v29
	v_cndmask_b32_e32 v0, 0, v0, vcc_lo
	v_cmp_eq_u32_e32 vcc_lo, 0, v29
	s_delay_alu instid0(VALU_DEP_2) | instskip(NEXT) | instid1(VALU_DEP_1)
	v_cndmask_b32_e64 v33, v0, 0x70, vcc_lo
	v_dual_cndmask_b32 v2, v2, v4, vcc_lo :: v_dual_add_nc_u32 v0, 21, v33
	v_add_nc_u32_e32 v26, 20, v33
	s_delay_alu instid0(VALU_DEP_2) | instskip(NEXT) | instid1(VALU_DEP_2)
	v_lshlrev_b64_e64 v[0:1], v0, -1
	v_lshlrev_b64_e64 v[64:65], v26, 1
	s_delay_alu instid0(VALU_DEP_2) | instskip(NEXT) | instid1(VALU_DEP_3)
	v_bfi_b32 v67, v1, 0, 0
	v_bfi_b32 v66, v0, 0, v2
	v_lshrrev_b64 v[0:1], v33, v[2:3]
	s_delay_alu instid0(VALU_DEP_1) | instskip(NEXT) | instid1(VALU_DEP_3)
	v_mov_b64_e32 v[2:3], v[0:1]
	v_cmpx_eq_u64_e64 v[66:67], v[64:65]
; %bb.4227:                             ;   in Loop: Header=BB6_3279 Depth=2
	v_bfe_u32 v2, v0, 21, 1
	v_mov_b32_e32 v3, v5
	s_delay_alu instid0(VALU_DEP_1) | instskip(NEXT) | instid1(VALU_DEP_1)
	v_add_nc_u64_e32 v[2:3], v[0:1], v[2:3]
	v_add_nc_u64_e32 v[2:3], -1, v[2:3]
; %bb.4228:                             ;   in Loop: Header=BB6_3279 Depth=2
	s_or_b32 exec_lo, exec_lo, s29
	v_add_nc_u32_e32 v1, 0xffffff81, v29
	s_delay_alu instid0(VALU_DEP_2) | instskip(SKIP_2) | instid1(VALU_DEP_3)
	v_and_b32_e32 v2, 0x1fffff, v2
	v_lshrrev_b32_e32 v3, 23, v0
	s_mov_b32 s10, exec_lo
	v_cndmask_b32_e64 v1, v1, 0xffffff82, vcc_lo
	s_delay_alu instid0(VALU_DEP_3) | instskip(NEXT) | instid1(VALU_DEP_2)
	v_add_nc_u32_e32 v4, v2, v0
                                        ; implicit-def: $vgpr2
	v_add3_u32 v3, v33, v1, v3
                                        ; implicit-def: $vgpr0_vgpr1
	s_delay_alu instid0(VALU_DEP_1) | instskip(NEXT) | instid1(VALU_DEP_1)
	v_add_nc_u32_e32 v29, 14, v3
	v_cmpx_ne_u32_e32 0, v29
	s_xor_b32 s10, exec_lo, s10
; %bb.4229:                             ;   in Loop: Header=BB6_3279 Depth=2
	v_cmp_lt_u64_e32 vcc_lo, 0xffffff, v[4:5]
	v_add_nc_u32_e32 v0, 15, v3
	s_delay_alu instid0(VALU_DEP_1) | instskip(SKIP_1) | instid1(VALU_DEP_1)
	v_cndmask_b32_e32 v2, v29, v0, vcc_lo
	v_cndmask_b32_e64 v0, 0, 1, vcc_lo
	v_lshrrev_b64 v[0:1], v0, v[4:5]
; %bb.4230:                             ;   in Loop: Header=BB6_3279 Depth=2
	s_and_not1_saveexec_b32 s10, s10
; %bb.4231:                             ;   in Loop: Header=BB6_3279 Depth=2
	v_mov_b64_e32 v[0:1], v[4:5]
	v_bfe_u32 v2, v4, 23, 1
; %bb.4232:                             ;   in Loop: Header=BB6_3279 Depth=2
	s_or_b32 exec_lo, exec_lo, s10
	s_delay_alu instid0(VALU_DEP_2) | instskip(NEXT) | instid1(VALU_DEP_2)
	v_lshrrev_b64 v[0:1], 21, v[0:1]
	v_cmp_gt_i32_e32 vcc_lo, 32, v2
	v_cmp_ne_u32_e64 s10, 0, v2
                                        ; implicit-def: $vgpr64
	s_delay_alu instid0(VALU_DEP_3) | instskip(NEXT) | instid1(VALU_DEP_1)
	v_dual_cndmask_b32 v1, 0, v1 :: v_dual_cndmask_b32 v0, 3, v0
	v_cmp_ne_u64_e32 vcc_lo, 0, v[0:1]
	s_or_b32 s10, s10, vcc_lo
	s_delay_alu instid0(SALU_CYCLE_1) | instskip(NEXT) | instid1(SALU_CYCLE_1)
	s_and_saveexec_b32 s29, s10
	s_xor_b32 s10, exec_lo, s29
; %bb.4233:                             ;   in Loop: Header=BB6_3279 Depth=2
	v_min_i32_e32 v1, 31, v2
	s_delay_alu instid0(VALU_DEP_1) | instskip(NEXT) | instid1(VALU_DEP_1)
	v_lshl_or_b32 v1, v1, 2, v27
                                        ; implicit-def: $vgpr27
	v_and_or_b32 v64, v0, 3, v1
; %bb.4234:                             ;   in Loop: Header=BB6_3279 Depth=2
	s_and_not1_saveexec_b32 s10, s10
; %bb.4235:                             ;   in Loop: Header=BB6_3279 Depth=2
	v_mov_b32_e32 v64, v27
; %bb.4236:                             ;   in Loop: Header=BB6_3279 Depth=2
	s_or_b32 exec_lo, exec_lo, s10
.LBB6_4237:                             ;   in Loop: Header=BB6_3279 Depth=2
	s_delay_alu instid0(SALU_CYCLE_1)
	s_or_b32 exec_lo, exec_lo, s28
                                        ; implicit-def: $vgpr27
.LBB6_4238:                             ;   in Loop: Header=BB6_3279 Depth=2
	s_and_not1_saveexec_b32 s10, s27
; %bb.4239:                             ;   in Loop: Header=BB6_3279 Depth=2
	v_or_b32_e32 v64, 0x7b, v27
; %bb.4240:                             ;   in Loop: Header=BB6_3279 Depth=2
	s_or_b32 exec_lo, exec_lo, s10
                                        ; implicit-def: $vgpr0
.LBB6_4241:                             ;   in Loop: Header=BB6_3279 Depth=2
	s_and_not1_saveexec_b32 s10, s26
	s_cbranch_execz .LBB6_4247
; %bb.4242:                             ;   in Loop: Header=BB6_3279 Depth=2
	s_mov_b32 s26, exec_lo
                                        ; implicit-def: $vgpr64
	v_cmpx_ne_u64_e32 0, v[4:5]
	s_xor_b32 s26, exec_lo, s26
; %bb.4243:                             ;   in Loop: Header=BB6_3279 Depth=2
	v_lshrrev_b32_e32 v0, 24, v0
	s_delay_alu instid0(VALU_DEP_1)
	v_or_b32_e32 v64, 0x7f, v0
                                        ; implicit-def: $vgpr0
; %bb.4244:                             ;   in Loop: Header=BB6_3279 Depth=2
	s_and_not1_saveexec_b32 s26, s26
; %bb.4245:                             ;   in Loop: Header=BB6_3279 Depth=2
	v_cmp_lt_i32_e32 vcc_lo, -1, v0
	v_cndmask_b32_e64 v64, -4, 0x7c, vcc_lo
; %bb.4246:                             ;   in Loop: Header=BB6_3279 Depth=2
	s_or_b32 exec_lo, exec_lo, s26
.LBB6_4247:                             ;   in Loop: Header=BB6_3279 Depth=2
	s_delay_alu instid0(SALU_CYCLE_1)
	s_or_b32 exec_lo, exec_lo, s10
	v_dual_mov_b32 v0, 0 :: v_dual_mov_b32 v1, 0
	s_mov_b32 s10, exec_lo
	v_cmpx_ne_u16_e32 0, v62
	s_cbranch_execz .LBB6_4257
; %bb.4248:                             ;   in Loop: Header=BB6_3279 Depth=2
	v_bfrev_b32_e32 v1, 1
	s_mov_b32 s26, exec_lo
	v_cmpx_ne_u16_e32 0xff80, v62
	s_cbranch_execz .LBB6_4256
; %bb.4249:                             ;   in Loop: Header=BB6_3279 Depth=2
	v_and_b32_e32 v1, 0x7c, v62
	v_and_b32_e32 v2, 3, v62
	s_delay_alu instid0(VALU_DEP_2) | instskip(SKIP_1) | instid1(SALU_CYCLE_1)
	v_cmp_ne_u32_e32 vcc_lo, 0x7c, v1
                                        ; implicit-def: $vgpr1
	s_and_saveexec_b32 s27, vcc_lo
	s_xor_b32 s27, exec_lo, s27
	s_cbranch_execz .LBB6_4253
; %bb.4250:                             ;   in Loop: Header=BB6_3279 Depth=2
	v_and_b32_e32 v1, 0xff, v62
	s_mov_b32 s28, exec_lo
	s_delay_alu instid0(VALU_DEP_1) | instskip(NEXT) | instid1(VALU_DEP_1)
	v_bfe_u32 v1, v1, 2, 5
	v_cmpx_eq_u32_e32 0, v1
	s_cbranch_execz .LBB6_4252
; %bb.4251:                             ;   in Loop: Header=BB6_3279 Depth=2
	v_clz_i32_u32_e32 v1, v2
	s_delay_alu instid0(VALU_DEP_1) | instskip(SKIP_1) | instid1(VALU_DEP_2)
	v_min_u32_e32 v1, 32, v1
	v_mov_b32_e32 v63, v5
	v_subrev_nc_u32_e32 v2, 29, v1
	v_sub_nc_u32_e32 v1, 30, v1
	s_delay_alu instid0(VALU_DEP_2) | instskip(NEXT) | instid1(VALU_DEP_1)
	v_lshlrev_b64_e32 v[2:3], v2, v[62:63]
	v_and_b32_e32 v2, 3, v2
.LBB6_4252:                             ;   in Loop: Header=BB6_3279 Depth=2
	s_or_b32 exec_lo, exec_lo, s28
	v_bfe_i32 v3, v62, 0, 16
                                        ; implicit-def: $vgpr62
	s_delay_alu instid0(VALU_DEP_1) | instskip(NEXT) | instid1(VALU_DEP_1)
	v_and_b32_e32 v3, 0x80000000, v3
	v_lshl_add_u32 v1, v1, 23, v3
	s_delay_alu instid0(VALU_DEP_1) | instskip(NEXT) | instid1(VALU_DEP_1)
	v_lshl_or_b32 v1, v2, 21, v1
                                        ; implicit-def: $vgpr2
	v_add_nc_u32_e32 v1, 0x38000000, v1
.LBB6_4253:                             ;   in Loop: Header=BB6_3279 Depth=2
	s_and_not1_saveexec_b32 s27, s27
; %bb.4254:                             ;   in Loop: Header=BB6_3279 Depth=2
	v_cmp_lt_i16_e32 vcc_lo, -1, v62
	v_cndmask_b32_e32 v1, 0xff800000, v109, vcc_lo
	v_cmp_eq_u32_e32 vcc_lo, 0, v2
	s_delay_alu instid0(VALU_DEP_2)
	v_cndmask_b32_e32 v1, 0x7f800001, v1, vcc_lo
; %bb.4255:                             ;   in Loop: Header=BB6_3279 Depth=2
	s_or_b32 exec_lo, exec_lo, s27
.LBB6_4256:                             ;   in Loop: Header=BB6_3279 Depth=2
	s_delay_alu instid0(SALU_CYCLE_1)
	s_or_b32 exec_lo, exec_lo, s26
.LBB6_4257:                             ;   in Loop: Header=BB6_3279 Depth=2
	s_delay_alu instid0(SALU_CYCLE_1) | instskip(NEXT) | instid1(SALU_CYCLE_1)
	s_or_b32 exec_lo, exec_lo, s10
	s_mov_b32 s10, exec_lo
	v_cmpx_ne_u16_e32 0, v60
	s_cbranch_execz .LBB6_4267
; %bb.4258:                             ;   in Loop: Header=BB6_3279 Depth=2
	v_bfrev_b32_e32 v0, 1
	s_mov_b32 s26, exec_lo
	v_cmpx_ne_u16_e32 0xff80, v60
	s_cbranch_execz .LBB6_4266
; %bb.4259:                             ;   in Loop: Header=BB6_3279 Depth=2
	v_and_b32_e32 v0, 0x7c, v60
	v_and_b32_e32 v2, 3, v60
	s_delay_alu instid0(VALU_DEP_2) | instskip(SKIP_1) | instid1(SALU_CYCLE_1)
	v_cmp_ne_u32_e32 vcc_lo, 0x7c, v0
                                        ; implicit-def: $vgpr0
	s_and_saveexec_b32 s27, vcc_lo
	s_xor_b32 s27, exec_lo, s27
	s_cbranch_execz .LBB6_4263
; %bb.4260:                             ;   in Loop: Header=BB6_3279 Depth=2
	v_and_b32_e32 v0, 0xff, v60
	s_mov_b32 s28, exec_lo
	s_delay_alu instid0(VALU_DEP_1) | instskip(NEXT) | instid1(VALU_DEP_1)
	v_bfe_u32 v0, v0, 2, 5
	v_cmpx_eq_u32_e32 0, v0
	s_cbranch_execz .LBB6_4262
; %bb.4261:                             ;   in Loop: Header=BB6_3279 Depth=2
	v_clz_i32_u32_e32 v0, v2
	s_delay_alu instid0(VALU_DEP_1) | instskip(SKIP_1) | instid1(VALU_DEP_2)
	v_min_u32_e32 v0, 32, v0
	v_mov_b32_e32 v61, v5
	v_subrev_nc_u32_e32 v2, 29, v0
	v_sub_nc_u32_e32 v0, 30, v0
	s_delay_alu instid0(VALU_DEP_2) | instskip(NEXT) | instid1(VALU_DEP_1)
	v_lshlrev_b64_e32 v[2:3], v2, v[60:61]
	v_and_b32_e32 v2, 3, v2
.LBB6_4262:                             ;   in Loop: Header=BB6_3279 Depth=2
	s_or_b32 exec_lo, exec_lo, s28
	v_bfe_i32 v3, v60, 0, 16
                                        ; implicit-def: $vgpr60
	s_delay_alu instid0(VALU_DEP_1) | instskip(NEXT) | instid1(VALU_DEP_1)
	v_and_b32_e32 v3, 0x80000000, v3
	v_lshl_add_u32 v0, v0, 23, v3
	s_delay_alu instid0(VALU_DEP_1) | instskip(NEXT) | instid1(VALU_DEP_1)
	v_lshl_or_b32 v0, v2, 21, v0
                                        ; implicit-def: $vgpr2
	v_add_nc_u32_e32 v0, 0x38000000, v0
.LBB6_4263:                             ;   in Loop: Header=BB6_3279 Depth=2
	s_and_not1_saveexec_b32 s27, s27
; %bb.4264:                             ;   in Loop: Header=BB6_3279 Depth=2
	v_cmp_lt_i16_e32 vcc_lo, -1, v60
	v_cndmask_b32_e32 v0, 0xff800000, v109, vcc_lo
	v_cmp_eq_u32_e32 vcc_lo, 0, v2
	s_delay_alu instid0(VALU_DEP_2)
	v_cndmask_b32_e32 v0, 0x7f800001, v0, vcc_lo
; %bb.4265:                             ;   in Loop: Header=BB6_3279 Depth=2
	s_or_b32 exec_lo, exec_lo, s27
.LBB6_4266:                             ;   in Loop: Header=BB6_3279 Depth=2
	s_delay_alu instid0(SALU_CYCLE_1)
	s_or_b32 exec_lo, exec_lo, s26
.LBB6_4267:                             ;   in Loop: Header=BB6_3279 Depth=2
	s_delay_alu instid0(SALU_CYCLE_1) | instskip(NEXT) | instid1(VALU_DEP_1)
	s_or_b32 exec_lo, exec_lo, s10
	v_mul_f32_e32 v0, v1, v0
	v_mov_b32_e32 v3, v5
                                        ; implicit-def: $vgpr65
	s_mov_b32 s10, exec_lo
	s_delay_alu instid0(VALU_DEP_2) | instskip(SKIP_1) | instid1(VALU_DEP_2)
	v_and_b32_e32 v2, 0x7f800000, v0
	v_and_b32_e32 v4, 0x7fffff, v0
	v_cmpx_ne_u64_e32 0x7f800000, v[2:3]
	s_xor_b32 s26, exec_lo, s10
	s_cbranch_execz .LBB6_4285
; %bb.4268:                             ;   in Loop: Header=BB6_3279 Depth=2
	v_dual_mov_b32 v3, v5 :: v_dual_lshrrev_b32 v1, 24, v0
	v_and_b32_e32 v2, 0x7fffffff, v0
                                        ; implicit-def: $vgpr65
	s_mov_b32 s10, exec_lo
	s_delay_alu instid0(VALU_DEP_2) | instskip(NEXT) | instid1(VALU_DEP_2)
	v_and_b32_e32 v27, 0x80, v1
	v_cmpx_gt_u64_e32 0x47600001, v[2:3]
	s_xor_b32 s27, exec_lo, s10
	s_cbranch_execz .LBB6_4282
; %bb.4269:                             ;   in Loop: Header=BB6_3279 Depth=2
	v_mov_b32_e32 v65, 0
	s_mov_b32 s28, exec_lo
	v_cmpx_ne_u32_e32 0, v0
	s_cbranch_execz .LBB6_4281
; %bb.4270:                             ;   in Loop: Header=BB6_3279 Depth=2
	v_bfe_u32 v29, v0, 23, 8
	v_or_b32_e32 v2, 0x800000, v4
	s_mov_b32 s29, exec_lo
	s_delay_alu instid0(VALU_DEP_2) | instskip(SKIP_1) | instid1(VALU_DEP_2)
	v_dual_mov_b32 v3, v5 :: v_dual_sub_nc_u32 v0, 0x71, v29
	v_cmp_gt_u32_e32 vcc_lo, 0x72, v29
	v_cndmask_b32_e32 v0, 0, v0, vcc_lo
	v_cmp_eq_u32_e32 vcc_lo, 0, v29
	s_delay_alu instid0(VALU_DEP_2) | instskip(NEXT) | instid1(VALU_DEP_1)
	v_cndmask_b32_e64 v33, v0, 0x70, vcc_lo
	v_dual_cndmask_b32 v2, v2, v4, vcc_lo :: v_dual_add_nc_u32 v0, 21, v33
	v_add_nc_u32_e32 v26, 20, v33
	s_delay_alu instid0(VALU_DEP_2) | instskip(NEXT) | instid1(VALU_DEP_2)
	v_lshlrev_b64_e64 v[0:1], v0, -1
	v_lshlrev_b64_e64 v[66:67], v26, 1
	s_delay_alu instid0(VALU_DEP_2) | instskip(NEXT) | instid1(VALU_DEP_3)
	v_bfi_b32 v69, v1, 0, 0
	v_bfi_b32 v68, v0, 0, v2
	v_lshrrev_b64 v[0:1], v33, v[2:3]
	s_delay_alu instid0(VALU_DEP_1) | instskip(NEXT) | instid1(VALU_DEP_3)
	v_mov_b64_e32 v[2:3], v[0:1]
	v_cmpx_eq_u64_e64 v[68:69], v[66:67]
; %bb.4271:                             ;   in Loop: Header=BB6_3279 Depth=2
	v_bfe_u32 v2, v0, 21, 1
	v_mov_b32_e32 v3, v5
	s_delay_alu instid0(VALU_DEP_1) | instskip(NEXT) | instid1(VALU_DEP_1)
	v_add_nc_u64_e32 v[2:3], v[0:1], v[2:3]
	v_add_nc_u64_e32 v[2:3], -1, v[2:3]
; %bb.4272:                             ;   in Loop: Header=BB6_3279 Depth=2
	s_or_b32 exec_lo, exec_lo, s29
	v_add_nc_u32_e32 v1, 0xffffff81, v29
	s_delay_alu instid0(VALU_DEP_2) | instskip(SKIP_2) | instid1(VALU_DEP_3)
	v_and_b32_e32 v2, 0x1fffff, v2
	v_lshrrev_b32_e32 v3, 23, v0
	s_mov_b32 s10, exec_lo
	v_cndmask_b32_e64 v1, v1, 0xffffff82, vcc_lo
	s_delay_alu instid0(VALU_DEP_3) | instskip(NEXT) | instid1(VALU_DEP_2)
	v_add_nc_u32_e32 v4, v2, v0
                                        ; implicit-def: $vgpr2
	v_add3_u32 v3, v33, v1, v3
                                        ; implicit-def: $vgpr0_vgpr1
	s_delay_alu instid0(VALU_DEP_1) | instskip(NEXT) | instid1(VALU_DEP_1)
	v_add_nc_u32_e32 v29, 14, v3
	v_cmpx_ne_u32_e32 0, v29
	s_xor_b32 s10, exec_lo, s10
; %bb.4273:                             ;   in Loop: Header=BB6_3279 Depth=2
	v_cmp_lt_u64_e32 vcc_lo, 0xffffff, v[4:5]
	v_add_nc_u32_e32 v0, 15, v3
	s_delay_alu instid0(VALU_DEP_1) | instskip(SKIP_1) | instid1(VALU_DEP_1)
	v_cndmask_b32_e32 v2, v29, v0, vcc_lo
	v_cndmask_b32_e64 v0, 0, 1, vcc_lo
	v_lshrrev_b64 v[0:1], v0, v[4:5]
; %bb.4274:                             ;   in Loop: Header=BB6_3279 Depth=2
	s_and_not1_saveexec_b32 s10, s10
; %bb.4275:                             ;   in Loop: Header=BB6_3279 Depth=2
	v_mov_b64_e32 v[0:1], v[4:5]
	v_bfe_u32 v2, v4, 23, 1
; %bb.4276:                             ;   in Loop: Header=BB6_3279 Depth=2
	s_or_b32 exec_lo, exec_lo, s10
	s_delay_alu instid0(VALU_DEP_2) | instskip(NEXT) | instid1(VALU_DEP_2)
	v_lshrrev_b64 v[0:1], 21, v[0:1]
	v_cmp_gt_i32_e32 vcc_lo, 32, v2
	v_cmp_ne_u32_e64 s10, 0, v2
                                        ; implicit-def: $vgpr65
	s_delay_alu instid0(VALU_DEP_3) | instskip(NEXT) | instid1(VALU_DEP_1)
	v_dual_cndmask_b32 v1, 0, v1 :: v_dual_cndmask_b32 v0, 3, v0
	v_cmp_ne_u64_e32 vcc_lo, 0, v[0:1]
	s_or_b32 s10, s10, vcc_lo
	s_delay_alu instid0(SALU_CYCLE_1) | instskip(NEXT) | instid1(SALU_CYCLE_1)
	s_and_saveexec_b32 s29, s10
	s_xor_b32 s10, exec_lo, s29
; %bb.4277:                             ;   in Loop: Header=BB6_3279 Depth=2
	v_min_i32_e32 v1, 31, v2
	s_delay_alu instid0(VALU_DEP_1) | instskip(NEXT) | instid1(VALU_DEP_1)
	v_lshl_or_b32 v1, v1, 2, v27
                                        ; implicit-def: $vgpr27
	v_and_or_b32 v65, v0, 3, v1
; %bb.4278:                             ;   in Loop: Header=BB6_3279 Depth=2
	s_and_not1_saveexec_b32 s10, s10
; %bb.4279:                             ;   in Loop: Header=BB6_3279 Depth=2
	v_mov_b32_e32 v65, v27
; %bb.4280:                             ;   in Loop: Header=BB6_3279 Depth=2
	s_or_b32 exec_lo, exec_lo, s10
.LBB6_4281:                             ;   in Loop: Header=BB6_3279 Depth=2
	s_delay_alu instid0(SALU_CYCLE_1)
	s_or_b32 exec_lo, exec_lo, s28
                                        ; implicit-def: $vgpr27
.LBB6_4282:                             ;   in Loop: Header=BB6_3279 Depth=2
	s_and_not1_saveexec_b32 s10, s27
; %bb.4283:                             ;   in Loop: Header=BB6_3279 Depth=2
	v_or_b32_e32 v65, 0x7b, v27
; %bb.4284:                             ;   in Loop: Header=BB6_3279 Depth=2
	s_or_b32 exec_lo, exec_lo, s10
                                        ; implicit-def: $vgpr0
.LBB6_4285:                             ;   in Loop: Header=BB6_3279 Depth=2
	s_and_not1_saveexec_b32 s10, s26
	s_cbranch_execz .LBB6_4291
; %bb.4286:                             ;   in Loop: Header=BB6_3279 Depth=2
	s_mov_b32 s26, exec_lo
                                        ; implicit-def: $vgpr65
	v_cmpx_ne_u64_e32 0, v[4:5]
	s_xor_b32 s26, exec_lo, s26
; %bb.4287:                             ;   in Loop: Header=BB6_3279 Depth=2
	v_lshrrev_b32_e32 v0, 24, v0
	s_delay_alu instid0(VALU_DEP_1)
	v_or_b32_e32 v65, 0x7f, v0
                                        ; implicit-def: $vgpr0
; %bb.4288:                             ;   in Loop: Header=BB6_3279 Depth=2
	s_and_not1_saveexec_b32 s26, s26
; %bb.4289:                             ;   in Loop: Header=BB6_3279 Depth=2
	v_cmp_lt_i32_e32 vcc_lo, -1, v0
	v_cndmask_b32_e64 v65, -4, 0x7c, vcc_lo
; %bb.4290:                             ;   in Loop: Header=BB6_3279 Depth=2
	s_or_b32 exec_lo, exec_lo, s26
.LBB6_4291:                             ;   in Loop: Header=BB6_3279 Depth=2
	s_delay_alu instid0(SALU_CYCLE_1)
	s_or_b32 exec_lo, exec_lo, s10
	v_dual_mov_b32 v0, 0 :: v_dual_mov_b32 v1, 0
	s_mov_b32 s10, exec_lo
	v_cmpx_ne_u16_e32 0, v58
	s_cbranch_execz .LBB6_4301
; %bb.4292:                             ;   in Loop: Header=BB6_3279 Depth=2
	v_bfrev_b32_e32 v1, 1
	s_mov_b32 s26, exec_lo
	v_cmpx_ne_u16_e32 0xff80, v58
	s_cbranch_execz .LBB6_4300
; %bb.4293:                             ;   in Loop: Header=BB6_3279 Depth=2
	v_and_b32_e32 v1, 0x7c, v58
	v_and_b32_e32 v2, 3, v58
	s_delay_alu instid0(VALU_DEP_2) | instskip(SKIP_1) | instid1(SALU_CYCLE_1)
	v_cmp_ne_u32_e32 vcc_lo, 0x7c, v1
                                        ; implicit-def: $vgpr1
	s_and_saveexec_b32 s27, vcc_lo
	s_xor_b32 s27, exec_lo, s27
	s_cbranch_execz .LBB6_4297
; %bb.4294:                             ;   in Loop: Header=BB6_3279 Depth=2
	v_and_b32_e32 v1, 0xff, v58
	s_mov_b32 s28, exec_lo
	s_delay_alu instid0(VALU_DEP_1) | instskip(NEXT) | instid1(VALU_DEP_1)
	v_bfe_u32 v1, v1, 2, 5
	v_cmpx_eq_u32_e32 0, v1
	s_cbranch_execz .LBB6_4296
; %bb.4295:                             ;   in Loop: Header=BB6_3279 Depth=2
	v_clz_i32_u32_e32 v1, v2
	s_delay_alu instid0(VALU_DEP_1) | instskip(SKIP_1) | instid1(VALU_DEP_2)
	v_min_u32_e32 v1, 32, v1
	v_mov_b32_e32 v59, v5
	v_subrev_nc_u32_e32 v2, 29, v1
	v_sub_nc_u32_e32 v1, 30, v1
	s_delay_alu instid0(VALU_DEP_2) | instskip(NEXT) | instid1(VALU_DEP_1)
	v_lshlrev_b64_e32 v[2:3], v2, v[58:59]
	v_and_b32_e32 v2, 3, v2
.LBB6_4296:                             ;   in Loop: Header=BB6_3279 Depth=2
	s_or_b32 exec_lo, exec_lo, s28
	v_bfe_i32 v3, v58, 0, 16
                                        ; implicit-def: $vgpr58
	s_delay_alu instid0(VALU_DEP_1) | instskip(NEXT) | instid1(VALU_DEP_1)
	v_and_b32_e32 v3, 0x80000000, v3
	v_lshl_add_u32 v1, v1, 23, v3
	s_delay_alu instid0(VALU_DEP_1) | instskip(NEXT) | instid1(VALU_DEP_1)
	v_lshl_or_b32 v1, v2, 21, v1
                                        ; implicit-def: $vgpr2
	v_add_nc_u32_e32 v1, 0x38000000, v1
.LBB6_4297:                             ;   in Loop: Header=BB6_3279 Depth=2
	s_and_not1_saveexec_b32 s27, s27
; %bb.4298:                             ;   in Loop: Header=BB6_3279 Depth=2
	v_cmp_lt_i16_e32 vcc_lo, -1, v58
	v_cndmask_b32_e32 v1, 0xff800000, v109, vcc_lo
	v_cmp_eq_u32_e32 vcc_lo, 0, v2
	s_delay_alu instid0(VALU_DEP_2)
	v_cndmask_b32_e32 v1, 0x7f800001, v1, vcc_lo
; %bb.4299:                             ;   in Loop: Header=BB6_3279 Depth=2
	s_or_b32 exec_lo, exec_lo, s27
.LBB6_4300:                             ;   in Loop: Header=BB6_3279 Depth=2
	s_delay_alu instid0(SALU_CYCLE_1)
	s_or_b32 exec_lo, exec_lo, s26
.LBB6_4301:                             ;   in Loop: Header=BB6_3279 Depth=2
	s_delay_alu instid0(SALU_CYCLE_1) | instskip(NEXT) | instid1(SALU_CYCLE_1)
	s_or_b32 exec_lo, exec_lo, s10
	s_mov_b32 s10, exec_lo
	v_cmpx_ne_u16_e32 0, v56
	s_cbranch_execz .LBB6_4311
; %bb.4302:                             ;   in Loop: Header=BB6_3279 Depth=2
	v_bfrev_b32_e32 v0, 1
	s_mov_b32 s26, exec_lo
	v_cmpx_ne_u16_e32 0xff80, v56
	s_cbranch_execz .LBB6_4310
; %bb.4303:                             ;   in Loop: Header=BB6_3279 Depth=2
	v_and_b32_e32 v0, 0x7c, v56
	v_and_b32_e32 v2, 3, v56
	s_delay_alu instid0(VALU_DEP_2) | instskip(SKIP_1) | instid1(SALU_CYCLE_1)
	v_cmp_ne_u32_e32 vcc_lo, 0x7c, v0
                                        ; implicit-def: $vgpr0
	s_and_saveexec_b32 s27, vcc_lo
	s_xor_b32 s27, exec_lo, s27
	s_cbranch_execz .LBB6_4307
; %bb.4304:                             ;   in Loop: Header=BB6_3279 Depth=2
	v_and_b32_e32 v0, 0xff, v56
	s_mov_b32 s28, exec_lo
	s_delay_alu instid0(VALU_DEP_1) | instskip(NEXT) | instid1(VALU_DEP_1)
	v_bfe_u32 v0, v0, 2, 5
	v_cmpx_eq_u32_e32 0, v0
	s_cbranch_execz .LBB6_4306
; %bb.4305:                             ;   in Loop: Header=BB6_3279 Depth=2
	v_clz_i32_u32_e32 v0, v2
	s_delay_alu instid0(VALU_DEP_1) | instskip(SKIP_1) | instid1(VALU_DEP_2)
	v_min_u32_e32 v0, 32, v0
	v_mov_b32_e32 v57, v5
	v_subrev_nc_u32_e32 v2, 29, v0
	v_sub_nc_u32_e32 v0, 30, v0
	s_delay_alu instid0(VALU_DEP_2) | instskip(NEXT) | instid1(VALU_DEP_1)
	v_lshlrev_b64_e32 v[2:3], v2, v[56:57]
	v_and_b32_e32 v2, 3, v2
.LBB6_4306:                             ;   in Loop: Header=BB6_3279 Depth=2
	s_or_b32 exec_lo, exec_lo, s28
	v_bfe_i32 v3, v56, 0, 16
                                        ; implicit-def: $vgpr56
	s_delay_alu instid0(VALU_DEP_1) | instskip(NEXT) | instid1(VALU_DEP_1)
	v_and_b32_e32 v3, 0x80000000, v3
	v_lshl_add_u32 v0, v0, 23, v3
	s_delay_alu instid0(VALU_DEP_1) | instskip(NEXT) | instid1(VALU_DEP_1)
	v_lshl_or_b32 v0, v2, 21, v0
                                        ; implicit-def: $vgpr2
	v_add_nc_u32_e32 v0, 0x38000000, v0
.LBB6_4307:                             ;   in Loop: Header=BB6_3279 Depth=2
	s_and_not1_saveexec_b32 s27, s27
; %bb.4308:                             ;   in Loop: Header=BB6_3279 Depth=2
	v_cmp_lt_i16_e32 vcc_lo, -1, v56
	v_cndmask_b32_e32 v0, 0xff800000, v109, vcc_lo
	v_cmp_eq_u32_e32 vcc_lo, 0, v2
	s_delay_alu instid0(VALU_DEP_2)
	v_cndmask_b32_e32 v0, 0x7f800001, v0, vcc_lo
; %bb.4309:                             ;   in Loop: Header=BB6_3279 Depth=2
	s_or_b32 exec_lo, exec_lo, s27
.LBB6_4310:                             ;   in Loop: Header=BB6_3279 Depth=2
	s_delay_alu instid0(SALU_CYCLE_1)
	s_or_b32 exec_lo, exec_lo, s26
.LBB6_4311:                             ;   in Loop: Header=BB6_3279 Depth=2
	s_delay_alu instid0(SALU_CYCLE_1) | instskip(NEXT) | instid1(VALU_DEP_1)
	s_or_b32 exec_lo, exec_lo, s10
	v_mul_f32_e32 v0, v1, v0
	v_mov_b32_e32 v3, v5
                                        ; implicit-def: $vgpr66
	s_mov_b32 s10, exec_lo
	s_delay_alu instid0(VALU_DEP_2) | instskip(SKIP_1) | instid1(VALU_DEP_2)
	v_and_b32_e32 v2, 0x7f800000, v0
	v_and_b32_e32 v4, 0x7fffff, v0
	v_cmpx_ne_u64_e32 0x7f800000, v[2:3]
	s_xor_b32 s26, exec_lo, s10
	s_cbranch_execz .LBB6_4329
; %bb.4312:                             ;   in Loop: Header=BB6_3279 Depth=2
	v_dual_mov_b32 v3, v5 :: v_dual_lshrrev_b32 v1, 24, v0
	v_and_b32_e32 v2, 0x7fffffff, v0
                                        ; implicit-def: $vgpr66
	s_mov_b32 s10, exec_lo
	s_delay_alu instid0(VALU_DEP_2) | instskip(NEXT) | instid1(VALU_DEP_2)
	v_and_b32_e32 v27, 0x80, v1
	v_cmpx_gt_u64_e32 0x47600001, v[2:3]
	s_xor_b32 s27, exec_lo, s10
	s_cbranch_execz .LBB6_4326
; %bb.4313:                             ;   in Loop: Header=BB6_3279 Depth=2
	v_mov_b32_e32 v66, 0
	s_mov_b32 s28, exec_lo
	v_cmpx_ne_u32_e32 0, v0
	s_cbranch_execz .LBB6_4325
; %bb.4314:                             ;   in Loop: Header=BB6_3279 Depth=2
	v_bfe_u32 v29, v0, 23, 8
	v_or_b32_e32 v2, 0x800000, v4
	s_mov_b32 s29, exec_lo
	s_delay_alu instid0(VALU_DEP_2) | instskip(SKIP_1) | instid1(VALU_DEP_2)
	v_dual_mov_b32 v3, v5 :: v_dual_sub_nc_u32 v0, 0x71, v29
	v_cmp_gt_u32_e32 vcc_lo, 0x72, v29
	v_cndmask_b32_e32 v0, 0, v0, vcc_lo
	v_cmp_eq_u32_e32 vcc_lo, 0, v29
	s_delay_alu instid0(VALU_DEP_2) | instskip(NEXT) | instid1(VALU_DEP_1)
	v_cndmask_b32_e64 v33, v0, 0x70, vcc_lo
	v_dual_cndmask_b32 v2, v2, v4, vcc_lo :: v_dual_add_nc_u32 v0, 21, v33
	v_add_nc_u32_e32 v26, 20, v33
	s_delay_alu instid0(VALU_DEP_2) | instskip(NEXT) | instid1(VALU_DEP_2)
	v_lshlrev_b64_e64 v[0:1], v0, -1
	v_lshlrev_b64_e64 v[66:67], v26, 1
	s_delay_alu instid0(VALU_DEP_2) | instskip(NEXT) | instid1(VALU_DEP_3)
	v_bfi_b32 v69, v1, 0, 0
	v_bfi_b32 v68, v0, 0, v2
	v_lshrrev_b64 v[0:1], v33, v[2:3]
	s_delay_alu instid0(VALU_DEP_1) | instskip(NEXT) | instid1(VALU_DEP_3)
	v_mov_b64_e32 v[2:3], v[0:1]
	v_cmpx_eq_u64_e64 v[68:69], v[66:67]
; %bb.4315:                             ;   in Loop: Header=BB6_3279 Depth=2
	v_bfe_u32 v2, v0, 21, 1
	v_mov_b32_e32 v3, v5
	s_delay_alu instid0(VALU_DEP_1) | instskip(NEXT) | instid1(VALU_DEP_1)
	v_add_nc_u64_e32 v[2:3], v[0:1], v[2:3]
	v_add_nc_u64_e32 v[2:3], -1, v[2:3]
; %bb.4316:                             ;   in Loop: Header=BB6_3279 Depth=2
	s_or_b32 exec_lo, exec_lo, s29
	v_add_nc_u32_e32 v1, 0xffffff81, v29
	s_delay_alu instid0(VALU_DEP_2) | instskip(SKIP_2) | instid1(VALU_DEP_3)
	v_and_b32_e32 v2, 0x1fffff, v2
	v_lshrrev_b32_e32 v3, 23, v0
	s_mov_b32 s10, exec_lo
	v_cndmask_b32_e64 v1, v1, 0xffffff82, vcc_lo
	s_delay_alu instid0(VALU_DEP_3) | instskip(NEXT) | instid1(VALU_DEP_2)
	v_add_nc_u32_e32 v4, v2, v0
                                        ; implicit-def: $vgpr2
	v_add3_u32 v3, v33, v1, v3
                                        ; implicit-def: $vgpr0_vgpr1
	s_delay_alu instid0(VALU_DEP_1) | instskip(NEXT) | instid1(VALU_DEP_1)
	v_add_nc_u32_e32 v29, 14, v3
	v_cmpx_ne_u32_e32 0, v29
	s_xor_b32 s10, exec_lo, s10
; %bb.4317:                             ;   in Loop: Header=BB6_3279 Depth=2
	v_cmp_lt_u64_e32 vcc_lo, 0xffffff, v[4:5]
	v_add_nc_u32_e32 v0, 15, v3
	s_delay_alu instid0(VALU_DEP_1) | instskip(SKIP_1) | instid1(VALU_DEP_1)
	v_cndmask_b32_e32 v2, v29, v0, vcc_lo
	v_cndmask_b32_e64 v0, 0, 1, vcc_lo
	v_lshrrev_b64 v[0:1], v0, v[4:5]
; %bb.4318:                             ;   in Loop: Header=BB6_3279 Depth=2
	s_and_not1_saveexec_b32 s10, s10
; %bb.4319:                             ;   in Loop: Header=BB6_3279 Depth=2
	v_mov_b64_e32 v[0:1], v[4:5]
	v_bfe_u32 v2, v4, 23, 1
; %bb.4320:                             ;   in Loop: Header=BB6_3279 Depth=2
	s_or_b32 exec_lo, exec_lo, s10
	s_delay_alu instid0(VALU_DEP_2) | instskip(NEXT) | instid1(VALU_DEP_2)
	v_lshrrev_b64 v[0:1], 21, v[0:1]
	v_cmp_gt_i32_e32 vcc_lo, 32, v2
	v_cmp_ne_u32_e64 s10, 0, v2
                                        ; implicit-def: $vgpr66
	s_delay_alu instid0(VALU_DEP_3) | instskip(NEXT) | instid1(VALU_DEP_1)
	v_dual_cndmask_b32 v1, 0, v1 :: v_dual_cndmask_b32 v0, 3, v0
	v_cmp_ne_u64_e32 vcc_lo, 0, v[0:1]
	s_or_b32 s10, s10, vcc_lo
	s_delay_alu instid0(SALU_CYCLE_1) | instskip(NEXT) | instid1(SALU_CYCLE_1)
	s_and_saveexec_b32 s29, s10
	s_xor_b32 s10, exec_lo, s29
; %bb.4321:                             ;   in Loop: Header=BB6_3279 Depth=2
	v_min_i32_e32 v1, 31, v2
	s_delay_alu instid0(VALU_DEP_1) | instskip(NEXT) | instid1(VALU_DEP_1)
	v_lshl_or_b32 v1, v1, 2, v27
                                        ; implicit-def: $vgpr27
	v_and_or_b32 v66, v0, 3, v1
; %bb.4322:                             ;   in Loop: Header=BB6_3279 Depth=2
	s_and_not1_saveexec_b32 s10, s10
; %bb.4323:                             ;   in Loop: Header=BB6_3279 Depth=2
	v_mov_b32_e32 v66, v27
; %bb.4324:                             ;   in Loop: Header=BB6_3279 Depth=2
	s_or_b32 exec_lo, exec_lo, s10
.LBB6_4325:                             ;   in Loop: Header=BB6_3279 Depth=2
	s_delay_alu instid0(SALU_CYCLE_1)
	s_or_b32 exec_lo, exec_lo, s28
                                        ; implicit-def: $vgpr27
.LBB6_4326:                             ;   in Loop: Header=BB6_3279 Depth=2
	s_and_not1_saveexec_b32 s10, s27
; %bb.4327:                             ;   in Loop: Header=BB6_3279 Depth=2
	v_or_b32_e32 v66, 0x7b, v27
; %bb.4328:                             ;   in Loop: Header=BB6_3279 Depth=2
	s_or_b32 exec_lo, exec_lo, s10
                                        ; implicit-def: $vgpr0
.LBB6_4329:                             ;   in Loop: Header=BB6_3279 Depth=2
	s_and_not1_saveexec_b32 s10, s26
	s_cbranch_execz .LBB6_4335
; %bb.4330:                             ;   in Loop: Header=BB6_3279 Depth=2
	s_mov_b32 s26, exec_lo
                                        ; implicit-def: $vgpr66
	v_cmpx_ne_u64_e32 0, v[4:5]
	s_xor_b32 s26, exec_lo, s26
; %bb.4331:                             ;   in Loop: Header=BB6_3279 Depth=2
	v_lshrrev_b32_e32 v0, 24, v0
	s_delay_alu instid0(VALU_DEP_1)
	v_or_b32_e32 v66, 0x7f, v0
                                        ; implicit-def: $vgpr0
; %bb.4332:                             ;   in Loop: Header=BB6_3279 Depth=2
	s_and_not1_saveexec_b32 s26, s26
; %bb.4333:                             ;   in Loop: Header=BB6_3279 Depth=2
	v_cmp_lt_i32_e32 vcc_lo, -1, v0
	v_cndmask_b32_e64 v66, -4, 0x7c, vcc_lo
; %bb.4334:                             ;   in Loop: Header=BB6_3279 Depth=2
	s_or_b32 exec_lo, exec_lo, s26
.LBB6_4335:                             ;   in Loop: Header=BB6_3279 Depth=2
	s_delay_alu instid0(SALU_CYCLE_1)
	s_or_b32 exec_lo, exec_lo, s10
	v_dual_mov_b32 v0, 0 :: v_dual_mov_b32 v1, 0
	s_mov_b32 s10, exec_lo
	v_cmpx_ne_u16_e32 0, v46
	s_cbranch_execz .LBB6_4345
; %bb.4336:                             ;   in Loop: Header=BB6_3279 Depth=2
	v_bfrev_b32_e32 v1, 1
	s_mov_b32 s26, exec_lo
	v_cmpx_ne_u16_e32 0xff80, v46
	s_cbranch_execz .LBB6_4344
; %bb.4337:                             ;   in Loop: Header=BB6_3279 Depth=2
	v_and_b32_e32 v1, 0x7c, v46
	v_and_b32_e32 v2, 3, v46
	s_delay_alu instid0(VALU_DEP_2) | instskip(SKIP_1) | instid1(SALU_CYCLE_1)
	v_cmp_ne_u32_e32 vcc_lo, 0x7c, v1
                                        ; implicit-def: $vgpr1
	s_and_saveexec_b32 s27, vcc_lo
	s_xor_b32 s27, exec_lo, s27
	s_cbranch_execz .LBB6_4341
; %bb.4338:                             ;   in Loop: Header=BB6_3279 Depth=2
	v_and_b32_e32 v1, 0xff, v46
	s_mov_b32 s28, exec_lo
	s_delay_alu instid0(VALU_DEP_1) | instskip(NEXT) | instid1(VALU_DEP_1)
	v_bfe_u32 v1, v1, 2, 5
	v_cmpx_eq_u32_e32 0, v1
	s_cbranch_execz .LBB6_4340
; %bb.4339:                             ;   in Loop: Header=BB6_3279 Depth=2
	v_clz_i32_u32_e32 v1, v2
	s_delay_alu instid0(VALU_DEP_1) | instskip(SKIP_1) | instid1(VALU_DEP_2)
	v_min_u32_e32 v1, 32, v1
	v_mov_b32_e32 v47, v5
	v_subrev_nc_u32_e32 v2, 29, v1
	v_sub_nc_u32_e32 v1, 30, v1
	s_delay_alu instid0(VALU_DEP_2) | instskip(NEXT) | instid1(VALU_DEP_1)
	v_lshlrev_b64_e32 v[2:3], v2, v[46:47]
	v_and_b32_e32 v2, 3, v2
.LBB6_4340:                             ;   in Loop: Header=BB6_3279 Depth=2
	s_or_b32 exec_lo, exec_lo, s28
	v_bfe_i32 v3, v46, 0, 16
                                        ; implicit-def: $vgpr46
	s_delay_alu instid0(VALU_DEP_1) | instskip(NEXT) | instid1(VALU_DEP_1)
	v_and_b32_e32 v3, 0x80000000, v3
	v_lshl_add_u32 v1, v1, 23, v3
	s_delay_alu instid0(VALU_DEP_1) | instskip(NEXT) | instid1(VALU_DEP_1)
	v_lshl_or_b32 v1, v2, 21, v1
                                        ; implicit-def: $vgpr2
	v_add_nc_u32_e32 v1, 0x38000000, v1
.LBB6_4341:                             ;   in Loop: Header=BB6_3279 Depth=2
	s_and_not1_saveexec_b32 s27, s27
; %bb.4342:                             ;   in Loop: Header=BB6_3279 Depth=2
	v_cmp_lt_i16_e32 vcc_lo, -1, v46
	v_cndmask_b32_e32 v1, 0xff800000, v109, vcc_lo
	v_cmp_eq_u32_e32 vcc_lo, 0, v2
	s_delay_alu instid0(VALU_DEP_2)
	v_cndmask_b32_e32 v1, 0x7f800001, v1, vcc_lo
; %bb.4343:                             ;   in Loop: Header=BB6_3279 Depth=2
	s_or_b32 exec_lo, exec_lo, s27
.LBB6_4344:                             ;   in Loop: Header=BB6_3279 Depth=2
	s_delay_alu instid0(SALU_CYCLE_1)
	s_or_b32 exec_lo, exec_lo, s26
.LBB6_4345:                             ;   in Loop: Header=BB6_3279 Depth=2
	s_delay_alu instid0(SALU_CYCLE_1) | instskip(NEXT) | instid1(SALU_CYCLE_1)
	s_or_b32 exec_lo, exec_lo, s10
	s_mov_b32 s10, exec_lo
	v_cmpx_ne_u16_e32 0, v44
	s_cbranch_execz .LBB6_4355
; %bb.4346:                             ;   in Loop: Header=BB6_3279 Depth=2
	v_bfrev_b32_e32 v0, 1
	s_mov_b32 s26, exec_lo
	v_cmpx_ne_u16_e32 0xff80, v44
	s_cbranch_execz .LBB6_4354
; %bb.4347:                             ;   in Loop: Header=BB6_3279 Depth=2
	v_and_b32_e32 v0, 0x7c, v44
	v_and_b32_e32 v2, 3, v44
	s_delay_alu instid0(VALU_DEP_2) | instskip(SKIP_1) | instid1(SALU_CYCLE_1)
	v_cmp_ne_u32_e32 vcc_lo, 0x7c, v0
                                        ; implicit-def: $vgpr0
	s_and_saveexec_b32 s27, vcc_lo
	s_xor_b32 s27, exec_lo, s27
	s_cbranch_execz .LBB6_4351
; %bb.4348:                             ;   in Loop: Header=BB6_3279 Depth=2
	v_and_b32_e32 v0, 0xff, v44
	s_mov_b32 s28, exec_lo
	s_delay_alu instid0(VALU_DEP_1) | instskip(NEXT) | instid1(VALU_DEP_1)
	v_bfe_u32 v0, v0, 2, 5
	v_cmpx_eq_u32_e32 0, v0
	s_cbranch_execz .LBB6_4350
; %bb.4349:                             ;   in Loop: Header=BB6_3279 Depth=2
	v_clz_i32_u32_e32 v0, v2
	s_delay_alu instid0(VALU_DEP_1) | instskip(SKIP_1) | instid1(VALU_DEP_2)
	v_min_u32_e32 v0, 32, v0
	v_mov_b32_e32 v45, v5
	v_subrev_nc_u32_e32 v2, 29, v0
	v_sub_nc_u32_e32 v0, 30, v0
	s_delay_alu instid0(VALU_DEP_2) | instskip(NEXT) | instid1(VALU_DEP_1)
	v_lshlrev_b64_e32 v[2:3], v2, v[44:45]
	v_and_b32_e32 v2, 3, v2
.LBB6_4350:                             ;   in Loop: Header=BB6_3279 Depth=2
	s_or_b32 exec_lo, exec_lo, s28
	v_bfe_i32 v3, v44, 0, 16
                                        ; implicit-def: $vgpr44
	s_delay_alu instid0(VALU_DEP_1) | instskip(NEXT) | instid1(VALU_DEP_1)
	v_and_b32_e32 v3, 0x80000000, v3
	v_lshl_add_u32 v0, v0, 23, v3
	s_delay_alu instid0(VALU_DEP_1) | instskip(NEXT) | instid1(VALU_DEP_1)
	v_lshl_or_b32 v0, v2, 21, v0
                                        ; implicit-def: $vgpr2
	v_add_nc_u32_e32 v0, 0x38000000, v0
.LBB6_4351:                             ;   in Loop: Header=BB6_3279 Depth=2
	s_and_not1_saveexec_b32 s27, s27
; %bb.4352:                             ;   in Loop: Header=BB6_3279 Depth=2
	v_cmp_lt_i16_e32 vcc_lo, -1, v44
	v_cndmask_b32_e32 v0, 0xff800000, v109, vcc_lo
	v_cmp_eq_u32_e32 vcc_lo, 0, v2
	s_delay_alu instid0(VALU_DEP_2)
	v_cndmask_b32_e32 v0, 0x7f800001, v0, vcc_lo
; %bb.4353:                             ;   in Loop: Header=BB6_3279 Depth=2
	s_or_b32 exec_lo, exec_lo, s27
.LBB6_4354:                             ;   in Loop: Header=BB6_3279 Depth=2
	s_delay_alu instid0(SALU_CYCLE_1)
	s_or_b32 exec_lo, exec_lo, s26
.LBB6_4355:                             ;   in Loop: Header=BB6_3279 Depth=2
	s_delay_alu instid0(SALU_CYCLE_1) | instskip(NEXT) | instid1(VALU_DEP_1)
	s_or_b32 exec_lo, exec_lo, s10
	v_mul_f32_e32 v0, v1, v0
	v_mov_b32_e32 v3, v5
                                        ; implicit-def: $vgpr67
	s_mov_b32 s10, exec_lo
	s_delay_alu instid0(VALU_DEP_2) | instskip(SKIP_1) | instid1(VALU_DEP_2)
	v_and_b32_e32 v2, 0x7f800000, v0
	v_and_b32_e32 v4, 0x7fffff, v0
	v_cmpx_ne_u64_e32 0x7f800000, v[2:3]
	s_xor_b32 s26, exec_lo, s10
	s_cbranch_execz .LBB6_4373
; %bb.4356:                             ;   in Loop: Header=BB6_3279 Depth=2
	v_dual_mov_b32 v3, v5 :: v_dual_lshrrev_b32 v1, 24, v0
	v_and_b32_e32 v2, 0x7fffffff, v0
                                        ; implicit-def: $vgpr67
	s_mov_b32 s10, exec_lo
	s_delay_alu instid0(VALU_DEP_2) | instskip(NEXT) | instid1(VALU_DEP_2)
	v_and_b32_e32 v27, 0x80, v1
	v_cmpx_gt_u64_e32 0x47600001, v[2:3]
	s_xor_b32 s27, exec_lo, s10
	s_cbranch_execz .LBB6_4370
; %bb.4357:                             ;   in Loop: Header=BB6_3279 Depth=2
	v_mov_b32_e32 v67, 0
	s_mov_b32 s28, exec_lo
	v_cmpx_ne_u32_e32 0, v0
	s_cbranch_execz .LBB6_4369
; %bb.4358:                             ;   in Loop: Header=BB6_3279 Depth=2
	v_bfe_u32 v29, v0, 23, 8
	v_or_b32_e32 v2, 0x800000, v4
	s_mov_b32 s29, exec_lo
	s_delay_alu instid0(VALU_DEP_2) | instskip(SKIP_1) | instid1(VALU_DEP_2)
	v_dual_mov_b32 v3, v5 :: v_dual_sub_nc_u32 v0, 0x71, v29
	v_cmp_gt_u32_e32 vcc_lo, 0x72, v29
	v_cndmask_b32_e32 v0, 0, v0, vcc_lo
	v_cmp_eq_u32_e32 vcc_lo, 0, v29
	s_delay_alu instid0(VALU_DEP_2) | instskip(NEXT) | instid1(VALU_DEP_1)
	v_cndmask_b32_e64 v33, v0, 0x70, vcc_lo
	v_dual_cndmask_b32 v2, v2, v4, vcc_lo :: v_dual_add_nc_u32 v0, 21, v33
	v_add_nc_u32_e32 v26, 20, v33
	s_delay_alu instid0(VALU_DEP_2) | instskip(NEXT) | instid1(VALU_DEP_2)
	v_lshlrev_b64_e64 v[0:1], v0, -1
	v_lshlrev_b64_e64 v[68:69], v26, 1
	s_delay_alu instid0(VALU_DEP_2) | instskip(NEXT) | instid1(VALU_DEP_3)
	v_bfi_b32 v71, v1, 0, 0
	v_bfi_b32 v70, v0, 0, v2
	v_lshrrev_b64 v[0:1], v33, v[2:3]
	s_delay_alu instid0(VALU_DEP_1) | instskip(NEXT) | instid1(VALU_DEP_3)
	v_mov_b64_e32 v[2:3], v[0:1]
	v_cmpx_eq_u64_e64 v[70:71], v[68:69]
; %bb.4359:                             ;   in Loop: Header=BB6_3279 Depth=2
	v_bfe_u32 v2, v0, 21, 1
	v_mov_b32_e32 v3, v5
	s_delay_alu instid0(VALU_DEP_1) | instskip(NEXT) | instid1(VALU_DEP_1)
	v_add_nc_u64_e32 v[2:3], v[0:1], v[2:3]
	v_add_nc_u64_e32 v[2:3], -1, v[2:3]
; %bb.4360:                             ;   in Loop: Header=BB6_3279 Depth=2
	s_or_b32 exec_lo, exec_lo, s29
	v_add_nc_u32_e32 v1, 0xffffff81, v29
	s_delay_alu instid0(VALU_DEP_2) | instskip(SKIP_2) | instid1(VALU_DEP_3)
	v_and_b32_e32 v2, 0x1fffff, v2
	v_lshrrev_b32_e32 v3, 23, v0
	s_mov_b32 s10, exec_lo
	v_cndmask_b32_e64 v1, v1, 0xffffff82, vcc_lo
	s_delay_alu instid0(VALU_DEP_3) | instskip(NEXT) | instid1(VALU_DEP_2)
	v_add_nc_u32_e32 v4, v2, v0
                                        ; implicit-def: $vgpr2
	v_add3_u32 v3, v33, v1, v3
                                        ; implicit-def: $vgpr0_vgpr1
	s_delay_alu instid0(VALU_DEP_1) | instskip(NEXT) | instid1(VALU_DEP_1)
	v_add_nc_u32_e32 v29, 14, v3
	v_cmpx_ne_u32_e32 0, v29
	s_xor_b32 s10, exec_lo, s10
; %bb.4361:                             ;   in Loop: Header=BB6_3279 Depth=2
	v_cmp_lt_u64_e32 vcc_lo, 0xffffff, v[4:5]
	v_add_nc_u32_e32 v0, 15, v3
	s_delay_alu instid0(VALU_DEP_1) | instskip(SKIP_1) | instid1(VALU_DEP_1)
	v_cndmask_b32_e32 v2, v29, v0, vcc_lo
	v_cndmask_b32_e64 v0, 0, 1, vcc_lo
	v_lshrrev_b64 v[0:1], v0, v[4:5]
; %bb.4362:                             ;   in Loop: Header=BB6_3279 Depth=2
	s_and_not1_saveexec_b32 s10, s10
; %bb.4363:                             ;   in Loop: Header=BB6_3279 Depth=2
	v_mov_b64_e32 v[0:1], v[4:5]
	v_bfe_u32 v2, v4, 23, 1
; %bb.4364:                             ;   in Loop: Header=BB6_3279 Depth=2
	s_or_b32 exec_lo, exec_lo, s10
	s_delay_alu instid0(VALU_DEP_2) | instskip(NEXT) | instid1(VALU_DEP_2)
	v_lshrrev_b64 v[0:1], 21, v[0:1]
	v_cmp_gt_i32_e32 vcc_lo, 32, v2
	v_cmp_ne_u32_e64 s10, 0, v2
                                        ; implicit-def: $vgpr67
	s_delay_alu instid0(VALU_DEP_3) | instskip(NEXT) | instid1(VALU_DEP_1)
	v_dual_cndmask_b32 v1, 0, v1 :: v_dual_cndmask_b32 v0, 3, v0
	v_cmp_ne_u64_e32 vcc_lo, 0, v[0:1]
	s_or_b32 s10, s10, vcc_lo
	s_delay_alu instid0(SALU_CYCLE_1) | instskip(NEXT) | instid1(SALU_CYCLE_1)
	s_and_saveexec_b32 s29, s10
	s_xor_b32 s10, exec_lo, s29
; %bb.4365:                             ;   in Loop: Header=BB6_3279 Depth=2
	v_min_i32_e32 v1, 31, v2
	s_delay_alu instid0(VALU_DEP_1) | instskip(NEXT) | instid1(VALU_DEP_1)
	v_lshl_or_b32 v1, v1, 2, v27
                                        ; implicit-def: $vgpr27
	v_and_or_b32 v67, v0, 3, v1
; %bb.4366:                             ;   in Loop: Header=BB6_3279 Depth=2
	s_and_not1_saveexec_b32 s10, s10
; %bb.4367:                             ;   in Loop: Header=BB6_3279 Depth=2
	v_mov_b32_e32 v67, v27
; %bb.4368:                             ;   in Loop: Header=BB6_3279 Depth=2
	s_or_b32 exec_lo, exec_lo, s10
.LBB6_4369:                             ;   in Loop: Header=BB6_3279 Depth=2
	s_delay_alu instid0(SALU_CYCLE_1)
	s_or_b32 exec_lo, exec_lo, s28
                                        ; implicit-def: $vgpr27
.LBB6_4370:                             ;   in Loop: Header=BB6_3279 Depth=2
	s_and_not1_saveexec_b32 s10, s27
; %bb.4371:                             ;   in Loop: Header=BB6_3279 Depth=2
	v_or_b32_e32 v67, 0x7b, v27
; %bb.4372:                             ;   in Loop: Header=BB6_3279 Depth=2
	s_or_b32 exec_lo, exec_lo, s10
                                        ; implicit-def: $vgpr0
.LBB6_4373:                             ;   in Loop: Header=BB6_3279 Depth=2
	s_and_not1_saveexec_b32 s10, s26
	s_cbranch_execz .LBB6_4379
; %bb.4374:                             ;   in Loop: Header=BB6_3279 Depth=2
	s_mov_b32 s26, exec_lo
                                        ; implicit-def: $vgpr67
	v_cmpx_ne_u64_e32 0, v[4:5]
	s_xor_b32 s26, exec_lo, s26
; %bb.4375:                             ;   in Loop: Header=BB6_3279 Depth=2
	v_lshrrev_b32_e32 v0, 24, v0
	s_delay_alu instid0(VALU_DEP_1)
	v_or_b32_e32 v67, 0x7f, v0
                                        ; implicit-def: $vgpr0
; %bb.4376:                             ;   in Loop: Header=BB6_3279 Depth=2
	s_and_not1_saveexec_b32 s26, s26
; %bb.4377:                             ;   in Loop: Header=BB6_3279 Depth=2
	v_cmp_lt_i32_e32 vcc_lo, -1, v0
	v_cndmask_b32_e64 v67, -4, 0x7c, vcc_lo
; %bb.4378:                             ;   in Loop: Header=BB6_3279 Depth=2
	s_or_b32 exec_lo, exec_lo, s26
.LBB6_4379:                             ;   in Loop: Header=BB6_3279 Depth=2
	s_delay_alu instid0(SALU_CYCLE_1)
	s_or_b32 exec_lo, exec_lo, s10
	v_dual_mov_b32 v0, 0 :: v_dual_mov_b32 v1, 0
	s_mov_b32 s10, exec_lo
	v_cmpx_ne_u16_e32 0, v42
	s_cbranch_execz .LBB6_4389
; %bb.4380:                             ;   in Loop: Header=BB6_3279 Depth=2
	v_bfrev_b32_e32 v1, 1
	s_mov_b32 s26, exec_lo
	v_cmpx_ne_u16_e32 0xff80, v42
	s_cbranch_execz .LBB6_4388
; %bb.4381:                             ;   in Loop: Header=BB6_3279 Depth=2
	v_and_b32_e32 v1, 0x7c, v42
	v_and_b32_e32 v2, 3, v42
	s_delay_alu instid0(VALU_DEP_2) | instskip(SKIP_1) | instid1(SALU_CYCLE_1)
	v_cmp_ne_u32_e32 vcc_lo, 0x7c, v1
                                        ; implicit-def: $vgpr1
	s_and_saveexec_b32 s27, vcc_lo
	s_xor_b32 s27, exec_lo, s27
	s_cbranch_execz .LBB6_4385
; %bb.4382:                             ;   in Loop: Header=BB6_3279 Depth=2
	v_and_b32_e32 v1, 0xff, v42
	s_mov_b32 s28, exec_lo
	s_delay_alu instid0(VALU_DEP_1) | instskip(NEXT) | instid1(VALU_DEP_1)
	v_bfe_u32 v1, v1, 2, 5
	v_cmpx_eq_u32_e32 0, v1
	s_cbranch_execz .LBB6_4384
; %bb.4383:                             ;   in Loop: Header=BB6_3279 Depth=2
	v_clz_i32_u32_e32 v1, v2
	s_delay_alu instid0(VALU_DEP_1) | instskip(SKIP_1) | instid1(VALU_DEP_2)
	v_min_u32_e32 v1, 32, v1
	v_mov_b32_e32 v43, v5
	v_subrev_nc_u32_e32 v2, 29, v1
	v_sub_nc_u32_e32 v1, 30, v1
	s_delay_alu instid0(VALU_DEP_2) | instskip(NEXT) | instid1(VALU_DEP_1)
	v_lshlrev_b64_e32 v[2:3], v2, v[42:43]
	v_and_b32_e32 v2, 3, v2
.LBB6_4384:                             ;   in Loop: Header=BB6_3279 Depth=2
	s_or_b32 exec_lo, exec_lo, s28
	v_bfe_i32 v3, v42, 0, 16
                                        ; implicit-def: $vgpr42
	s_delay_alu instid0(VALU_DEP_1) | instskip(NEXT) | instid1(VALU_DEP_1)
	v_and_b32_e32 v3, 0x80000000, v3
	v_lshl_add_u32 v1, v1, 23, v3
	s_delay_alu instid0(VALU_DEP_1) | instskip(NEXT) | instid1(VALU_DEP_1)
	v_lshl_or_b32 v1, v2, 21, v1
                                        ; implicit-def: $vgpr2
	v_add_nc_u32_e32 v1, 0x38000000, v1
.LBB6_4385:                             ;   in Loop: Header=BB6_3279 Depth=2
	s_and_not1_saveexec_b32 s27, s27
; %bb.4386:                             ;   in Loop: Header=BB6_3279 Depth=2
	v_cmp_lt_i16_e32 vcc_lo, -1, v42
	v_cndmask_b32_e32 v1, 0xff800000, v109, vcc_lo
	v_cmp_eq_u32_e32 vcc_lo, 0, v2
	s_delay_alu instid0(VALU_DEP_2)
	v_cndmask_b32_e32 v1, 0x7f800001, v1, vcc_lo
; %bb.4387:                             ;   in Loop: Header=BB6_3279 Depth=2
	s_or_b32 exec_lo, exec_lo, s27
.LBB6_4388:                             ;   in Loop: Header=BB6_3279 Depth=2
	s_delay_alu instid0(SALU_CYCLE_1)
	s_or_b32 exec_lo, exec_lo, s26
.LBB6_4389:                             ;   in Loop: Header=BB6_3279 Depth=2
	s_delay_alu instid0(SALU_CYCLE_1) | instskip(NEXT) | instid1(SALU_CYCLE_1)
	s_or_b32 exec_lo, exec_lo, s10
	s_mov_b32 s10, exec_lo
	v_cmpx_ne_u16_e32 0, v50
	s_cbranch_execz .LBB6_4399
; %bb.4390:                             ;   in Loop: Header=BB6_3279 Depth=2
	v_bfrev_b32_e32 v0, 1
	s_mov_b32 s26, exec_lo
	v_cmpx_ne_u16_e32 0xff80, v50
	s_cbranch_execz .LBB6_4398
; %bb.4391:                             ;   in Loop: Header=BB6_3279 Depth=2
	v_and_b32_e32 v0, 0x7c, v50
	v_and_b32_e32 v2, 3, v50
	s_delay_alu instid0(VALU_DEP_2) | instskip(SKIP_1) | instid1(SALU_CYCLE_1)
	v_cmp_ne_u32_e32 vcc_lo, 0x7c, v0
                                        ; implicit-def: $vgpr0
	s_and_saveexec_b32 s27, vcc_lo
	s_xor_b32 s27, exec_lo, s27
	s_cbranch_execz .LBB6_4395
; %bb.4392:                             ;   in Loop: Header=BB6_3279 Depth=2
	v_and_b32_e32 v0, 0xff, v50
	s_mov_b32 s28, exec_lo
	s_delay_alu instid0(VALU_DEP_1) | instskip(NEXT) | instid1(VALU_DEP_1)
	v_bfe_u32 v0, v0, 2, 5
	v_cmpx_eq_u32_e32 0, v0
	s_cbranch_execz .LBB6_4394
; %bb.4393:                             ;   in Loop: Header=BB6_3279 Depth=2
	v_clz_i32_u32_e32 v0, v2
	s_delay_alu instid0(VALU_DEP_1) | instskip(SKIP_1) | instid1(VALU_DEP_2)
	v_min_u32_e32 v0, 32, v0
	v_mov_b32_e32 v51, v5
	v_subrev_nc_u32_e32 v2, 29, v0
	v_sub_nc_u32_e32 v0, 30, v0
	s_delay_alu instid0(VALU_DEP_2) | instskip(NEXT) | instid1(VALU_DEP_1)
	v_lshlrev_b64_e32 v[2:3], v2, v[50:51]
	v_and_b32_e32 v2, 3, v2
.LBB6_4394:                             ;   in Loop: Header=BB6_3279 Depth=2
	s_or_b32 exec_lo, exec_lo, s28
	v_bfe_i32 v3, v50, 0, 16
                                        ; implicit-def: $vgpr50
	s_delay_alu instid0(VALU_DEP_1) | instskip(NEXT) | instid1(VALU_DEP_1)
	v_and_b32_e32 v3, 0x80000000, v3
	v_lshl_add_u32 v0, v0, 23, v3
	s_delay_alu instid0(VALU_DEP_1) | instskip(NEXT) | instid1(VALU_DEP_1)
	v_lshl_or_b32 v0, v2, 21, v0
                                        ; implicit-def: $vgpr2
	v_add_nc_u32_e32 v0, 0x38000000, v0
.LBB6_4395:                             ;   in Loop: Header=BB6_3279 Depth=2
	s_and_not1_saveexec_b32 s27, s27
; %bb.4396:                             ;   in Loop: Header=BB6_3279 Depth=2
	v_cmp_lt_i16_e32 vcc_lo, -1, v50
	v_cndmask_b32_e32 v0, 0xff800000, v109, vcc_lo
	v_cmp_eq_u32_e32 vcc_lo, 0, v2
	s_delay_alu instid0(VALU_DEP_2)
	v_cndmask_b32_e32 v0, 0x7f800001, v0, vcc_lo
; %bb.4397:                             ;   in Loop: Header=BB6_3279 Depth=2
	s_or_b32 exec_lo, exec_lo, s27
.LBB6_4398:                             ;   in Loop: Header=BB6_3279 Depth=2
	s_delay_alu instid0(SALU_CYCLE_1)
	s_or_b32 exec_lo, exec_lo, s26
.LBB6_4399:                             ;   in Loop: Header=BB6_3279 Depth=2
	s_delay_alu instid0(SALU_CYCLE_1) | instskip(NEXT) | instid1(VALU_DEP_1)
	s_or_b32 exec_lo, exec_lo, s10
	v_mul_f32_e32 v0, v1, v0
	v_mov_b32_e32 v3, v5
                                        ; implicit-def: $vgpr50
	s_mov_b32 s10, exec_lo
	s_delay_alu instid0(VALU_DEP_2) | instskip(SKIP_1) | instid1(VALU_DEP_2)
	v_and_b32_e32 v2, 0x7f800000, v0
	v_and_b32_e32 v4, 0x7fffff, v0
	v_cmpx_ne_u64_e32 0x7f800000, v[2:3]
	s_xor_b32 s26, exec_lo, s10
	s_cbranch_execz .LBB6_4417
; %bb.4400:                             ;   in Loop: Header=BB6_3279 Depth=2
	v_dual_mov_b32 v3, v5 :: v_dual_lshrrev_b32 v1, 24, v0
	v_and_b32_e32 v2, 0x7fffffff, v0
                                        ; implicit-def: $vgpr50
	s_mov_b32 s10, exec_lo
	s_delay_alu instid0(VALU_DEP_2) | instskip(NEXT) | instid1(VALU_DEP_2)
	v_and_b32_e32 v27, 0x80, v1
	v_cmpx_gt_u64_e32 0x47600001, v[2:3]
	s_xor_b32 s27, exec_lo, s10
	s_cbranch_execz .LBB6_4414
; %bb.4401:                             ;   in Loop: Header=BB6_3279 Depth=2
	v_mov_b32_e32 v50, 0
	s_mov_b32 s28, exec_lo
	v_cmpx_ne_u32_e32 0, v0
	s_cbranch_execz .LBB6_4413
; %bb.4402:                             ;   in Loop: Header=BB6_3279 Depth=2
	v_bfe_u32 v29, v0, 23, 8
	v_or_b32_e32 v2, 0x800000, v4
	s_mov_b32 s29, exec_lo
	s_delay_alu instid0(VALU_DEP_2) | instskip(SKIP_1) | instid1(VALU_DEP_2)
	v_dual_mov_b32 v3, v5 :: v_dual_sub_nc_u32 v0, 0x71, v29
	v_cmp_gt_u32_e32 vcc_lo, 0x72, v29
	v_cndmask_b32_e32 v0, 0, v0, vcc_lo
	v_cmp_eq_u32_e32 vcc_lo, 0, v29
	s_delay_alu instid0(VALU_DEP_2) | instskip(NEXT) | instid1(VALU_DEP_1)
	v_cndmask_b32_e64 v33, v0, 0x70, vcc_lo
	v_dual_cndmask_b32 v2, v2, v4, vcc_lo :: v_dual_add_nc_u32 v0, 21, v33
	v_add_nc_u32_e32 v26, 20, v33
	s_delay_alu instid0(VALU_DEP_2) | instskip(NEXT) | instid1(VALU_DEP_2)
	v_lshlrev_b64_e64 v[0:1], v0, -1
	v_lshlrev_b64_e64 v[50:51], v26, 1
	s_delay_alu instid0(VALU_DEP_2) | instskip(NEXT) | instid1(VALU_DEP_3)
	v_bfi_b32 v69, v1, 0, 0
	v_bfi_b32 v68, v0, 0, v2
	v_lshrrev_b64 v[0:1], v33, v[2:3]
	s_delay_alu instid0(VALU_DEP_1) | instskip(NEXT) | instid1(VALU_DEP_3)
	v_mov_b64_e32 v[2:3], v[0:1]
	v_cmpx_eq_u64_e64 v[68:69], v[50:51]
; %bb.4403:                             ;   in Loop: Header=BB6_3279 Depth=2
	v_bfe_u32 v2, v0, 21, 1
	v_mov_b32_e32 v3, v5
	s_delay_alu instid0(VALU_DEP_1) | instskip(NEXT) | instid1(VALU_DEP_1)
	v_add_nc_u64_e32 v[2:3], v[0:1], v[2:3]
	v_add_nc_u64_e32 v[2:3], -1, v[2:3]
; %bb.4404:                             ;   in Loop: Header=BB6_3279 Depth=2
	s_or_b32 exec_lo, exec_lo, s29
	v_add_nc_u32_e32 v1, 0xffffff81, v29
	s_delay_alu instid0(VALU_DEP_2) | instskip(SKIP_2) | instid1(VALU_DEP_3)
	v_and_b32_e32 v2, 0x1fffff, v2
	v_lshrrev_b32_e32 v3, 23, v0
	s_mov_b32 s10, exec_lo
	v_cndmask_b32_e64 v1, v1, 0xffffff82, vcc_lo
	s_delay_alu instid0(VALU_DEP_3) | instskip(NEXT) | instid1(VALU_DEP_2)
	v_add_nc_u32_e32 v4, v2, v0
                                        ; implicit-def: $vgpr2
	v_add3_u32 v3, v33, v1, v3
                                        ; implicit-def: $vgpr0_vgpr1
	s_delay_alu instid0(VALU_DEP_1) | instskip(NEXT) | instid1(VALU_DEP_1)
	v_add_nc_u32_e32 v29, 14, v3
	v_cmpx_ne_u32_e32 0, v29
	s_xor_b32 s10, exec_lo, s10
; %bb.4405:                             ;   in Loop: Header=BB6_3279 Depth=2
	v_cmp_lt_u64_e32 vcc_lo, 0xffffff, v[4:5]
	v_add_nc_u32_e32 v0, 15, v3
	s_delay_alu instid0(VALU_DEP_1) | instskip(SKIP_1) | instid1(VALU_DEP_1)
	v_cndmask_b32_e32 v2, v29, v0, vcc_lo
	v_cndmask_b32_e64 v0, 0, 1, vcc_lo
	v_lshrrev_b64 v[0:1], v0, v[4:5]
; %bb.4406:                             ;   in Loop: Header=BB6_3279 Depth=2
	s_and_not1_saveexec_b32 s10, s10
; %bb.4407:                             ;   in Loop: Header=BB6_3279 Depth=2
	v_mov_b64_e32 v[0:1], v[4:5]
	v_bfe_u32 v2, v4, 23, 1
; %bb.4408:                             ;   in Loop: Header=BB6_3279 Depth=2
	s_or_b32 exec_lo, exec_lo, s10
	s_delay_alu instid0(VALU_DEP_2) | instskip(NEXT) | instid1(VALU_DEP_2)
	v_lshrrev_b64 v[0:1], 21, v[0:1]
	v_cmp_gt_i32_e32 vcc_lo, 32, v2
	v_cmp_ne_u32_e64 s10, 0, v2
                                        ; implicit-def: $vgpr50
	s_delay_alu instid0(VALU_DEP_3) | instskip(NEXT) | instid1(VALU_DEP_1)
	v_dual_cndmask_b32 v1, 0, v1 :: v_dual_cndmask_b32 v0, 3, v0
	v_cmp_ne_u64_e32 vcc_lo, 0, v[0:1]
	s_or_b32 s10, s10, vcc_lo
	s_delay_alu instid0(SALU_CYCLE_1) | instskip(NEXT) | instid1(SALU_CYCLE_1)
	s_and_saveexec_b32 s29, s10
	s_xor_b32 s10, exec_lo, s29
; %bb.4409:                             ;   in Loop: Header=BB6_3279 Depth=2
	v_min_i32_e32 v1, 31, v2
	s_delay_alu instid0(VALU_DEP_1) | instskip(NEXT) | instid1(VALU_DEP_1)
	v_lshl_or_b32 v1, v1, 2, v27
                                        ; implicit-def: $vgpr27
	v_and_or_b32 v50, v0, 3, v1
; %bb.4410:                             ;   in Loop: Header=BB6_3279 Depth=2
	s_and_not1_saveexec_b32 s10, s10
; %bb.4411:                             ;   in Loop: Header=BB6_3279 Depth=2
	v_mov_b32_e32 v50, v27
; %bb.4412:                             ;   in Loop: Header=BB6_3279 Depth=2
	s_or_b32 exec_lo, exec_lo, s10
.LBB6_4413:                             ;   in Loop: Header=BB6_3279 Depth=2
	s_delay_alu instid0(SALU_CYCLE_1)
	s_or_b32 exec_lo, exec_lo, s28
                                        ; implicit-def: $vgpr27
.LBB6_4414:                             ;   in Loop: Header=BB6_3279 Depth=2
	s_and_not1_saveexec_b32 s10, s27
; %bb.4415:                             ;   in Loop: Header=BB6_3279 Depth=2
	v_or_b32_e32 v50, 0x7b, v27
; %bb.4416:                             ;   in Loop: Header=BB6_3279 Depth=2
	s_or_b32 exec_lo, exec_lo, s10
                                        ; implicit-def: $vgpr0
.LBB6_4417:                             ;   in Loop: Header=BB6_3279 Depth=2
	s_and_not1_saveexec_b32 s10, s26
	s_cbranch_execz .LBB6_4423
; %bb.4418:                             ;   in Loop: Header=BB6_3279 Depth=2
	s_mov_b32 s26, exec_lo
                                        ; implicit-def: $vgpr50
	v_cmpx_ne_u64_e32 0, v[4:5]
	s_xor_b32 s26, exec_lo, s26
; %bb.4419:                             ;   in Loop: Header=BB6_3279 Depth=2
	v_lshrrev_b32_e32 v0, 24, v0
	s_delay_alu instid0(VALU_DEP_1)
	v_or_b32_e32 v50, 0x7f, v0
                                        ; implicit-def: $vgpr0
; %bb.4420:                             ;   in Loop: Header=BB6_3279 Depth=2
	s_and_not1_saveexec_b32 s26, s26
; %bb.4421:                             ;   in Loop: Header=BB6_3279 Depth=2
	v_cmp_lt_i32_e32 vcc_lo, -1, v0
	v_cndmask_b32_e64 v50, -4, 0x7c, vcc_lo
; %bb.4422:                             ;   in Loop: Header=BB6_3279 Depth=2
	s_or_b32 exec_lo, exec_lo, s26
.LBB6_4423:                             ;   in Loop: Header=BB6_3279 Depth=2
	s_delay_alu instid0(SALU_CYCLE_1)
	s_or_b32 exec_lo, exec_lo, s10
	v_dual_mov_b32 v0, 0 :: v_dual_mov_b32 v1, 0
	s_mov_b32 s10, exec_lo
	v_cmpx_ne_u16_e32 0, v48
	s_cbranch_execz .LBB6_4433
; %bb.4424:                             ;   in Loop: Header=BB6_3279 Depth=2
	v_bfrev_b32_e32 v1, 1
	s_mov_b32 s26, exec_lo
	v_cmpx_ne_u16_e32 0xff80, v48
	s_cbranch_execz .LBB6_4432
; %bb.4425:                             ;   in Loop: Header=BB6_3279 Depth=2
	v_and_b32_e32 v1, 0x7c, v48
	v_and_b32_e32 v2, 3, v48
	s_delay_alu instid0(VALU_DEP_2) | instskip(SKIP_1) | instid1(SALU_CYCLE_1)
	v_cmp_ne_u32_e32 vcc_lo, 0x7c, v1
                                        ; implicit-def: $vgpr1
	s_and_saveexec_b32 s27, vcc_lo
	s_xor_b32 s27, exec_lo, s27
	s_cbranch_execz .LBB6_4429
; %bb.4426:                             ;   in Loop: Header=BB6_3279 Depth=2
	v_and_b32_e32 v1, 0xff, v48
	s_mov_b32 s28, exec_lo
	s_delay_alu instid0(VALU_DEP_1) | instskip(NEXT) | instid1(VALU_DEP_1)
	v_bfe_u32 v1, v1, 2, 5
	v_cmpx_eq_u32_e32 0, v1
	s_cbranch_execz .LBB6_4428
; %bb.4427:                             ;   in Loop: Header=BB6_3279 Depth=2
	v_clz_i32_u32_e32 v1, v2
	s_delay_alu instid0(VALU_DEP_1) | instskip(SKIP_1) | instid1(VALU_DEP_2)
	v_min_u32_e32 v1, 32, v1
	v_mov_b32_e32 v49, v5
	v_subrev_nc_u32_e32 v2, 29, v1
	v_sub_nc_u32_e32 v1, 30, v1
	s_delay_alu instid0(VALU_DEP_2) | instskip(NEXT) | instid1(VALU_DEP_1)
	v_lshlrev_b64_e32 v[2:3], v2, v[48:49]
	v_and_b32_e32 v2, 3, v2
.LBB6_4428:                             ;   in Loop: Header=BB6_3279 Depth=2
	s_or_b32 exec_lo, exec_lo, s28
	v_bfe_i32 v3, v48, 0, 16
                                        ; implicit-def: $vgpr48
	s_delay_alu instid0(VALU_DEP_1) | instskip(NEXT) | instid1(VALU_DEP_1)
	v_and_b32_e32 v3, 0x80000000, v3
	v_lshl_add_u32 v1, v1, 23, v3
	s_delay_alu instid0(VALU_DEP_1) | instskip(NEXT) | instid1(VALU_DEP_1)
	v_lshl_or_b32 v1, v2, 21, v1
                                        ; implicit-def: $vgpr2
	v_add_nc_u32_e32 v1, 0x38000000, v1
.LBB6_4429:                             ;   in Loop: Header=BB6_3279 Depth=2
	s_and_not1_saveexec_b32 s27, s27
; %bb.4430:                             ;   in Loop: Header=BB6_3279 Depth=2
	v_cmp_lt_i16_e32 vcc_lo, -1, v48
	v_cndmask_b32_e32 v1, 0xff800000, v109, vcc_lo
	v_cmp_eq_u32_e32 vcc_lo, 0, v2
	s_delay_alu instid0(VALU_DEP_2)
	v_cndmask_b32_e32 v1, 0x7f800001, v1, vcc_lo
; %bb.4431:                             ;   in Loop: Header=BB6_3279 Depth=2
	s_or_b32 exec_lo, exec_lo, s27
.LBB6_4432:                             ;   in Loop: Header=BB6_3279 Depth=2
	s_delay_alu instid0(SALU_CYCLE_1)
	s_or_b32 exec_lo, exec_lo, s26
.LBB6_4433:                             ;   in Loop: Header=BB6_3279 Depth=2
	s_delay_alu instid0(SALU_CYCLE_1) | instskip(NEXT) | instid1(SALU_CYCLE_1)
	s_or_b32 exec_lo, exec_lo, s10
	s_mov_b32 s10, exec_lo
	v_cmpx_ne_u16_e32 0, v38
	s_cbranch_execz .LBB6_4443
; %bb.4434:                             ;   in Loop: Header=BB6_3279 Depth=2
	v_bfrev_b32_e32 v0, 1
	s_mov_b32 s26, exec_lo
	v_cmpx_ne_u16_e32 0xff80, v38
	s_cbranch_execz .LBB6_4442
; %bb.4435:                             ;   in Loop: Header=BB6_3279 Depth=2
	v_and_b32_e32 v0, 0x7c, v38
	v_and_b32_e32 v2, 3, v38
	s_delay_alu instid0(VALU_DEP_2) | instskip(SKIP_1) | instid1(SALU_CYCLE_1)
	v_cmp_ne_u32_e32 vcc_lo, 0x7c, v0
                                        ; implicit-def: $vgpr0
	s_and_saveexec_b32 s27, vcc_lo
	s_xor_b32 s27, exec_lo, s27
	s_cbranch_execz .LBB6_4439
; %bb.4436:                             ;   in Loop: Header=BB6_3279 Depth=2
	v_and_b32_e32 v0, 0xff, v38
	s_mov_b32 s28, exec_lo
	s_delay_alu instid0(VALU_DEP_1) | instskip(NEXT) | instid1(VALU_DEP_1)
	v_bfe_u32 v0, v0, 2, 5
	v_cmpx_eq_u32_e32 0, v0
	s_cbranch_execz .LBB6_4438
; %bb.4437:                             ;   in Loop: Header=BB6_3279 Depth=2
	v_clz_i32_u32_e32 v0, v2
	s_delay_alu instid0(VALU_DEP_1) | instskip(SKIP_1) | instid1(VALU_DEP_2)
	v_min_u32_e32 v0, 32, v0
	v_mov_b32_e32 v39, v5
	v_subrev_nc_u32_e32 v2, 29, v0
	v_sub_nc_u32_e32 v0, 30, v0
	s_delay_alu instid0(VALU_DEP_2) | instskip(NEXT) | instid1(VALU_DEP_1)
	v_lshlrev_b64_e32 v[2:3], v2, v[38:39]
	v_and_b32_e32 v2, 3, v2
.LBB6_4438:                             ;   in Loop: Header=BB6_3279 Depth=2
	s_or_b32 exec_lo, exec_lo, s28
	v_bfe_i32 v3, v38, 0, 16
                                        ; implicit-def: $vgpr38
	s_delay_alu instid0(VALU_DEP_1) | instskip(NEXT) | instid1(VALU_DEP_1)
	v_and_b32_e32 v3, 0x80000000, v3
	v_lshl_add_u32 v0, v0, 23, v3
	s_delay_alu instid0(VALU_DEP_1) | instskip(NEXT) | instid1(VALU_DEP_1)
	v_lshl_or_b32 v0, v2, 21, v0
                                        ; implicit-def: $vgpr2
	v_add_nc_u32_e32 v0, 0x38000000, v0
.LBB6_4439:                             ;   in Loop: Header=BB6_3279 Depth=2
	s_and_not1_saveexec_b32 s27, s27
; %bb.4440:                             ;   in Loop: Header=BB6_3279 Depth=2
	v_cmp_lt_i16_e32 vcc_lo, -1, v38
	v_cndmask_b32_e32 v0, 0xff800000, v109, vcc_lo
	v_cmp_eq_u32_e32 vcc_lo, 0, v2
	s_delay_alu instid0(VALU_DEP_2)
	v_cndmask_b32_e32 v0, 0x7f800001, v0, vcc_lo
; %bb.4441:                             ;   in Loop: Header=BB6_3279 Depth=2
	s_or_b32 exec_lo, exec_lo, s27
.LBB6_4442:                             ;   in Loop: Header=BB6_3279 Depth=2
	s_delay_alu instid0(SALU_CYCLE_1)
	s_or_b32 exec_lo, exec_lo, s26
.LBB6_4443:                             ;   in Loop: Header=BB6_3279 Depth=2
	s_delay_alu instid0(SALU_CYCLE_1) | instskip(NEXT) | instid1(VALU_DEP_1)
	s_or_b32 exec_lo, exec_lo, s10
	v_mul_f32_e32 v0, v1, v0
	v_mov_b32_e32 v3, v5
                                        ; implicit-def: $vgpr38
	s_mov_b32 s10, exec_lo
	s_delay_alu instid0(VALU_DEP_2) | instskip(SKIP_1) | instid1(VALU_DEP_2)
	v_and_b32_e32 v2, 0x7f800000, v0
	v_and_b32_e32 v4, 0x7fffff, v0
	v_cmpx_ne_u64_e32 0x7f800000, v[2:3]
	s_xor_b32 s26, exec_lo, s10
	s_cbranch_execz .LBB6_4461
; %bb.4444:                             ;   in Loop: Header=BB6_3279 Depth=2
	v_dual_mov_b32 v3, v5 :: v_dual_lshrrev_b32 v1, 24, v0
	v_and_b32_e32 v2, 0x7fffffff, v0
                                        ; implicit-def: $vgpr38
	s_mov_b32 s10, exec_lo
	s_delay_alu instid0(VALU_DEP_2) | instskip(NEXT) | instid1(VALU_DEP_2)
	v_and_b32_e32 v27, 0x80, v1
	v_cmpx_gt_u64_e32 0x47600001, v[2:3]
	s_xor_b32 s27, exec_lo, s10
	s_cbranch_execz .LBB6_4458
; %bb.4445:                             ;   in Loop: Header=BB6_3279 Depth=2
	v_mov_b32_e32 v38, 0
	s_mov_b32 s28, exec_lo
	v_cmpx_ne_u32_e32 0, v0
	s_cbranch_execz .LBB6_4457
; %bb.4446:                             ;   in Loop: Header=BB6_3279 Depth=2
	v_bfe_u32 v29, v0, 23, 8
	v_or_b32_e32 v2, 0x800000, v4
	s_mov_b32 s29, exec_lo
	s_delay_alu instid0(VALU_DEP_2) | instskip(SKIP_1) | instid1(VALU_DEP_2)
	v_dual_mov_b32 v3, v5 :: v_dual_sub_nc_u32 v0, 0x71, v29
	v_cmp_gt_u32_e32 vcc_lo, 0x72, v29
	v_cndmask_b32_e32 v0, 0, v0, vcc_lo
	v_cmp_eq_u32_e32 vcc_lo, 0, v29
	s_delay_alu instid0(VALU_DEP_2) | instskip(NEXT) | instid1(VALU_DEP_1)
	v_cndmask_b32_e64 v33, v0, 0x70, vcc_lo
	v_dual_cndmask_b32 v2, v2, v4, vcc_lo :: v_dual_add_nc_u32 v0, 21, v33
	v_add_nc_u32_e32 v26, 20, v33
	s_delay_alu instid0(VALU_DEP_2) | instskip(NEXT) | instid1(VALU_DEP_2)
	v_lshlrev_b64_e64 v[0:1], v0, -1
	v_lshlrev_b64_e64 v[38:39], v26, 1
	s_delay_alu instid0(VALU_DEP_2) | instskip(NEXT) | instid1(VALU_DEP_3)
	v_bfi_b32 v49, v1, 0, 0
	v_bfi_b32 v48, v0, 0, v2
	v_lshrrev_b64 v[0:1], v33, v[2:3]
	s_delay_alu instid0(VALU_DEP_1) | instskip(NEXT) | instid1(VALU_DEP_3)
	v_mov_b64_e32 v[2:3], v[0:1]
	v_cmpx_eq_u64_e64 v[48:49], v[38:39]
; %bb.4447:                             ;   in Loop: Header=BB6_3279 Depth=2
	v_bfe_u32 v2, v0, 21, 1
	v_mov_b32_e32 v3, v5
	s_delay_alu instid0(VALU_DEP_1) | instskip(NEXT) | instid1(VALU_DEP_1)
	v_add_nc_u64_e32 v[2:3], v[0:1], v[2:3]
	v_add_nc_u64_e32 v[2:3], -1, v[2:3]
; %bb.4448:                             ;   in Loop: Header=BB6_3279 Depth=2
	s_or_b32 exec_lo, exec_lo, s29
	v_add_nc_u32_e32 v1, 0xffffff81, v29
	s_delay_alu instid0(VALU_DEP_2) | instskip(SKIP_2) | instid1(VALU_DEP_3)
	v_and_b32_e32 v2, 0x1fffff, v2
	v_lshrrev_b32_e32 v3, 23, v0
	s_mov_b32 s10, exec_lo
	v_cndmask_b32_e64 v1, v1, 0xffffff82, vcc_lo
	s_delay_alu instid0(VALU_DEP_3) | instskip(NEXT) | instid1(VALU_DEP_2)
	v_add_nc_u32_e32 v4, v2, v0
                                        ; implicit-def: $vgpr2
	v_add3_u32 v3, v33, v1, v3
                                        ; implicit-def: $vgpr0_vgpr1
	s_delay_alu instid0(VALU_DEP_1) | instskip(NEXT) | instid1(VALU_DEP_1)
	v_add_nc_u32_e32 v29, 14, v3
	v_cmpx_ne_u32_e32 0, v29
	s_xor_b32 s10, exec_lo, s10
; %bb.4449:                             ;   in Loop: Header=BB6_3279 Depth=2
	v_cmp_lt_u64_e32 vcc_lo, 0xffffff, v[4:5]
	v_add_nc_u32_e32 v0, 15, v3
	s_delay_alu instid0(VALU_DEP_1) | instskip(SKIP_1) | instid1(VALU_DEP_1)
	v_cndmask_b32_e32 v2, v29, v0, vcc_lo
	v_cndmask_b32_e64 v0, 0, 1, vcc_lo
	v_lshrrev_b64 v[0:1], v0, v[4:5]
; %bb.4450:                             ;   in Loop: Header=BB6_3279 Depth=2
	s_and_not1_saveexec_b32 s10, s10
; %bb.4451:                             ;   in Loop: Header=BB6_3279 Depth=2
	v_mov_b64_e32 v[0:1], v[4:5]
	v_bfe_u32 v2, v4, 23, 1
; %bb.4452:                             ;   in Loop: Header=BB6_3279 Depth=2
	s_or_b32 exec_lo, exec_lo, s10
	s_delay_alu instid0(VALU_DEP_2) | instskip(NEXT) | instid1(VALU_DEP_2)
	v_lshrrev_b64 v[0:1], 21, v[0:1]
	v_cmp_gt_i32_e32 vcc_lo, 32, v2
	v_cmp_ne_u32_e64 s10, 0, v2
                                        ; implicit-def: $vgpr38
	s_delay_alu instid0(VALU_DEP_3) | instskip(NEXT) | instid1(VALU_DEP_1)
	v_dual_cndmask_b32 v1, 0, v1 :: v_dual_cndmask_b32 v0, 3, v0
	v_cmp_ne_u64_e32 vcc_lo, 0, v[0:1]
	s_or_b32 s10, s10, vcc_lo
	s_delay_alu instid0(SALU_CYCLE_1) | instskip(NEXT) | instid1(SALU_CYCLE_1)
	s_and_saveexec_b32 s29, s10
	s_xor_b32 s10, exec_lo, s29
; %bb.4453:                             ;   in Loop: Header=BB6_3279 Depth=2
	v_min_i32_e32 v1, 31, v2
	s_delay_alu instid0(VALU_DEP_1) | instskip(NEXT) | instid1(VALU_DEP_1)
	v_lshl_or_b32 v1, v1, 2, v27
                                        ; implicit-def: $vgpr27
	v_and_or_b32 v38, v0, 3, v1
; %bb.4454:                             ;   in Loop: Header=BB6_3279 Depth=2
	s_and_not1_saveexec_b32 s10, s10
; %bb.4455:                             ;   in Loop: Header=BB6_3279 Depth=2
	v_mov_b32_e32 v38, v27
; %bb.4456:                             ;   in Loop: Header=BB6_3279 Depth=2
	s_or_b32 exec_lo, exec_lo, s10
.LBB6_4457:                             ;   in Loop: Header=BB6_3279 Depth=2
	s_delay_alu instid0(SALU_CYCLE_1)
	s_or_b32 exec_lo, exec_lo, s28
                                        ; implicit-def: $vgpr27
.LBB6_4458:                             ;   in Loop: Header=BB6_3279 Depth=2
	s_and_not1_saveexec_b32 s10, s27
; %bb.4459:                             ;   in Loop: Header=BB6_3279 Depth=2
	v_or_b32_e32 v38, 0x7b, v27
; %bb.4460:                             ;   in Loop: Header=BB6_3279 Depth=2
	s_or_b32 exec_lo, exec_lo, s10
                                        ; implicit-def: $vgpr0
.LBB6_4461:                             ;   in Loop: Header=BB6_3279 Depth=2
	s_and_not1_saveexec_b32 s10, s26
	s_cbranch_execz .LBB6_4467
; %bb.4462:                             ;   in Loop: Header=BB6_3279 Depth=2
	s_mov_b32 s26, exec_lo
                                        ; implicit-def: $vgpr38
	v_cmpx_ne_u64_e32 0, v[4:5]
	s_xor_b32 s26, exec_lo, s26
; %bb.4463:                             ;   in Loop: Header=BB6_3279 Depth=2
	v_lshrrev_b32_e32 v0, 24, v0
	s_delay_alu instid0(VALU_DEP_1)
	v_or_b32_e32 v38, 0x7f, v0
                                        ; implicit-def: $vgpr0
; %bb.4464:                             ;   in Loop: Header=BB6_3279 Depth=2
	s_and_not1_saveexec_b32 s26, s26
; %bb.4465:                             ;   in Loop: Header=BB6_3279 Depth=2
	v_cmp_lt_i32_e32 vcc_lo, -1, v0
	v_cndmask_b32_e64 v38, -4, 0x7c, vcc_lo
; %bb.4466:                             ;   in Loop: Header=BB6_3279 Depth=2
	s_or_b32 exec_lo, exec_lo, s26
.LBB6_4467:                             ;   in Loop: Header=BB6_3279 Depth=2
	s_delay_alu instid0(SALU_CYCLE_1)
	s_or_b32 exec_lo, exec_lo, s10
	v_dual_mov_b32 v0, 0 :: v_dual_mov_b32 v1, 0
	s_mov_b32 s10, exec_lo
	v_cmpx_ne_u16_e32 0, v36
	s_cbranch_execz .LBB6_4477
; %bb.4468:                             ;   in Loop: Header=BB6_3279 Depth=2
	v_bfrev_b32_e32 v1, 1
	s_mov_b32 s26, exec_lo
	v_cmpx_ne_u16_e32 0xff80, v36
	s_cbranch_execz .LBB6_4476
; %bb.4469:                             ;   in Loop: Header=BB6_3279 Depth=2
	v_and_b32_e32 v1, 0x7c, v36
	v_and_b32_e32 v2, 3, v36
	s_delay_alu instid0(VALU_DEP_2) | instskip(SKIP_1) | instid1(SALU_CYCLE_1)
	v_cmp_ne_u32_e32 vcc_lo, 0x7c, v1
                                        ; implicit-def: $vgpr1
	s_and_saveexec_b32 s27, vcc_lo
	s_xor_b32 s27, exec_lo, s27
	s_cbranch_execz .LBB6_4473
; %bb.4470:                             ;   in Loop: Header=BB6_3279 Depth=2
	v_and_b32_e32 v1, 0xff, v36
	s_mov_b32 s28, exec_lo
	s_delay_alu instid0(VALU_DEP_1) | instskip(NEXT) | instid1(VALU_DEP_1)
	v_bfe_u32 v1, v1, 2, 5
	v_cmpx_eq_u32_e32 0, v1
	s_cbranch_execz .LBB6_4472
; %bb.4471:                             ;   in Loop: Header=BB6_3279 Depth=2
	v_clz_i32_u32_e32 v1, v2
	s_delay_alu instid0(VALU_DEP_1) | instskip(SKIP_1) | instid1(VALU_DEP_2)
	v_min_u32_e32 v1, 32, v1
	v_mov_b32_e32 v37, v5
	v_subrev_nc_u32_e32 v2, 29, v1
	v_sub_nc_u32_e32 v1, 30, v1
	s_delay_alu instid0(VALU_DEP_2) | instskip(NEXT) | instid1(VALU_DEP_1)
	v_lshlrev_b64_e32 v[2:3], v2, v[36:37]
	v_and_b32_e32 v2, 3, v2
.LBB6_4472:                             ;   in Loop: Header=BB6_3279 Depth=2
	s_or_b32 exec_lo, exec_lo, s28
	v_bfe_i32 v3, v36, 0, 16
                                        ; implicit-def: $vgpr36
	s_delay_alu instid0(VALU_DEP_1) | instskip(NEXT) | instid1(VALU_DEP_1)
	v_and_b32_e32 v3, 0x80000000, v3
	v_lshl_add_u32 v1, v1, 23, v3
	s_delay_alu instid0(VALU_DEP_1) | instskip(NEXT) | instid1(VALU_DEP_1)
	v_lshl_or_b32 v1, v2, 21, v1
                                        ; implicit-def: $vgpr2
	v_add_nc_u32_e32 v1, 0x38000000, v1
.LBB6_4473:                             ;   in Loop: Header=BB6_3279 Depth=2
	s_and_not1_saveexec_b32 s27, s27
; %bb.4474:                             ;   in Loop: Header=BB6_3279 Depth=2
	v_cmp_lt_i16_e32 vcc_lo, -1, v36
	v_cndmask_b32_e32 v1, 0xff800000, v109, vcc_lo
	v_cmp_eq_u32_e32 vcc_lo, 0, v2
	s_delay_alu instid0(VALU_DEP_2)
	v_cndmask_b32_e32 v1, 0x7f800001, v1, vcc_lo
; %bb.4475:                             ;   in Loop: Header=BB6_3279 Depth=2
	s_or_b32 exec_lo, exec_lo, s27
.LBB6_4476:                             ;   in Loop: Header=BB6_3279 Depth=2
	s_delay_alu instid0(SALU_CYCLE_1)
	s_or_b32 exec_lo, exec_lo, s26
.LBB6_4477:                             ;   in Loop: Header=BB6_3279 Depth=2
	s_delay_alu instid0(SALU_CYCLE_1) | instskip(NEXT) | instid1(SALU_CYCLE_1)
	s_or_b32 exec_lo, exec_lo, s10
	s_mov_b32 s10, exec_lo
	v_cmpx_ne_u16_e32 0, v34
	s_cbranch_execz .LBB6_4487
; %bb.4478:                             ;   in Loop: Header=BB6_3279 Depth=2
	v_bfrev_b32_e32 v0, 1
	s_mov_b32 s26, exec_lo
	v_cmpx_ne_u16_e32 0xff80, v34
	s_cbranch_execz .LBB6_4486
; %bb.4479:                             ;   in Loop: Header=BB6_3279 Depth=2
	v_and_b32_e32 v0, 0x7c, v34
	v_and_b32_e32 v2, 3, v34
	s_delay_alu instid0(VALU_DEP_2) | instskip(SKIP_1) | instid1(SALU_CYCLE_1)
	v_cmp_ne_u32_e32 vcc_lo, 0x7c, v0
                                        ; implicit-def: $vgpr0
	s_and_saveexec_b32 s27, vcc_lo
	s_xor_b32 s27, exec_lo, s27
	s_cbranch_execz .LBB6_4483
; %bb.4480:                             ;   in Loop: Header=BB6_3279 Depth=2
	v_and_b32_e32 v0, 0xff, v34
	s_mov_b32 s28, exec_lo
	s_delay_alu instid0(VALU_DEP_1) | instskip(NEXT) | instid1(VALU_DEP_1)
	v_bfe_u32 v0, v0, 2, 5
	v_cmpx_eq_u32_e32 0, v0
	s_cbranch_execz .LBB6_4482
; %bb.4481:                             ;   in Loop: Header=BB6_3279 Depth=2
	v_clz_i32_u32_e32 v0, v2
	s_delay_alu instid0(VALU_DEP_1) | instskip(SKIP_1) | instid1(VALU_DEP_2)
	v_min_u32_e32 v0, 32, v0
	v_mov_b32_e32 v35, v5
	v_subrev_nc_u32_e32 v2, 29, v0
	v_sub_nc_u32_e32 v0, 30, v0
	s_delay_alu instid0(VALU_DEP_2) | instskip(NEXT) | instid1(VALU_DEP_1)
	v_lshlrev_b64_e32 v[2:3], v2, v[34:35]
	v_and_b32_e32 v2, 3, v2
.LBB6_4482:                             ;   in Loop: Header=BB6_3279 Depth=2
	s_or_b32 exec_lo, exec_lo, s28
	v_bfe_i32 v3, v34, 0, 16
                                        ; implicit-def: $vgpr34
	s_delay_alu instid0(VALU_DEP_1) | instskip(NEXT) | instid1(VALU_DEP_1)
	v_and_b32_e32 v3, 0x80000000, v3
	v_lshl_add_u32 v0, v0, 23, v3
	s_delay_alu instid0(VALU_DEP_1) | instskip(NEXT) | instid1(VALU_DEP_1)
	v_lshl_or_b32 v0, v2, 21, v0
                                        ; implicit-def: $vgpr2
	v_add_nc_u32_e32 v0, 0x38000000, v0
.LBB6_4483:                             ;   in Loop: Header=BB6_3279 Depth=2
	s_and_not1_saveexec_b32 s27, s27
; %bb.4484:                             ;   in Loop: Header=BB6_3279 Depth=2
	v_cmp_lt_i16_e32 vcc_lo, -1, v34
	v_cndmask_b32_e32 v0, 0xff800000, v109, vcc_lo
	v_cmp_eq_u32_e32 vcc_lo, 0, v2
	s_delay_alu instid0(VALU_DEP_2)
	v_cndmask_b32_e32 v0, 0x7f800001, v0, vcc_lo
; %bb.4485:                             ;   in Loop: Header=BB6_3279 Depth=2
	s_or_b32 exec_lo, exec_lo, s27
.LBB6_4486:                             ;   in Loop: Header=BB6_3279 Depth=2
	s_delay_alu instid0(SALU_CYCLE_1)
	s_or_b32 exec_lo, exec_lo, s26
.LBB6_4487:                             ;   in Loop: Header=BB6_3279 Depth=2
	s_delay_alu instid0(SALU_CYCLE_1) | instskip(NEXT) | instid1(VALU_DEP_1)
	s_or_b32 exec_lo, exec_lo, s10
	v_mul_f32_e32 v0, v1, v0
	v_mov_b32_e32 v3, v5
                                        ; implicit-def: $vgpr34
	s_mov_b32 s10, exec_lo
	s_delay_alu instid0(VALU_DEP_2) | instskip(SKIP_1) | instid1(VALU_DEP_2)
	v_and_b32_e32 v2, 0x7f800000, v0
	v_and_b32_e32 v4, 0x7fffff, v0
	v_cmpx_ne_u64_e32 0x7f800000, v[2:3]
	s_xor_b32 s26, exec_lo, s10
	s_cbranch_execz .LBB6_4505
; %bb.4488:                             ;   in Loop: Header=BB6_3279 Depth=2
	v_dual_mov_b32 v3, v5 :: v_dual_lshrrev_b32 v1, 24, v0
	v_and_b32_e32 v2, 0x7fffffff, v0
                                        ; implicit-def: $vgpr34
	s_mov_b32 s10, exec_lo
	s_delay_alu instid0(VALU_DEP_2) | instskip(NEXT) | instid1(VALU_DEP_2)
	v_and_b32_e32 v27, 0x80, v1
	v_cmpx_gt_u64_e32 0x47600001, v[2:3]
	s_xor_b32 s27, exec_lo, s10
	s_cbranch_execz .LBB6_4502
; %bb.4489:                             ;   in Loop: Header=BB6_3279 Depth=2
	v_mov_b32_e32 v34, 0
	s_mov_b32 s28, exec_lo
	v_cmpx_ne_u32_e32 0, v0
	s_cbranch_execz .LBB6_4501
; %bb.4490:                             ;   in Loop: Header=BB6_3279 Depth=2
	v_bfe_u32 v29, v0, 23, 8
	v_or_b32_e32 v2, 0x800000, v4
	s_mov_b32 s29, exec_lo
	s_delay_alu instid0(VALU_DEP_2) | instskip(SKIP_1) | instid1(VALU_DEP_2)
	v_dual_mov_b32 v3, v5 :: v_dual_sub_nc_u32 v0, 0x71, v29
	v_cmp_gt_u32_e32 vcc_lo, 0x72, v29
	v_cndmask_b32_e32 v0, 0, v0, vcc_lo
	v_cmp_eq_u32_e32 vcc_lo, 0, v29
	s_delay_alu instid0(VALU_DEP_2) | instskip(NEXT) | instid1(VALU_DEP_1)
	v_cndmask_b32_e64 v33, v0, 0x70, vcc_lo
	v_dual_cndmask_b32 v2, v2, v4, vcc_lo :: v_dual_add_nc_u32 v0, 21, v33
	v_add_nc_u32_e32 v26, 20, v33
	s_delay_alu instid0(VALU_DEP_2) | instskip(NEXT) | instid1(VALU_DEP_2)
	v_lshlrev_b64_e64 v[0:1], v0, -1
	v_lshlrev_b64_e64 v[34:35], v26, 1
	s_delay_alu instid0(VALU_DEP_2) | instskip(NEXT) | instid1(VALU_DEP_3)
	v_bfi_b32 v37, v1, 0, 0
	v_bfi_b32 v36, v0, 0, v2
	v_lshrrev_b64 v[0:1], v33, v[2:3]
	s_delay_alu instid0(VALU_DEP_1) | instskip(NEXT) | instid1(VALU_DEP_3)
	v_mov_b64_e32 v[2:3], v[0:1]
	v_cmpx_eq_u64_e64 v[36:37], v[34:35]
; %bb.4491:                             ;   in Loop: Header=BB6_3279 Depth=2
	v_bfe_u32 v2, v0, 21, 1
	v_mov_b32_e32 v3, v5
	s_delay_alu instid0(VALU_DEP_1) | instskip(NEXT) | instid1(VALU_DEP_1)
	v_add_nc_u64_e32 v[2:3], v[0:1], v[2:3]
	v_add_nc_u64_e32 v[2:3], -1, v[2:3]
; %bb.4492:                             ;   in Loop: Header=BB6_3279 Depth=2
	s_or_b32 exec_lo, exec_lo, s29
	v_add_nc_u32_e32 v1, 0xffffff81, v29
	s_delay_alu instid0(VALU_DEP_2) | instskip(SKIP_2) | instid1(VALU_DEP_3)
	v_and_b32_e32 v2, 0x1fffff, v2
	v_lshrrev_b32_e32 v3, 23, v0
	s_mov_b32 s10, exec_lo
	v_cndmask_b32_e64 v1, v1, 0xffffff82, vcc_lo
	s_delay_alu instid0(VALU_DEP_3) | instskip(NEXT) | instid1(VALU_DEP_2)
	v_add_nc_u32_e32 v4, v2, v0
                                        ; implicit-def: $vgpr2
	v_add3_u32 v3, v33, v1, v3
                                        ; implicit-def: $vgpr0_vgpr1
	s_delay_alu instid0(VALU_DEP_1) | instskip(NEXT) | instid1(VALU_DEP_1)
	v_add_nc_u32_e32 v29, 14, v3
	v_cmpx_ne_u32_e32 0, v29
	s_xor_b32 s10, exec_lo, s10
; %bb.4493:                             ;   in Loop: Header=BB6_3279 Depth=2
	v_cmp_lt_u64_e32 vcc_lo, 0xffffff, v[4:5]
	v_add_nc_u32_e32 v0, 15, v3
	s_delay_alu instid0(VALU_DEP_1) | instskip(SKIP_1) | instid1(VALU_DEP_1)
	v_cndmask_b32_e32 v2, v29, v0, vcc_lo
	v_cndmask_b32_e64 v0, 0, 1, vcc_lo
	v_lshrrev_b64 v[0:1], v0, v[4:5]
; %bb.4494:                             ;   in Loop: Header=BB6_3279 Depth=2
	s_and_not1_saveexec_b32 s10, s10
; %bb.4495:                             ;   in Loop: Header=BB6_3279 Depth=2
	v_mov_b64_e32 v[0:1], v[4:5]
	v_bfe_u32 v2, v4, 23, 1
; %bb.4496:                             ;   in Loop: Header=BB6_3279 Depth=2
	s_or_b32 exec_lo, exec_lo, s10
	s_delay_alu instid0(VALU_DEP_2) | instskip(NEXT) | instid1(VALU_DEP_2)
	v_lshrrev_b64 v[0:1], 21, v[0:1]
	v_cmp_gt_i32_e32 vcc_lo, 32, v2
	v_cmp_ne_u32_e64 s10, 0, v2
                                        ; implicit-def: $vgpr34
	s_delay_alu instid0(VALU_DEP_3) | instskip(NEXT) | instid1(VALU_DEP_1)
	v_dual_cndmask_b32 v1, 0, v1 :: v_dual_cndmask_b32 v0, 3, v0
	v_cmp_ne_u64_e32 vcc_lo, 0, v[0:1]
	s_or_b32 s10, s10, vcc_lo
	s_delay_alu instid0(SALU_CYCLE_1) | instskip(NEXT) | instid1(SALU_CYCLE_1)
	s_and_saveexec_b32 s29, s10
	s_xor_b32 s10, exec_lo, s29
; %bb.4497:                             ;   in Loop: Header=BB6_3279 Depth=2
	v_min_i32_e32 v1, 31, v2
	s_delay_alu instid0(VALU_DEP_1) | instskip(NEXT) | instid1(VALU_DEP_1)
	v_lshl_or_b32 v1, v1, 2, v27
                                        ; implicit-def: $vgpr27
	v_and_or_b32 v34, v0, 3, v1
; %bb.4498:                             ;   in Loop: Header=BB6_3279 Depth=2
	s_and_not1_saveexec_b32 s10, s10
; %bb.4499:                             ;   in Loop: Header=BB6_3279 Depth=2
	v_mov_b32_e32 v34, v27
; %bb.4500:                             ;   in Loop: Header=BB6_3279 Depth=2
	s_or_b32 exec_lo, exec_lo, s10
.LBB6_4501:                             ;   in Loop: Header=BB6_3279 Depth=2
	s_delay_alu instid0(SALU_CYCLE_1)
	s_or_b32 exec_lo, exec_lo, s28
                                        ; implicit-def: $vgpr27
.LBB6_4502:                             ;   in Loop: Header=BB6_3279 Depth=2
	s_and_not1_saveexec_b32 s10, s27
; %bb.4503:                             ;   in Loop: Header=BB6_3279 Depth=2
	v_or_b32_e32 v34, 0x7b, v27
; %bb.4504:                             ;   in Loop: Header=BB6_3279 Depth=2
	s_or_b32 exec_lo, exec_lo, s10
                                        ; implicit-def: $vgpr0
.LBB6_4505:                             ;   in Loop: Header=BB6_3279 Depth=2
	s_and_not1_saveexec_b32 s10, s26
	s_cbranch_execz .LBB6_4511
; %bb.4506:                             ;   in Loop: Header=BB6_3279 Depth=2
	s_mov_b32 s26, exec_lo
                                        ; implicit-def: $vgpr34
	v_cmpx_ne_u64_e32 0, v[4:5]
	s_xor_b32 s26, exec_lo, s26
; %bb.4507:                             ;   in Loop: Header=BB6_3279 Depth=2
	v_lshrrev_b32_e32 v0, 24, v0
	s_delay_alu instid0(VALU_DEP_1)
	v_or_b32_e32 v34, 0x7f, v0
                                        ; implicit-def: $vgpr0
; %bb.4508:                             ;   in Loop: Header=BB6_3279 Depth=2
	s_and_not1_saveexec_b32 s26, s26
; %bb.4509:                             ;   in Loop: Header=BB6_3279 Depth=2
	v_cmp_lt_i32_e32 vcc_lo, -1, v0
	v_cndmask_b32_e64 v34, -4, 0x7c, vcc_lo
; %bb.4510:                             ;   in Loop: Header=BB6_3279 Depth=2
	s_or_b32 exec_lo, exec_lo, s26
.LBB6_4511:                             ;   in Loop: Header=BB6_3279 Depth=2
	s_delay_alu instid0(SALU_CYCLE_1)
	s_or_b32 exec_lo, exec_lo, s10
	v_dual_mov_b32 v0, 0 :: v_dual_mov_b32 v1, 0
	s_mov_b32 s10, exec_lo
	v_cmpx_ne_u16_e32 0, v32
	s_cbranch_execz .LBB6_4521
; %bb.4512:                             ;   in Loop: Header=BB6_3279 Depth=2
	v_bfrev_b32_e32 v1, 1
	s_mov_b32 s26, exec_lo
	v_cmpx_ne_u16_e32 0xff80, v32
	s_cbranch_execz .LBB6_4520
; %bb.4513:                             ;   in Loop: Header=BB6_3279 Depth=2
	v_and_b32_e32 v1, 0x7c, v32
	v_and_b32_e32 v2, 3, v32
	s_delay_alu instid0(VALU_DEP_2) | instskip(SKIP_1) | instid1(SALU_CYCLE_1)
	v_cmp_ne_u32_e32 vcc_lo, 0x7c, v1
                                        ; implicit-def: $vgpr1
	s_and_saveexec_b32 s27, vcc_lo
	s_xor_b32 s27, exec_lo, s27
	s_cbranch_execz .LBB6_4517
; %bb.4514:                             ;   in Loop: Header=BB6_3279 Depth=2
	v_and_b32_e32 v1, 0xff, v32
	s_mov_b32 s28, exec_lo
	s_delay_alu instid0(VALU_DEP_1) | instskip(NEXT) | instid1(VALU_DEP_1)
	v_bfe_u32 v1, v1, 2, 5
	v_cmpx_eq_u32_e32 0, v1
	s_cbranch_execz .LBB6_4516
; %bb.4515:                             ;   in Loop: Header=BB6_3279 Depth=2
	v_clz_i32_u32_e32 v1, v2
	s_delay_alu instid0(VALU_DEP_1) | instskip(SKIP_1) | instid1(VALU_DEP_2)
	v_min_u32_e32 v1, 32, v1
	v_mov_b32_e32 v33, v5
	v_subrev_nc_u32_e32 v2, 29, v1
	v_sub_nc_u32_e32 v1, 30, v1
	s_delay_alu instid0(VALU_DEP_2) | instskip(NEXT) | instid1(VALU_DEP_1)
	v_lshlrev_b64_e32 v[2:3], v2, v[32:33]
	v_and_b32_e32 v2, 3, v2
.LBB6_4516:                             ;   in Loop: Header=BB6_3279 Depth=2
	s_or_b32 exec_lo, exec_lo, s28
	v_bfe_i32 v3, v32, 0, 16
                                        ; implicit-def: $vgpr32
	s_delay_alu instid0(VALU_DEP_1) | instskip(NEXT) | instid1(VALU_DEP_1)
	v_and_b32_e32 v3, 0x80000000, v3
	v_lshl_add_u32 v1, v1, 23, v3
	s_delay_alu instid0(VALU_DEP_1) | instskip(NEXT) | instid1(VALU_DEP_1)
	v_lshl_or_b32 v1, v2, 21, v1
                                        ; implicit-def: $vgpr2
	v_add_nc_u32_e32 v1, 0x38000000, v1
.LBB6_4517:                             ;   in Loop: Header=BB6_3279 Depth=2
	s_and_not1_saveexec_b32 s27, s27
; %bb.4518:                             ;   in Loop: Header=BB6_3279 Depth=2
	v_cmp_lt_i16_e32 vcc_lo, -1, v32
	v_cndmask_b32_e32 v1, 0xff800000, v109, vcc_lo
	v_cmp_eq_u32_e32 vcc_lo, 0, v2
	s_delay_alu instid0(VALU_DEP_2)
	v_cndmask_b32_e32 v1, 0x7f800001, v1, vcc_lo
; %bb.4519:                             ;   in Loop: Header=BB6_3279 Depth=2
	s_or_b32 exec_lo, exec_lo, s27
.LBB6_4520:                             ;   in Loop: Header=BB6_3279 Depth=2
	s_delay_alu instid0(SALU_CYCLE_1)
	s_or_b32 exec_lo, exec_lo, s26
.LBB6_4521:                             ;   in Loop: Header=BB6_3279 Depth=2
	s_delay_alu instid0(SALU_CYCLE_1) | instskip(NEXT) | instid1(SALU_CYCLE_1)
	s_or_b32 exec_lo, exec_lo, s10
	s_mov_b32 s10, exec_lo
	v_cmpx_ne_u16_e32 0, v28
	s_cbranch_execz .LBB6_4531
; %bb.4522:                             ;   in Loop: Header=BB6_3279 Depth=2
	v_bfrev_b32_e32 v0, 1
	s_mov_b32 s26, exec_lo
	v_cmpx_ne_u16_e32 0xff80, v28
	s_cbranch_execz .LBB6_4530
; %bb.4523:                             ;   in Loop: Header=BB6_3279 Depth=2
	v_and_b32_e32 v0, 0x7c, v28
	v_and_b32_e32 v2, 3, v28
	s_delay_alu instid0(VALU_DEP_2) | instskip(SKIP_1) | instid1(SALU_CYCLE_1)
	v_cmp_ne_u32_e32 vcc_lo, 0x7c, v0
                                        ; implicit-def: $vgpr0
	s_and_saveexec_b32 s27, vcc_lo
	s_xor_b32 s27, exec_lo, s27
	s_cbranch_execz .LBB6_4527
; %bb.4524:                             ;   in Loop: Header=BB6_3279 Depth=2
	v_and_b32_e32 v0, 0xff, v28
	s_mov_b32 s28, exec_lo
	s_delay_alu instid0(VALU_DEP_1) | instskip(NEXT) | instid1(VALU_DEP_1)
	v_bfe_u32 v0, v0, 2, 5
	v_cmpx_eq_u32_e32 0, v0
	s_cbranch_execz .LBB6_4526
; %bb.4525:                             ;   in Loop: Header=BB6_3279 Depth=2
	v_clz_i32_u32_e32 v0, v2
	s_delay_alu instid0(VALU_DEP_1) | instskip(SKIP_1) | instid1(VALU_DEP_2)
	v_min_u32_e32 v0, 32, v0
	v_mov_b32_e32 v29, v5
	v_subrev_nc_u32_e32 v2, 29, v0
	v_sub_nc_u32_e32 v0, 30, v0
	s_delay_alu instid0(VALU_DEP_2) | instskip(NEXT) | instid1(VALU_DEP_1)
	v_lshlrev_b64_e32 v[2:3], v2, v[28:29]
	v_and_b32_e32 v2, 3, v2
.LBB6_4526:                             ;   in Loop: Header=BB6_3279 Depth=2
	s_or_b32 exec_lo, exec_lo, s28
	v_bfe_i32 v3, v28, 0, 16
                                        ; implicit-def: $vgpr28
	s_delay_alu instid0(VALU_DEP_1) | instskip(NEXT) | instid1(VALU_DEP_1)
	v_and_b32_e32 v3, 0x80000000, v3
	v_lshl_add_u32 v0, v0, 23, v3
	s_delay_alu instid0(VALU_DEP_1) | instskip(NEXT) | instid1(VALU_DEP_1)
	v_lshl_or_b32 v0, v2, 21, v0
                                        ; implicit-def: $vgpr2
	v_add_nc_u32_e32 v0, 0x38000000, v0
.LBB6_4527:                             ;   in Loop: Header=BB6_3279 Depth=2
	s_and_not1_saveexec_b32 s27, s27
; %bb.4528:                             ;   in Loop: Header=BB6_3279 Depth=2
	v_cmp_lt_i16_e32 vcc_lo, -1, v28
	v_cndmask_b32_e32 v0, 0xff800000, v109, vcc_lo
	v_cmp_eq_u32_e32 vcc_lo, 0, v2
	s_delay_alu instid0(VALU_DEP_2)
	v_cndmask_b32_e32 v0, 0x7f800001, v0, vcc_lo
; %bb.4529:                             ;   in Loop: Header=BB6_3279 Depth=2
	s_or_b32 exec_lo, exec_lo, s27
.LBB6_4530:                             ;   in Loop: Header=BB6_3279 Depth=2
	s_delay_alu instid0(SALU_CYCLE_1)
	s_or_b32 exec_lo, exec_lo, s26
.LBB6_4531:                             ;   in Loop: Header=BB6_3279 Depth=2
	s_delay_alu instid0(SALU_CYCLE_1) | instskip(NEXT) | instid1(VALU_DEP_1)
	s_or_b32 exec_lo, exec_lo, s10
	v_mul_f32_e32 v0, v1, v0
	v_mov_b32_e32 v3, v5
                                        ; implicit-def: $vgpr28
	s_mov_b32 s10, exec_lo
	s_delay_alu instid0(VALU_DEP_2) | instskip(SKIP_1) | instid1(VALU_DEP_2)
	v_and_b32_e32 v2, 0x7f800000, v0
	v_and_b32_e32 v4, 0x7fffff, v0
	v_cmpx_ne_u64_e32 0x7f800000, v[2:3]
	s_xor_b32 s26, exec_lo, s10
	s_cbranch_execz .LBB6_4549
; %bb.4532:                             ;   in Loop: Header=BB6_3279 Depth=2
	v_dual_mov_b32 v3, v5 :: v_dual_lshrrev_b32 v1, 24, v0
	v_and_b32_e32 v2, 0x7fffffff, v0
                                        ; implicit-def: $vgpr28
	s_mov_b32 s10, exec_lo
	s_delay_alu instid0(VALU_DEP_2) | instskip(NEXT) | instid1(VALU_DEP_2)
	v_and_b32_e32 v27, 0x80, v1
	v_cmpx_gt_u64_e32 0x47600001, v[2:3]
	s_xor_b32 s27, exec_lo, s10
	s_cbranch_execz .LBB6_4546
; %bb.4533:                             ;   in Loop: Header=BB6_3279 Depth=2
	v_mov_b32_e32 v28, 0
	s_mov_b32 s28, exec_lo
	v_cmpx_ne_u32_e32 0, v0
	s_cbranch_execz .LBB6_4545
; %bb.4534:                             ;   in Loop: Header=BB6_3279 Depth=2
	v_bfe_u32 v28, v0, 23, 8
	v_or_b32_e32 v2, 0x800000, v4
	s_mov_b32 s29, exec_lo
	s_delay_alu instid0(VALU_DEP_2) | instskip(SKIP_1) | instid1(VALU_DEP_2)
	v_dual_mov_b32 v3, v5 :: v_dual_sub_nc_u32 v0, 0x71, v28
	v_cmp_gt_u32_e32 vcc_lo, 0x72, v28
	v_cndmask_b32_e32 v0, 0, v0, vcc_lo
	v_cmp_eq_u32_e32 vcc_lo, 0, v28
	s_delay_alu instid0(VALU_DEP_2) | instskip(NEXT) | instid1(VALU_DEP_1)
	v_cndmask_b32_e64 v29, v0, 0x70, vcc_lo
	v_dual_cndmask_b32 v2, v2, v4, vcc_lo :: v_dual_add_nc_u32 v0, 21, v29
	v_add_nc_u32_e32 v26, 20, v29
	s_delay_alu instid0(VALU_DEP_2) | instskip(NEXT) | instid1(VALU_DEP_2)
	v_lshlrev_b64_e64 v[0:1], v0, -1
	v_lshlrev_b64_e64 v[32:33], v26, 1
	s_delay_alu instid0(VALU_DEP_2) | instskip(NEXT) | instid1(VALU_DEP_3)
	v_bfi_b32 v37, v1, 0, 0
	v_bfi_b32 v36, v0, 0, v2
	v_lshrrev_b64 v[0:1], v29, v[2:3]
	s_delay_alu instid0(VALU_DEP_1) | instskip(NEXT) | instid1(VALU_DEP_3)
	v_mov_b64_e32 v[2:3], v[0:1]
	v_cmpx_eq_u64_e64 v[36:37], v[32:33]
; %bb.4535:                             ;   in Loop: Header=BB6_3279 Depth=2
	v_bfe_u32 v2, v0, 21, 1
	v_mov_b32_e32 v3, v5
	s_delay_alu instid0(VALU_DEP_1) | instskip(NEXT) | instid1(VALU_DEP_1)
	v_add_nc_u64_e32 v[2:3], v[0:1], v[2:3]
	v_add_nc_u64_e32 v[2:3], -1, v[2:3]
; %bb.4536:                             ;   in Loop: Header=BB6_3279 Depth=2
	s_or_b32 exec_lo, exec_lo, s29
	v_add_nc_u32_e32 v1, 0xffffff81, v28
	s_delay_alu instid0(VALU_DEP_2) | instskip(SKIP_2) | instid1(VALU_DEP_3)
	v_and_b32_e32 v2, 0x1fffff, v2
	v_lshrrev_b32_e32 v3, 23, v0
	s_mov_b32 s10, exec_lo
	v_cndmask_b32_e64 v1, v1, 0xffffff82, vcc_lo
	s_delay_alu instid0(VALU_DEP_3) | instskip(NEXT) | instid1(VALU_DEP_2)
	v_add_nc_u32_e32 v4, v2, v0
                                        ; implicit-def: $vgpr2
	v_add3_u32 v3, v29, v1, v3
                                        ; implicit-def: $vgpr0_vgpr1
	s_delay_alu instid0(VALU_DEP_1) | instskip(NEXT) | instid1(VALU_DEP_1)
	v_add_nc_u32_e32 v28, 14, v3
	v_cmpx_ne_u32_e32 0, v28
	s_xor_b32 s10, exec_lo, s10
; %bb.4537:                             ;   in Loop: Header=BB6_3279 Depth=2
	v_cmp_lt_u64_e32 vcc_lo, 0xffffff, v[4:5]
	v_add_nc_u32_e32 v0, 15, v3
	s_delay_alu instid0(VALU_DEP_1) | instskip(SKIP_1) | instid1(VALU_DEP_1)
	v_cndmask_b32_e32 v2, v28, v0, vcc_lo
	v_cndmask_b32_e64 v0, 0, 1, vcc_lo
	v_lshrrev_b64 v[0:1], v0, v[4:5]
; %bb.4538:                             ;   in Loop: Header=BB6_3279 Depth=2
	s_and_not1_saveexec_b32 s10, s10
; %bb.4539:                             ;   in Loop: Header=BB6_3279 Depth=2
	v_mov_b64_e32 v[0:1], v[4:5]
	v_bfe_u32 v2, v4, 23, 1
; %bb.4540:                             ;   in Loop: Header=BB6_3279 Depth=2
	s_or_b32 exec_lo, exec_lo, s10
	s_delay_alu instid0(VALU_DEP_2) | instskip(NEXT) | instid1(VALU_DEP_2)
	v_lshrrev_b64 v[0:1], 21, v[0:1]
	v_cmp_gt_i32_e32 vcc_lo, 32, v2
	v_cmp_ne_u32_e64 s10, 0, v2
                                        ; implicit-def: $vgpr28
	s_delay_alu instid0(VALU_DEP_3) | instskip(NEXT) | instid1(VALU_DEP_1)
	v_dual_cndmask_b32 v1, 0, v1 :: v_dual_cndmask_b32 v0, 3, v0
	v_cmp_ne_u64_e32 vcc_lo, 0, v[0:1]
	s_or_b32 s10, s10, vcc_lo
	s_delay_alu instid0(SALU_CYCLE_1) | instskip(NEXT) | instid1(SALU_CYCLE_1)
	s_and_saveexec_b32 s29, s10
	s_xor_b32 s10, exec_lo, s29
; %bb.4541:                             ;   in Loop: Header=BB6_3279 Depth=2
	v_min_i32_e32 v1, 31, v2
	s_delay_alu instid0(VALU_DEP_1) | instskip(NEXT) | instid1(VALU_DEP_1)
	v_lshl_or_b32 v1, v1, 2, v27
                                        ; implicit-def: $vgpr27
	v_and_or_b32 v28, v0, 3, v1
; %bb.4542:                             ;   in Loop: Header=BB6_3279 Depth=2
	s_and_not1_saveexec_b32 s10, s10
; %bb.4543:                             ;   in Loop: Header=BB6_3279 Depth=2
	v_mov_b32_e32 v28, v27
; %bb.4544:                             ;   in Loop: Header=BB6_3279 Depth=2
	s_or_b32 exec_lo, exec_lo, s10
.LBB6_4545:                             ;   in Loop: Header=BB6_3279 Depth=2
	s_delay_alu instid0(SALU_CYCLE_1)
	s_or_b32 exec_lo, exec_lo, s28
                                        ; implicit-def: $vgpr27
.LBB6_4546:                             ;   in Loop: Header=BB6_3279 Depth=2
	s_and_not1_saveexec_b32 s10, s27
; %bb.4547:                             ;   in Loop: Header=BB6_3279 Depth=2
	v_or_b32_e32 v28, 0x7b, v27
; %bb.4548:                             ;   in Loop: Header=BB6_3279 Depth=2
	s_or_b32 exec_lo, exec_lo, s10
                                        ; implicit-def: $vgpr0
.LBB6_4549:                             ;   in Loop: Header=BB6_3279 Depth=2
	s_and_not1_saveexec_b32 s10, s26
	s_cbranch_execz .LBB6_4555
; %bb.4550:                             ;   in Loop: Header=BB6_3279 Depth=2
	s_mov_b32 s26, exec_lo
                                        ; implicit-def: $vgpr28
	v_cmpx_ne_u64_e32 0, v[4:5]
	s_xor_b32 s26, exec_lo, s26
; %bb.4551:                             ;   in Loop: Header=BB6_3279 Depth=2
	v_lshrrev_b32_e32 v0, 24, v0
	s_delay_alu instid0(VALU_DEP_1)
	v_or_b32_e32 v28, 0x7f, v0
                                        ; implicit-def: $vgpr0
; %bb.4552:                             ;   in Loop: Header=BB6_3279 Depth=2
	s_and_not1_saveexec_b32 s26, s26
; %bb.4553:                             ;   in Loop: Header=BB6_3279 Depth=2
	v_cmp_lt_i32_e32 vcc_lo, -1, v0
	v_cndmask_b32_e64 v28, -4, 0x7c, vcc_lo
; %bb.4554:                             ;   in Loop: Header=BB6_3279 Depth=2
	s_or_b32 exec_lo, exec_lo, s26
.LBB6_4555:                             ;   in Loop: Header=BB6_3279 Depth=2
	s_delay_alu instid0(SALU_CYCLE_1)
	s_or_b32 exec_lo, exec_lo, s10
	scratch_load_b64 v[2:3], off, s33 offset:228 ; 8-byte Folded Reload
	v_dual_mov_b32 v0, 0 :: v_dual_mov_b32 v1, 0
	s_mov_b32 s10, exec_lo
	s_wait_loadcnt 0x0
	s_wait_xcnt 0x0
	v_cmpx_ne_u16_e32 0, v2
	s_cbranch_execz .LBB6_4565
; %bb.4556:                             ;   in Loop: Header=BB6_3279 Depth=2
	v_bfrev_b32_e32 v1, 1
	s_mov_b32 s26, exec_lo
	v_cmpx_ne_u16_e32 0xff80, v2
	s_cbranch_execz .LBB6_4564
; %bb.4557:                             ;   in Loop: Header=BB6_3279 Depth=2
	v_and_b32_e32 v1, 0x7c, v2
	v_and_b32_e32 v2, 3, v2
	s_delay_alu instid0(VALU_DEP_2) | instskip(SKIP_1) | instid1(SALU_CYCLE_1)
	v_cmp_ne_u32_e32 vcc_lo, 0x7c, v1
                                        ; implicit-def: $vgpr1
	s_and_saveexec_b32 s27, vcc_lo
	s_xor_b32 s27, exec_lo, s27
	s_cbranch_execz .LBB6_4561
; %bb.4558:                             ;   in Loop: Header=BB6_3279 Depth=2
	scratch_load_b64 v[26:27], off, s33 offset:228 ; 8-byte Folded Reload
	s_mov_b32 s28, exec_lo
	s_wait_loadcnt 0x0
	v_and_b32_e32 v1, 0xff, v26
	s_delay_alu instid0(VALU_DEP_1) | instskip(SKIP_1) | instid1(VALU_DEP_1)
	v_bfe_u32 v1, v1, 2, 5
	s_wait_xcnt 0x0
	v_cmpx_eq_u32_e32 0, v1
	s_cbranch_execz .LBB6_4560
; %bb.4559:                             ;   in Loop: Header=BB6_3279 Depth=2
	v_clz_i32_u32_e32 v1, v2
	s_delay_alu instid0(VALU_DEP_1) | instskip(SKIP_1) | instid1(VALU_DEP_2)
	v_min_u32_e32 v1, 32, v1
	v_mov_b32_e32 v27, v5
	v_subrev_nc_u32_e32 v2, 29, v1
	v_sub_nc_u32_e32 v1, 30, v1
	s_delay_alu instid0(VALU_DEP_2) | instskip(NEXT) | instid1(VALU_DEP_1)
	v_lshlrev_b64_e32 v[2:3], v2, v[26:27]
	v_and_b32_e32 v2, 3, v2
.LBB6_4560:                             ;   in Loop: Header=BB6_3279 Depth=2
	s_or_b32 exec_lo, exec_lo, s28
	v_bfe_i32 v3, v26, 0, 16
                                        ; implicit-def: $vgpr4
	scratch_store_b64 off, v[4:5], s33 offset:228 ; 8-byte Folded Spill
	v_and_b32_e32 v3, 0x80000000, v3
	s_delay_alu instid0(VALU_DEP_1) | instskip(NEXT) | instid1(VALU_DEP_1)
	v_lshl_add_u32 v1, v1, 23, v3
	v_lshl_or_b32 v1, v2, 21, v1
                                        ; implicit-def: $vgpr2
	s_delay_alu instid0(VALU_DEP_1)
	v_add_nc_u32_e32 v1, 0x38000000, v1
.LBB6_4561:                             ;   in Loop: Header=BB6_3279 Depth=2
	s_wait_xcnt 0x0
	s_and_not1_saveexec_b32 s27, s27
	s_cbranch_execz .LBB6_4563
; %bb.4562:                             ;   in Loop: Header=BB6_3279 Depth=2
	scratch_load_b64 v[26:27], off, s33 offset:228 th:TH_LOAD_LU ; 8-byte Folded Reload
	s_wait_loadcnt 0x0
	v_cmp_lt_i16_e32 vcc_lo, -1, v26
	v_cndmask_b32_e32 v1, 0xff800000, v109, vcc_lo
	v_cmp_eq_u32_e32 vcc_lo, 0, v2
	s_delay_alu instid0(VALU_DEP_2)
	v_cndmask_b32_e32 v1, 0x7f800001, v1, vcc_lo
.LBB6_4563:                             ;   in Loop: Header=BB6_3279 Depth=2
	s_wait_xcnt 0x0
	s_or_b32 exec_lo, exec_lo, s27
.LBB6_4564:                             ;   in Loop: Header=BB6_3279 Depth=2
	s_delay_alu instid0(SALU_CYCLE_1)
	s_or_b32 exec_lo, exec_lo, s26
.LBB6_4565:                             ;   in Loop: Header=BB6_3279 Depth=2
	s_delay_alu instid0(SALU_CYCLE_1)
	s_or_b32 exec_lo, exec_lo, s10
	scratch_load_b64 v[2:3], off, s33 offset:220 ; 8-byte Folded Reload
	s_mov_b32 s10, exec_lo
	s_wait_loadcnt 0x0
	s_wait_xcnt 0x0
	v_cmpx_ne_u16_e32 0, v2
	s_cbranch_execz .LBB6_4575
; %bb.4566:                             ;   in Loop: Header=BB6_3279 Depth=2
	v_bfrev_b32_e32 v0, 1
	s_mov_b32 s26, exec_lo
	v_cmpx_ne_u16_e32 0xff80, v2
	s_cbranch_execz .LBB6_4574
; %bb.4567:                             ;   in Loop: Header=BB6_3279 Depth=2
	v_and_b32_e32 v0, 0x7c, v2
	v_and_b32_e32 v2, 3, v2
	s_delay_alu instid0(VALU_DEP_2) | instskip(SKIP_1) | instid1(SALU_CYCLE_1)
	v_cmp_ne_u32_e32 vcc_lo, 0x7c, v0
                                        ; implicit-def: $vgpr0
	s_and_saveexec_b32 s27, vcc_lo
	s_xor_b32 s27, exec_lo, s27
	s_cbranch_execz .LBB6_4571
; %bb.4568:                             ;   in Loop: Header=BB6_3279 Depth=2
	scratch_load_b64 v[26:27], off, s33 offset:220 ; 8-byte Folded Reload
	s_mov_b32 s28, exec_lo
	s_wait_loadcnt 0x0
	v_and_b32_e32 v0, 0xff, v26
	s_delay_alu instid0(VALU_DEP_1) | instskip(SKIP_1) | instid1(VALU_DEP_1)
	v_bfe_u32 v0, v0, 2, 5
	s_wait_xcnt 0x0
	v_cmpx_eq_u32_e32 0, v0
	s_cbranch_execz .LBB6_4570
; %bb.4569:                             ;   in Loop: Header=BB6_3279 Depth=2
	v_clz_i32_u32_e32 v0, v2
	s_delay_alu instid0(VALU_DEP_1) | instskip(SKIP_1) | instid1(VALU_DEP_2)
	v_min_u32_e32 v0, 32, v0
	v_mov_b32_e32 v27, v5
	v_subrev_nc_u32_e32 v2, 29, v0
	v_sub_nc_u32_e32 v0, 30, v0
	s_delay_alu instid0(VALU_DEP_2) | instskip(NEXT) | instid1(VALU_DEP_1)
	v_lshlrev_b64_e32 v[2:3], v2, v[26:27]
	v_and_b32_e32 v2, 3, v2
.LBB6_4570:                             ;   in Loop: Header=BB6_3279 Depth=2
	s_or_b32 exec_lo, exec_lo, s28
	v_bfe_i32 v3, v26, 0, 16
                                        ; implicit-def: $vgpr4
	scratch_store_b64 off, v[4:5], s33 offset:220 ; 8-byte Folded Spill
	v_and_b32_e32 v3, 0x80000000, v3
	s_delay_alu instid0(VALU_DEP_1) | instskip(NEXT) | instid1(VALU_DEP_1)
	v_lshl_add_u32 v0, v0, 23, v3
	v_lshl_or_b32 v0, v2, 21, v0
                                        ; implicit-def: $vgpr2
	s_delay_alu instid0(VALU_DEP_1)
	v_add_nc_u32_e32 v0, 0x38000000, v0
.LBB6_4571:                             ;   in Loop: Header=BB6_3279 Depth=2
	s_wait_xcnt 0x0
	s_and_not1_saveexec_b32 s27, s27
	s_cbranch_execz .LBB6_4573
; %bb.4572:                             ;   in Loop: Header=BB6_3279 Depth=2
	scratch_load_b64 v[26:27], off, s33 offset:220 th:TH_LOAD_LU ; 8-byte Folded Reload
	s_wait_loadcnt 0x0
	v_cmp_lt_i16_e32 vcc_lo, -1, v26
	v_cndmask_b32_e32 v0, 0xff800000, v109, vcc_lo
	v_cmp_eq_u32_e32 vcc_lo, 0, v2
	s_delay_alu instid0(VALU_DEP_2)
	v_cndmask_b32_e32 v0, 0x7f800001, v0, vcc_lo
.LBB6_4573:                             ;   in Loop: Header=BB6_3279 Depth=2
	s_wait_xcnt 0x0
	s_or_b32 exec_lo, exec_lo, s27
.LBB6_4574:                             ;   in Loop: Header=BB6_3279 Depth=2
	s_delay_alu instid0(SALU_CYCLE_1)
	s_or_b32 exec_lo, exec_lo, s26
.LBB6_4575:                             ;   in Loop: Header=BB6_3279 Depth=2
	s_delay_alu instid0(SALU_CYCLE_1) | instskip(SKIP_3) | instid1(VALU_DEP_2)
	s_or_b32 exec_lo, exec_lo, s10
	v_mul_f32_e32 v0, v1, v0
	v_mov_b32_e32 v3, v5
                                        ; implicit-def: $vgpr26
	s_mov_b32 s10, exec_lo
	v_and_b32_e32 v2, 0x7f800000, v0
	v_and_b32_e32 v4, 0x7fffff, v0
	s_delay_alu instid0(VALU_DEP_2)
	v_cmpx_ne_u64_e32 0x7f800000, v[2:3]
	s_xor_b32 s26, exec_lo, s10
	s_cbranch_execz .LBB6_4593
; %bb.4576:                             ;   in Loop: Header=BB6_3279 Depth=2
	v_dual_mov_b32 v3, v5 :: v_dual_lshrrev_b32 v1, 24, v0
	v_and_b32_e32 v2, 0x7fffffff, v0
                                        ; implicit-def: $vgpr26
	s_mov_b32 s10, exec_lo
	s_delay_alu instid0(VALU_DEP_2) | instskip(NEXT) | instid1(VALU_DEP_2)
	v_and_b32_e32 v27, 0x80, v1
	v_cmpx_gt_u64_e32 0x47600001, v[2:3]
	s_xor_b32 s27, exec_lo, s10
	s_cbranch_execz .LBB6_4590
; %bb.4577:                             ;   in Loop: Header=BB6_3279 Depth=2
	v_mov_b32_e32 v26, 0
	s_mov_b32 s28, exec_lo
	v_cmpx_ne_u32_e32 0, v0
	s_cbranch_execz .LBB6_4589
; %bb.4578:                             ;   in Loop: Header=BB6_3279 Depth=2
	v_bfe_u32 v26, v0, 23, 8
	v_or_b32_e32 v2, 0x800000, v4
	s_mov_b32 s29, exec_lo
	s_delay_alu instid0(VALU_DEP_2) | instskip(SKIP_1) | instid1(VALU_DEP_2)
	v_dual_mov_b32 v3, v5 :: v_dual_sub_nc_u32 v0, 0x71, v26
	v_cmp_gt_u32_e32 vcc_lo, 0x72, v26
	v_cndmask_b32_e32 v0, 0, v0, vcc_lo
	v_cmp_eq_u32_e32 vcc_lo, 0, v26
	s_delay_alu instid0(VALU_DEP_2) | instskip(NEXT) | instid1(VALU_DEP_1)
	v_cndmask_b32_e64 v29, v0, 0x70, vcc_lo
	v_dual_cndmask_b32 v2, v2, v4, vcc_lo :: v_dual_add_nc_u32 v0, 21, v29
	v_add_nc_u32_e32 v32, 20, v29
	s_delay_alu instid0(VALU_DEP_2) | instskip(NEXT) | instid1(VALU_DEP_2)
	v_lshlrev_b64_e64 v[0:1], v0, -1
	v_lshlrev_b64_e64 v[32:33], v32, 1
	s_delay_alu instid0(VALU_DEP_2) | instskip(NEXT) | instid1(VALU_DEP_3)
	v_bfi_b32 v37, v1, 0, 0
	v_bfi_b32 v36, v0, 0, v2
	v_lshrrev_b64 v[0:1], v29, v[2:3]
	s_delay_alu instid0(VALU_DEP_1) | instskip(NEXT) | instid1(VALU_DEP_3)
	v_mov_b64_e32 v[2:3], v[0:1]
	v_cmpx_eq_u64_e64 v[36:37], v[32:33]
; %bb.4579:                             ;   in Loop: Header=BB6_3279 Depth=2
	v_bfe_u32 v2, v0, 21, 1
	v_mov_b32_e32 v3, v5
	s_delay_alu instid0(VALU_DEP_1) | instskip(NEXT) | instid1(VALU_DEP_1)
	v_add_nc_u64_e32 v[2:3], v[0:1], v[2:3]
	v_add_nc_u64_e32 v[2:3], -1, v[2:3]
; %bb.4580:                             ;   in Loop: Header=BB6_3279 Depth=2
	s_or_b32 exec_lo, exec_lo, s29
	v_add_nc_u32_e32 v1, 0xffffff81, v26
	s_delay_alu instid0(VALU_DEP_2) | instskip(SKIP_2) | instid1(VALU_DEP_3)
	v_and_b32_e32 v2, 0x1fffff, v2
	v_lshrrev_b32_e32 v3, 23, v0
	s_mov_b32 s10, exec_lo
	v_cndmask_b32_e64 v1, v1, 0xffffff82, vcc_lo
	s_delay_alu instid0(VALU_DEP_3) | instskip(NEXT) | instid1(VALU_DEP_2)
	v_add_nc_u32_e32 v4, v2, v0
                                        ; implicit-def: $vgpr2
	v_add3_u32 v3, v29, v1, v3
                                        ; implicit-def: $vgpr0_vgpr1
	s_delay_alu instid0(VALU_DEP_1) | instskip(NEXT) | instid1(VALU_DEP_1)
	v_add_nc_u32_e32 v26, 14, v3
	v_cmpx_ne_u32_e32 0, v26
	s_xor_b32 s10, exec_lo, s10
; %bb.4581:                             ;   in Loop: Header=BB6_3279 Depth=2
	v_cmp_lt_u64_e32 vcc_lo, 0xffffff, v[4:5]
	v_add_nc_u32_e32 v0, 15, v3
	s_delay_alu instid0(VALU_DEP_1) | instskip(SKIP_1) | instid1(VALU_DEP_1)
	v_cndmask_b32_e32 v2, v26, v0, vcc_lo
	v_cndmask_b32_e64 v0, 0, 1, vcc_lo
	v_lshrrev_b64 v[0:1], v0, v[4:5]
; %bb.4582:                             ;   in Loop: Header=BB6_3279 Depth=2
	s_and_not1_saveexec_b32 s10, s10
; %bb.4583:                             ;   in Loop: Header=BB6_3279 Depth=2
	v_mov_b64_e32 v[0:1], v[4:5]
	v_bfe_u32 v2, v4, 23, 1
; %bb.4584:                             ;   in Loop: Header=BB6_3279 Depth=2
	s_or_b32 exec_lo, exec_lo, s10
	s_delay_alu instid0(VALU_DEP_2) | instskip(NEXT) | instid1(VALU_DEP_2)
	v_lshrrev_b64 v[0:1], 21, v[0:1]
	v_cmp_gt_i32_e32 vcc_lo, 32, v2
	v_cmp_ne_u32_e64 s10, 0, v2
                                        ; implicit-def: $vgpr26
	s_delay_alu instid0(VALU_DEP_3) | instskip(NEXT) | instid1(VALU_DEP_1)
	v_dual_cndmask_b32 v1, 0, v1 :: v_dual_cndmask_b32 v0, 3, v0
	v_cmp_ne_u64_e32 vcc_lo, 0, v[0:1]
	s_or_b32 s10, s10, vcc_lo
	s_delay_alu instid0(SALU_CYCLE_1) | instskip(NEXT) | instid1(SALU_CYCLE_1)
	s_and_saveexec_b32 s29, s10
	s_xor_b32 s10, exec_lo, s29
; %bb.4585:                             ;   in Loop: Header=BB6_3279 Depth=2
	v_min_i32_e32 v1, 31, v2
	s_delay_alu instid0(VALU_DEP_1) | instskip(NEXT) | instid1(VALU_DEP_1)
	v_lshl_or_b32 v1, v1, 2, v27
                                        ; implicit-def: $vgpr27
	v_and_or_b32 v26, v0, 3, v1
; %bb.4586:                             ;   in Loop: Header=BB6_3279 Depth=2
	s_and_not1_saveexec_b32 s10, s10
; %bb.4587:                             ;   in Loop: Header=BB6_3279 Depth=2
	v_mov_b32_e32 v26, v27
; %bb.4588:                             ;   in Loop: Header=BB6_3279 Depth=2
	s_or_b32 exec_lo, exec_lo, s10
.LBB6_4589:                             ;   in Loop: Header=BB6_3279 Depth=2
	s_delay_alu instid0(SALU_CYCLE_1)
	s_or_b32 exec_lo, exec_lo, s28
                                        ; implicit-def: $vgpr27
.LBB6_4590:                             ;   in Loop: Header=BB6_3279 Depth=2
	s_and_not1_saveexec_b32 s10, s27
; %bb.4591:                             ;   in Loop: Header=BB6_3279 Depth=2
	v_or_b32_e32 v26, 0x7b, v27
; %bb.4592:                             ;   in Loop: Header=BB6_3279 Depth=2
	s_or_b32 exec_lo, exec_lo, s10
                                        ; implicit-def: $vgpr0
.LBB6_4593:                             ;   in Loop: Header=BB6_3279 Depth=2
	s_and_not1_saveexec_b32 s10, s26
	s_cbranch_execz .LBB6_4599
; %bb.4594:                             ;   in Loop: Header=BB6_3279 Depth=2
	s_mov_b32 s26, exec_lo
                                        ; implicit-def: $vgpr26
	v_cmpx_ne_u64_e32 0, v[4:5]
	s_xor_b32 s26, exec_lo, s26
; %bb.4595:                             ;   in Loop: Header=BB6_3279 Depth=2
	v_lshrrev_b32_e32 v0, 24, v0
	s_delay_alu instid0(VALU_DEP_1)
	v_or_b32_e32 v26, 0x7f, v0
                                        ; implicit-def: $vgpr0
; %bb.4596:                             ;   in Loop: Header=BB6_3279 Depth=2
	s_and_not1_saveexec_b32 s26, s26
; %bb.4597:                             ;   in Loop: Header=BB6_3279 Depth=2
	v_cmp_lt_i32_e32 vcc_lo, -1, v0
	v_cndmask_b32_e64 v26, -4, 0x7c, vcc_lo
; %bb.4598:                             ;   in Loop: Header=BB6_3279 Depth=2
	s_or_b32 exec_lo, exec_lo, s26
.LBB6_4599:                             ;   in Loop: Header=BB6_3279 Depth=2
	s_delay_alu instid0(SALU_CYCLE_1)
	s_or_b32 exec_lo, exec_lo, s10
	scratch_load_b64 v[2:3], off, s33 offset:212 ; 8-byte Folded Reload
	v_dual_mov_b32 v0, 0 :: v_dual_mov_b32 v1, 0
	s_mov_b32 s10, exec_lo
	s_wait_loadcnt 0x0
	s_wait_xcnt 0x0
	v_cmpx_ne_u16_e32 0, v2
	s_cbranch_execz .LBB6_4609
; %bb.4600:                             ;   in Loop: Header=BB6_3279 Depth=2
	v_bfrev_b32_e32 v1, 1
	s_mov_b32 s26, exec_lo
	v_cmpx_ne_u16_e32 0xff80, v2
	s_cbranch_execz .LBB6_4608
; %bb.4601:                             ;   in Loop: Header=BB6_3279 Depth=2
	v_and_b32_e32 v1, 0x7c, v2
	v_and_b32_e32 v2, 3, v2
	s_delay_alu instid0(VALU_DEP_2) | instskip(SKIP_1) | instid1(SALU_CYCLE_1)
	v_cmp_ne_u32_e32 vcc_lo, 0x7c, v1
                                        ; implicit-def: $vgpr1
	s_and_saveexec_b32 s27, vcc_lo
	s_xor_b32 s27, exec_lo, s27
	s_cbranch_execz .LBB6_4605
; %bb.4602:                             ;   in Loop: Header=BB6_3279 Depth=2
	scratch_load_b64 v[32:33], off, s33 offset:212 ; 8-byte Folded Reload
	s_mov_b32 s28, exec_lo
	s_wait_loadcnt 0x0
	v_and_b32_e32 v1, 0xff, v32
	s_delay_alu instid0(VALU_DEP_1) | instskip(SKIP_1) | instid1(VALU_DEP_1)
	v_bfe_u32 v1, v1, 2, 5
	s_wait_xcnt 0x0
	v_cmpx_eq_u32_e32 0, v1
	s_cbranch_execz .LBB6_4604
; %bb.4603:                             ;   in Loop: Header=BB6_3279 Depth=2
	v_clz_i32_u32_e32 v1, v2
	s_delay_alu instid0(VALU_DEP_1) | instskip(SKIP_1) | instid1(VALU_DEP_2)
	v_min_u32_e32 v1, 32, v1
	v_mov_b32_e32 v33, v5
	v_subrev_nc_u32_e32 v2, 29, v1
	v_sub_nc_u32_e32 v1, 30, v1
	s_delay_alu instid0(VALU_DEP_2) | instskip(NEXT) | instid1(VALU_DEP_1)
	v_lshlrev_b64_e32 v[2:3], v2, v[32:33]
	v_and_b32_e32 v2, 3, v2
.LBB6_4604:                             ;   in Loop: Header=BB6_3279 Depth=2
	s_or_b32 exec_lo, exec_lo, s28
	v_bfe_i32 v3, v32, 0, 16
                                        ; implicit-def: $vgpr4
	scratch_store_b64 off, v[4:5], s33 offset:212 ; 8-byte Folded Spill
	v_and_b32_e32 v3, 0x80000000, v3
	s_delay_alu instid0(VALU_DEP_1) | instskip(NEXT) | instid1(VALU_DEP_1)
	v_lshl_add_u32 v1, v1, 23, v3
	v_lshl_or_b32 v1, v2, 21, v1
                                        ; implicit-def: $vgpr2
	s_delay_alu instid0(VALU_DEP_1)
	v_add_nc_u32_e32 v1, 0x38000000, v1
.LBB6_4605:                             ;   in Loop: Header=BB6_3279 Depth=2
	s_wait_xcnt 0x0
	s_and_not1_saveexec_b32 s27, s27
	s_cbranch_execz .LBB6_4607
; %bb.4606:                             ;   in Loop: Header=BB6_3279 Depth=2
	scratch_load_b64 v[32:33], off, s33 offset:212 th:TH_LOAD_LU ; 8-byte Folded Reload
	s_wait_loadcnt 0x0
	v_cmp_lt_i16_e32 vcc_lo, -1, v32
	v_cndmask_b32_e32 v1, 0xff800000, v109, vcc_lo
	v_cmp_eq_u32_e32 vcc_lo, 0, v2
	s_delay_alu instid0(VALU_DEP_2)
	v_cndmask_b32_e32 v1, 0x7f800001, v1, vcc_lo
.LBB6_4607:                             ;   in Loop: Header=BB6_3279 Depth=2
	s_wait_xcnt 0x0
	s_or_b32 exec_lo, exec_lo, s27
.LBB6_4608:                             ;   in Loop: Header=BB6_3279 Depth=2
	s_delay_alu instid0(SALU_CYCLE_1)
	s_or_b32 exec_lo, exec_lo, s26
.LBB6_4609:                             ;   in Loop: Header=BB6_3279 Depth=2
	s_delay_alu instid0(SALU_CYCLE_1)
	s_or_b32 exec_lo, exec_lo, s10
	scratch_load_b64 v[2:3], off, s33 offset:204 ; 8-byte Folded Reload
	s_mov_b32 s10, exec_lo
	s_wait_loadcnt 0x0
	s_wait_xcnt 0x0
	v_cmpx_ne_u16_e32 0, v2
	s_cbranch_execz .LBB6_4619
; %bb.4610:                             ;   in Loop: Header=BB6_3279 Depth=2
	v_bfrev_b32_e32 v0, 1
	s_mov_b32 s26, exec_lo
	v_cmpx_ne_u16_e32 0xff80, v2
	s_cbranch_execz .LBB6_4618
; %bb.4611:                             ;   in Loop: Header=BB6_3279 Depth=2
	v_and_b32_e32 v0, 0x7c, v2
	v_and_b32_e32 v2, 3, v2
	s_delay_alu instid0(VALU_DEP_2) | instskip(SKIP_1) | instid1(SALU_CYCLE_1)
	v_cmp_ne_u32_e32 vcc_lo, 0x7c, v0
                                        ; implicit-def: $vgpr0
	s_and_saveexec_b32 s27, vcc_lo
	s_xor_b32 s27, exec_lo, s27
	s_cbranch_execz .LBB6_4615
; %bb.4612:                             ;   in Loop: Header=BB6_3279 Depth=2
	scratch_load_b64 v[32:33], off, s33 offset:204 ; 8-byte Folded Reload
	s_mov_b32 s28, exec_lo
	s_wait_loadcnt 0x0
	v_and_b32_e32 v0, 0xff, v32
	s_delay_alu instid0(VALU_DEP_1) | instskip(SKIP_1) | instid1(VALU_DEP_1)
	v_bfe_u32 v0, v0, 2, 5
	s_wait_xcnt 0x0
	v_cmpx_eq_u32_e32 0, v0
	s_cbranch_execz .LBB6_4614
; %bb.4613:                             ;   in Loop: Header=BB6_3279 Depth=2
	v_clz_i32_u32_e32 v0, v2
	s_delay_alu instid0(VALU_DEP_1) | instskip(SKIP_1) | instid1(VALU_DEP_2)
	v_min_u32_e32 v0, 32, v0
	v_mov_b32_e32 v33, v5
	v_subrev_nc_u32_e32 v2, 29, v0
	v_sub_nc_u32_e32 v0, 30, v0
	s_delay_alu instid0(VALU_DEP_2) | instskip(NEXT) | instid1(VALU_DEP_1)
	v_lshlrev_b64_e32 v[2:3], v2, v[32:33]
	v_and_b32_e32 v2, 3, v2
.LBB6_4614:                             ;   in Loop: Header=BB6_3279 Depth=2
	s_or_b32 exec_lo, exec_lo, s28
	v_bfe_i32 v3, v32, 0, 16
                                        ; implicit-def: $vgpr4
	scratch_store_b64 off, v[4:5], s33 offset:204 ; 8-byte Folded Spill
	v_and_b32_e32 v3, 0x80000000, v3
	s_delay_alu instid0(VALU_DEP_1) | instskip(NEXT) | instid1(VALU_DEP_1)
	v_lshl_add_u32 v0, v0, 23, v3
	v_lshl_or_b32 v0, v2, 21, v0
                                        ; implicit-def: $vgpr2
	s_delay_alu instid0(VALU_DEP_1)
	v_add_nc_u32_e32 v0, 0x38000000, v0
.LBB6_4615:                             ;   in Loop: Header=BB6_3279 Depth=2
	s_wait_xcnt 0x0
	s_and_not1_saveexec_b32 s27, s27
	s_cbranch_execz .LBB6_4617
; %bb.4616:                             ;   in Loop: Header=BB6_3279 Depth=2
	scratch_load_b64 v[32:33], off, s33 offset:204 th:TH_LOAD_LU ; 8-byte Folded Reload
	s_wait_loadcnt 0x0
	v_cmp_lt_i16_e32 vcc_lo, -1, v32
	v_cndmask_b32_e32 v0, 0xff800000, v109, vcc_lo
	v_cmp_eq_u32_e32 vcc_lo, 0, v2
	s_delay_alu instid0(VALU_DEP_2)
	v_cndmask_b32_e32 v0, 0x7f800001, v0, vcc_lo
.LBB6_4617:                             ;   in Loop: Header=BB6_3279 Depth=2
	s_wait_xcnt 0x0
	s_or_b32 exec_lo, exec_lo, s27
.LBB6_4618:                             ;   in Loop: Header=BB6_3279 Depth=2
	s_delay_alu instid0(SALU_CYCLE_1)
	s_or_b32 exec_lo, exec_lo, s26
.LBB6_4619:                             ;   in Loop: Header=BB6_3279 Depth=2
	s_delay_alu instid0(SALU_CYCLE_1) | instskip(SKIP_3) | instid1(VALU_DEP_2)
	s_or_b32 exec_lo, exec_lo, s10
	v_mul_f32_e32 v0, v1, v0
	v_mov_b32_e32 v3, v5
                                        ; implicit-def: $vgpr27
	s_mov_b32 s10, exec_lo
	v_and_b32_e32 v2, 0x7f800000, v0
	v_and_b32_e32 v4, 0x7fffff, v0
	s_delay_alu instid0(VALU_DEP_2)
	v_cmpx_ne_u64_e32 0x7f800000, v[2:3]
	s_xor_b32 s26, exec_lo, s10
	s_cbranch_execz .LBB6_4637
; %bb.4620:                             ;   in Loop: Header=BB6_3279 Depth=2
	v_dual_mov_b32 v3, v5 :: v_dual_lshrrev_b32 v1, 24, v0
	v_and_b32_e32 v2, 0x7fffffff, v0
                                        ; implicit-def: $vgpr27
	s_mov_b32 s10, exec_lo
	s_delay_alu instid0(VALU_DEP_2) | instskip(NEXT) | instid1(VALU_DEP_2)
	v_and_b32_e32 v29, 0x80, v1
	v_cmpx_gt_u64_e32 0x47600001, v[2:3]
	s_xor_b32 s27, exec_lo, s10
	s_cbranch_execz .LBB6_4634
; %bb.4621:                             ;   in Loop: Header=BB6_3279 Depth=2
	v_mov_b32_e32 v27, 0
	s_mov_b32 s28, exec_lo
	v_cmpx_ne_u32_e32 0, v0
	s_cbranch_execz .LBB6_4633
; %bb.4622:                             ;   in Loop: Header=BB6_3279 Depth=2
	v_bfe_u32 v27, v0, 23, 8
	v_or_b32_e32 v2, 0x800000, v4
	s_mov_b32 s29, exec_lo
	s_delay_alu instid0(VALU_DEP_2) | instskip(SKIP_1) | instid1(VALU_DEP_2)
	v_dual_mov_b32 v3, v5 :: v_dual_sub_nc_u32 v0, 0x71, v27
	v_cmp_gt_u32_e32 vcc_lo, 0x72, v27
	v_cndmask_b32_e32 v0, 0, v0, vcc_lo
	v_cmp_eq_u32_e32 vcc_lo, 0, v27
	s_delay_alu instid0(VALU_DEP_2) | instskip(SKIP_1) | instid1(VALU_DEP_2)
	v_cndmask_b32_e64 v32, v0, 0x70, vcc_lo
	v_cndmask_b32_e32 v2, v2, v4, vcc_lo
	v_dual_add_nc_u32 v0, 21, v32 :: v_dual_add_nc_u32 v33, 20, v32
	s_delay_alu instid0(VALU_DEP_1) | instskip(NEXT) | instid1(VALU_DEP_2)
	v_lshlrev_b64_e64 v[0:1], v0, -1
	v_lshlrev_b64_e64 v[36:37], v33, 1
	s_delay_alu instid0(VALU_DEP_2) | instskip(NEXT) | instid1(VALU_DEP_3)
	v_bfi_b32 v49, v1, 0, 0
	v_bfi_b32 v48, v0, 0, v2
	v_lshrrev_b64 v[0:1], v32, v[2:3]
	s_delay_alu instid0(VALU_DEP_1) | instskip(NEXT) | instid1(VALU_DEP_3)
	v_mov_b64_e32 v[2:3], v[0:1]
	v_cmpx_eq_u64_e64 v[48:49], v[36:37]
; %bb.4623:                             ;   in Loop: Header=BB6_3279 Depth=2
	v_bfe_u32 v2, v0, 21, 1
	v_mov_b32_e32 v3, v5
	s_delay_alu instid0(VALU_DEP_1) | instskip(NEXT) | instid1(VALU_DEP_1)
	v_add_nc_u64_e32 v[2:3], v[0:1], v[2:3]
	v_add_nc_u64_e32 v[2:3], -1, v[2:3]
; %bb.4624:                             ;   in Loop: Header=BB6_3279 Depth=2
	s_or_b32 exec_lo, exec_lo, s29
	v_add_nc_u32_e32 v1, 0xffffff81, v27
	s_delay_alu instid0(VALU_DEP_2) | instskip(SKIP_2) | instid1(VALU_DEP_3)
	v_and_b32_e32 v2, 0x1fffff, v2
	v_lshrrev_b32_e32 v3, 23, v0
	s_mov_b32 s10, exec_lo
	v_cndmask_b32_e64 v1, v1, 0xffffff82, vcc_lo
	s_delay_alu instid0(VALU_DEP_3) | instskip(NEXT) | instid1(VALU_DEP_2)
	v_add_nc_u32_e32 v4, v2, v0
                                        ; implicit-def: $vgpr2
	v_add3_u32 v3, v32, v1, v3
                                        ; implicit-def: $vgpr0_vgpr1
	s_delay_alu instid0(VALU_DEP_1) | instskip(NEXT) | instid1(VALU_DEP_1)
	v_add_nc_u32_e32 v27, 14, v3
	v_cmpx_ne_u32_e32 0, v27
	s_xor_b32 s10, exec_lo, s10
; %bb.4625:                             ;   in Loop: Header=BB6_3279 Depth=2
	v_cmp_lt_u64_e32 vcc_lo, 0xffffff, v[4:5]
	v_add_nc_u32_e32 v0, 15, v3
	s_delay_alu instid0(VALU_DEP_1) | instskip(SKIP_1) | instid1(VALU_DEP_1)
	v_cndmask_b32_e32 v2, v27, v0, vcc_lo
	v_cndmask_b32_e64 v0, 0, 1, vcc_lo
	v_lshrrev_b64 v[0:1], v0, v[4:5]
; %bb.4626:                             ;   in Loop: Header=BB6_3279 Depth=2
	s_and_not1_saveexec_b32 s10, s10
; %bb.4627:                             ;   in Loop: Header=BB6_3279 Depth=2
	v_mov_b64_e32 v[0:1], v[4:5]
	v_bfe_u32 v2, v4, 23, 1
; %bb.4628:                             ;   in Loop: Header=BB6_3279 Depth=2
	s_or_b32 exec_lo, exec_lo, s10
	s_delay_alu instid0(VALU_DEP_2) | instskip(NEXT) | instid1(VALU_DEP_2)
	v_lshrrev_b64 v[0:1], 21, v[0:1]
	v_cmp_gt_i32_e32 vcc_lo, 32, v2
	v_cmp_ne_u32_e64 s10, 0, v2
                                        ; implicit-def: $vgpr27
	s_delay_alu instid0(VALU_DEP_3) | instskip(NEXT) | instid1(VALU_DEP_1)
	v_dual_cndmask_b32 v1, 0, v1 :: v_dual_cndmask_b32 v0, 3, v0
	v_cmp_ne_u64_e32 vcc_lo, 0, v[0:1]
	s_or_b32 s10, s10, vcc_lo
	s_delay_alu instid0(SALU_CYCLE_1) | instskip(NEXT) | instid1(SALU_CYCLE_1)
	s_and_saveexec_b32 s29, s10
	s_xor_b32 s10, exec_lo, s29
; %bb.4629:                             ;   in Loop: Header=BB6_3279 Depth=2
	v_min_i32_e32 v1, 31, v2
	s_delay_alu instid0(VALU_DEP_1) | instskip(NEXT) | instid1(VALU_DEP_1)
	v_lshl_or_b32 v1, v1, 2, v29
                                        ; implicit-def: $vgpr29
	v_and_or_b32 v27, v0, 3, v1
; %bb.4630:                             ;   in Loop: Header=BB6_3279 Depth=2
	s_and_not1_saveexec_b32 s10, s10
; %bb.4631:                             ;   in Loop: Header=BB6_3279 Depth=2
	v_mov_b32_e32 v27, v29
; %bb.4632:                             ;   in Loop: Header=BB6_3279 Depth=2
	s_or_b32 exec_lo, exec_lo, s10
.LBB6_4633:                             ;   in Loop: Header=BB6_3279 Depth=2
	s_delay_alu instid0(SALU_CYCLE_1)
	s_or_b32 exec_lo, exec_lo, s28
                                        ; implicit-def: $vgpr29
.LBB6_4634:                             ;   in Loop: Header=BB6_3279 Depth=2
	s_and_not1_saveexec_b32 s10, s27
; %bb.4635:                             ;   in Loop: Header=BB6_3279 Depth=2
	v_or_b32_e32 v27, 0x7b, v29
; %bb.4636:                             ;   in Loop: Header=BB6_3279 Depth=2
	s_or_b32 exec_lo, exec_lo, s10
                                        ; implicit-def: $vgpr0
.LBB6_4637:                             ;   in Loop: Header=BB6_3279 Depth=2
	s_and_not1_saveexec_b32 s10, s26
	s_cbranch_execz .LBB6_4643
; %bb.4638:                             ;   in Loop: Header=BB6_3279 Depth=2
	s_mov_b32 s26, exec_lo
                                        ; implicit-def: $vgpr27
	v_cmpx_ne_u64_e32 0, v[4:5]
	s_xor_b32 s26, exec_lo, s26
; %bb.4639:                             ;   in Loop: Header=BB6_3279 Depth=2
	v_lshrrev_b32_e32 v0, 24, v0
	s_delay_alu instid0(VALU_DEP_1)
	v_or_b32_e32 v27, 0x7f, v0
                                        ; implicit-def: $vgpr0
; %bb.4640:                             ;   in Loop: Header=BB6_3279 Depth=2
	s_and_not1_saveexec_b32 s26, s26
; %bb.4641:                             ;   in Loop: Header=BB6_3279 Depth=2
	v_cmp_lt_i32_e32 vcc_lo, -1, v0
	v_cndmask_b32_e64 v27, -4, 0x7c, vcc_lo
; %bb.4642:                             ;   in Loop: Header=BB6_3279 Depth=2
	s_or_b32 exec_lo, exec_lo, s26
.LBB6_4643:                             ;   in Loop: Header=BB6_3279 Depth=2
	s_delay_alu instid0(SALU_CYCLE_1)
	s_or_b32 exec_lo, exec_lo, s10
	scratch_load_b64 v[2:3], off, s33 offset:196 ; 8-byte Folded Reload
	v_dual_mov_b32 v0, 0 :: v_dual_mov_b32 v1, 0
	s_mov_b32 s10, exec_lo
	s_wait_loadcnt 0x0
	s_wait_xcnt 0x0
	v_cmpx_ne_u16_e32 0, v2
	s_cbranch_execz .LBB6_4653
; %bb.4644:                             ;   in Loop: Header=BB6_3279 Depth=2
	v_bfrev_b32_e32 v1, 1
	s_mov_b32 s26, exec_lo
	v_cmpx_ne_u16_e32 0xff80, v2
	s_cbranch_execz .LBB6_4652
; %bb.4645:                             ;   in Loop: Header=BB6_3279 Depth=2
	v_and_b32_e32 v1, 0x7c, v2
	v_and_b32_e32 v2, 3, v2
	s_delay_alu instid0(VALU_DEP_2) | instskip(SKIP_1) | instid1(SALU_CYCLE_1)
	v_cmp_ne_u32_e32 vcc_lo, 0x7c, v1
                                        ; implicit-def: $vgpr1
	s_and_saveexec_b32 s27, vcc_lo
	s_xor_b32 s27, exec_lo, s27
	s_cbranch_execz .LBB6_4649
; %bb.4646:                             ;   in Loop: Header=BB6_3279 Depth=2
	scratch_load_b64 v[32:33], off, s33 offset:196 ; 8-byte Folded Reload
	s_mov_b32 s28, exec_lo
	s_wait_loadcnt 0x0
	v_and_b32_e32 v1, 0xff, v32
	s_delay_alu instid0(VALU_DEP_1) | instskip(SKIP_1) | instid1(VALU_DEP_1)
	v_bfe_u32 v1, v1, 2, 5
	s_wait_xcnt 0x0
	v_cmpx_eq_u32_e32 0, v1
	s_cbranch_execz .LBB6_4648
; %bb.4647:                             ;   in Loop: Header=BB6_3279 Depth=2
	v_clz_i32_u32_e32 v1, v2
	s_delay_alu instid0(VALU_DEP_1) | instskip(SKIP_1) | instid1(VALU_DEP_2)
	v_min_u32_e32 v1, 32, v1
	v_mov_b32_e32 v33, v5
	v_subrev_nc_u32_e32 v2, 29, v1
	v_sub_nc_u32_e32 v1, 30, v1
	s_delay_alu instid0(VALU_DEP_2) | instskip(NEXT) | instid1(VALU_DEP_1)
	v_lshlrev_b64_e32 v[2:3], v2, v[32:33]
	v_and_b32_e32 v2, 3, v2
.LBB6_4648:                             ;   in Loop: Header=BB6_3279 Depth=2
	s_or_b32 exec_lo, exec_lo, s28
	v_bfe_i32 v3, v32, 0, 16
                                        ; implicit-def: $vgpr4
	scratch_store_b64 off, v[4:5], s33 offset:196 ; 8-byte Folded Spill
	v_and_b32_e32 v3, 0x80000000, v3
	s_delay_alu instid0(VALU_DEP_1) | instskip(NEXT) | instid1(VALU_DEP_1)
	v_lshl_add_u32 v1, v1, 23, v3
	v_lshl_or_b32 v1, v2, 21, v1
                                        ; implicit-def: $vgpr2
	s_delay_alu instid0(VALU_DEP_1)
	v_add_nc_u32_e32 v1, 0x38000000, v1
.LBB6_4649:                             ;   in Loop: Header=BB6_3279 Depth=2
	s_wait_xcnt 0x0
	s_and_not1_saveexec_b32 s27, s27
	s_cbranch_execz .LBB6_4651
; %bb.4650:                             ;   in Loop: Header=BB6_3279 Depth=2
	scratch_load_b64 v[32:33], off, s33 offset:196 th:TH_LOAD_LU ; 8-byte Folded Reload
	s_wait_loadcnt 0x0
	v_cmp_lt_i16_e32 vcc_lo, -1, v32
	v_cndmask_b32_e32 v1, 0xff800000, v109, vcc_lo
	v_cmp_eq_u32_e32 vcc_lo, 0, v2
	s_delay_alu instid0(VALU_DEP_2)
	v_cndmask_b32_e32 v1, 0x7f800001, v1, vcc_lo
.LBB6_4651:                             ;   in Loop: Header=BB6_3279 Depth=2
	s_wait_xcnt 0x0
	s_or_b32 exec_lo, exec_lo, s27
.LBB6_4652:                             ;   in Loop: Header=BB6_3279 Depth=2
	s_delay_alu instid0(SALU_CYCLE_1)
	s_or_b32 exec_lo, exec_lo, s26
.LBB6_4653:                             ;   in Loop: Header=BB6_3279 Depth=2
	s_delay_alu instid0(SALU_CYCLE_1)
	s_or_b32 exec_lo, exec_lo, s10
	scratch_load_b64 v[2:3], off, s33 offset:188 ; 8-byte Folded Reload
	s_mov_b32 s10, exec_lo
	s_wait_loadcnt 0x0
	s_wait_xcnt 0x0
	v_cmpx_ne_u16_e32 0, v2
	s_cbranch_execz .LBB6_4663
; %bb.4654:                             ;   in Loop: Header=BB6_3279 Depth=2
	v_bfrev_b32_e32 v0, 1
	s_mov_b32 s26, exec_lo
	v_cmpx_ne_u16_e32 0xff80, v2
	s_cbranch_execz .LBB6_4662
; %bb.4655:                             ;   in Loop: Header=BB6_3279 Depth=2
	v_and_b32_e32 v0, 0x7c, v2
	v_and_b32_e32 v2, 3, v2
	s_delay_alu instid0(VALU_DEP_2) | instskip(SKIP_1) | instid1(SALU_CYCLE_1)
	v_cmp_ne_u32_e32 vcc_lo, 0x7c, v0
                                        ; implicit-def: $vgpr0
	s_and_saveexec_b32 s27, vcc_lo
	s_xor_b32 s27, exec_lo, s27
	s_cbranch_execz .LBB6_4659
; %bb.4656:                             ;   in Loop: Header=BB6_3279 Depth=2
	scratch_load_b64 v[32:33], off, s33 offset:188 ; 8-byte Folded Reload
	s_mov_b32 s28, exec_lo
	s_wait_loadcnt 0x0
	v_and_b32_e32 v0, 0xff, v32
	s_delay_alu instid0(VALU_DEP_1) | instskip(SKIP_1) | instid1(VALU_DEP_1)
	v_bfe_u32 v0, v0, 2, 5
	s_wait_xcnt 0x0
	v_cmpx_eq_u32_e32 0, v0
	s_cbranch_execz .LBB6_4658
; %bb.4657:                             ;   in Loop: Header=BB6_3279 Depth=2
	v_clz_i32_u32_e32 v0, v2
	s_delay_alu instid0(VALU_DEP_1) | instskip(SKIP_1) | instid1(VALU_DEP_2)
	v_min_u32_e32 v0, 32, v0
	v_mov_b32_e32 v33, v5
	v_subrev_nc_u32_e32 v2, 29, v0
	v_sub_nc_u32_e32 v0, 30, v0
	s_delay_alu instid0(VALU_DEP_2) | instskip(NEXT) | instid1(VALU_DEP_1)
	v_lshlrev_b64_e32 v[2:3], v2, v[32:33]
	v_and_b32_e32 v2, 3, v2
.LBB6_4658:                             ;   in Loop: Header=BB6_3279 Depth=2
	s_or_b32 exec_lo, exec_lo, s28
	v_bfe_i32 v3, v32, 0, 16
                                        ; implicit-def: $vgpr4
	scratch_store_b64 off, v[4:5], s33 offset:188 ; 8-byte Folded Spill
	v_and_b32_e32 v3, 0x80000000, v3
	s_delay_alu instid0(VALU_DEP_1) | instskip(NEXT) | instid1(VALU_DEP_1)
	v_lshl_add_u32 v0, v0, 23, v3
	v_lshl_or_b32 v0, v2, 21, v0
                                        ; implicit-def: $vgpr2
	s_delay_alu instid0(VALU_DEP_1)
	v_add_nc_u32_e32 v0, 0x38000000, v0
.LBB6_4659:                             ;   in Loop: Header=BB6_3279 Depth=2
	s_wait_xcnt 0x0
	s_and_not1_saveexec_b32 s27, s27
	s_cbranch_execz .LBB6_4661
; %bb.4660:                             ;   in Loop: Header=BB6_3279 Depth=2
	scratch_load_b64 v[32:33], off, s33 offset:188 th:TH_LOAD_LU ; 8-byte Folded Reload
	s_wait_loadcnt 0x0
	v_cmp_lt_i16_e32 vcc_lo, -1, v32
	v_cndmask_b32_e32 v0, 0xff800000, v109, vcc_lo
	v_cmp_eq_u32_e32 vcc_lo, 0, v2
	s_delay_alu instid0(VALU_DEP_2)
	v_cndmask_b32_e32 v0, 0x7f800001, v0, vcc_lo
.LBB6_4661:                             ;   in Loop: Header=BB6_3279 Depth=2
	s_wait_xcnt 0x0
	s_or_b32 exec_lo, exec_lo, s27
.LBB6_4662:                             ;   in Loop: Header=BB6_3279 Depth=2
	s_delay_alu instid0(SALU_CYCLE_1)
	s_or_b32 exec_lo, exec_lo, s26
.LBB6_4663:                             ;   in Loop: Header=BB6_3279 Depth=2
	s_delay_alu instid0(SALU_CYCLE_1) | instskip(SKIP_3) | instid1(VALU_DEP_2)
	s_or_b32 exec_lo, exec_lo, s10
	v_mul_f32_e32 v0, v1, v0
	v_mov_b32_e32 v3, v5
                                        ; implicit-def: $vgpr1
	s_mov_b32 s10, exec_lo
	v_and_b32_e32 v2, 0x7f800000, v0
	v_and_b32_e32 v4, 0x7fffff, v0
	s_delay_alu instid0(VALU_DEP_2)
	v_cmpx_ne_u64_e32 0x7f800000, v[2:3]
	s_xor_b32 s26, exec_lo, s10
	s_cbranch_execz .LBB6_4681
; %bb.4664:                             ;   in Loop: Header=BB6_3279 Depth=2
	v_dual_mov_b32 v3, v5 :: v_dual_lshrrev_b32 v1, 24, v0
	v_and_b32_e32 v2, 0x7fffffff, v0
	s_mov_b32 s10, exec_lo
	s_delay_alu instid0(VALU_DEP_2) | instskip(NEXT) | instid1(VALU_DEP_2)
	v_and_b32_e32 v29, 0x80, v1
                                        ; implicit-def: $vgpr1
	v_cmpx_gt_u64_e32 0x47600001, v[2:3]
	s_xor_b32 s27, exec_lo, s10
	s_cbranch_execz .LBB6_4678
; %bb.4665:                             ;   in Loop: Header=BB6_3279 Depth=2
	v_mov_b32_e32 v1, 0
	s_mov_b32 s28, exec_lo
	v_cmpx_ne_u32_e32 0, v0
	s_cbranch_execz .LBB6_4677
; %bb.4666:                             ;   in Loop: Header=BB6_3279 Depth=2
	v_bfe_u32 v32, v0, 23, 8
	v_or_b32_e32 v2, 0x800000, v4
	s_mov_b32 s29, exec_lo
	s_delay_alu instid0(VALU_DEP_2) | instskip(SKIP_1) | instid1(VALU_DEP_2)
	v_dual_mov_b32 v3, v5 :: v_dual_sub_nc_u32 v0, 0x71, v32
	v_cmp_gt_u32_e32 vcc_lo, 0x72, v32
	v_cndmask_b32_e32 v0, 0, v0, vcc_lo
	v_cmp_eq_u32_e32 vcc_lo, 0, v32
	s_delay_alu instid0(VALU_DEP_2) | instskip(NEXT) | instid1(VALU_DEP_1)
	v_cndmask_b32_e64 v33, v0, 0x70, vcc_lo
	v_dual_cndmask_b32 v2, v2, v4, vcc_lo :: v_dual_add_nc_u32 v0, 21, v33
	v_add_nc_u32_e32 v35, 20, v33
	s_delay_alu instid0(VALU_DEP_2) | instskip(NEXT) | instid1(VALU_DEP_2)
	v_lshlrev_b64_e64 v[0:1], v0, -1
	v_lshlrev_b64_e64 v[36:37], v35, 1
	s_delay_alu instid0(VALU_DEP_2) | instskip(NEXT) | instid1(VALU_DEP_3)
	v_bfi_b32 v49, v1, 0, 0
	v_bfi_b32 v48, v0, 0, v2
	v_lshrrev_b64 v[0:1], v33, v[2:3]
	s_delay_alu instid0(VALU_DEP_1) | instskip(NEXT) | instid1(VALU_DEP_3)
	v_mov_b64_e32 v[2:3], v[0:1]
	v_cmpx_eq_u64_e64 v[48:49], v[36:37]
; %bb.4667:                             ;   in Loop: Header=BB6_3279 Depth=2
	v_bfe_u32 v2, v0, 21, 1
	v_mov_b32_e32 v3, v5
	s_delay_alu instid0(VALU_DEP_1) | instskip(NEXT) | instid1(VALU_DEP_1)
	v_add_nc_u64_e32 v[2:3], v[0:1], v[2:3]
	v_add_nc_u64_e32 v[2:3], -1, v[2:3]
; %bb.4668:                             ;   in Loop: Header=BB6_3279 Depth=2
	s_or_b32 exec_lo, exec_lo, s29
	v_add_nc_u32_e32 v1, 0xffffff81, v32
	s_delay_alu instid0(VALU_DEP_2) | instskip(SKIP_2) | instid1(VALU_DEP_3)
	v_and_b32_e32 v2, 0x1fffff, v2
	v_lshrrev_b32_e32 v3, 23, v0
	s_mov_b32 s10, exec_lo
	v_cndmask_b32_e64 v1, v1, 0xffffff82, vcc_lo
	s_delay_alu instid0(VALU_DEP_3) | instskip(NEXT) | instid1(VALU_DEP_2)
	v_add_nc_u32_e32 v4, v2, v0
                                        ; implicit-def: $vgpr2
	v_add3_u32 v3, v33, v1, v3
                                        ; implicit-def: $vgpr0_vgpr1
	s_delay_alu instid0(VALU_DEP_1) | instskip(NEXT) | instid1(VALU_DEP_1)
	v_add_nc_u32_e32 v32, 14, v3
	v_cmpx_ne_u32_e32 0, v32
	s_xor_b32 s10, exec_lo, s10
; %bb.4669:                             ;   in Loop: Header=BB6_3279 Depth=2
	v_cmp_lt_u64_e32 vcc_lo, 0xffffff, v[4:5]
	v_add_nc_u32_e32 v0, 15, v3
	s_delay_alu instid0(VALU_DEP_1) | instskip(SKIP_1) | instid1(VALU_DEP_1)
	v_cndmask_b32_e32 v2, v32, v0, vcc_lo
	v_cndmask_b32_e64 v0, 0, 1, vcc_lo
	v_lshrrev_b64 v[0:1], v0, v[4:5]
; %bb.4670:                             ;   in Loop: Header=BB6_3279 Depth=2
	s_and_not1_saveexec_b32 s10, s10
; %bb.4671:                             ;   in Loop: Header=BB6_3279 Depth=2
	v_mov_b64_e32 v[0:1], v[4:5]
	v_bfe_u32 v2, v4, 23, 1
; %bb.4672:                             ;   in Loop: Header=BB6_3279 Depth=2
	s_or_b32 exec_lo, exec_lo, s10
	s_delay_alu instid0(VALU_DEP_2) | instskip(NEXT) | instid1(VALU_DEP_2)
	v_lshrrev_b64 v[0:1], 21, v[0:1]
	v_cmp_gt_i32_e32 vcc_lo, 32, v2
	v_cmp_ne_u32_e64 s10, 0, v2
	s_delay_alu instid0(VALU_DEP_3) | instskip(NEXT) | instid1(VALU_DEP_1)
	v_dual_cndmask_b32 v1, 0, v1 :: v_dual_cndmask_b32 v0, 3, v0
	v_cmp_ne_u64_e32 vcc_lo, 0, v[0:1]
                                        ; implicit-def: $vgpr1
	s_or_b32 s10, s10, vcc_lo
	s_delay_alu instid0(SALU_CYCLE_1) | instskip(NEXT) | instid1(SALU_CYCLE_1)
	s_and_saveexec_b32 s29, s10
	s_xor_b32 s10, exec_lo, s29
; %bb.4673:                             ;   in Loop: Header=BB6_3279 Depth=2
	v_min_i32_e32 v1, 31, v2
	s_delay_alu instid0(VALU_DEP_1) | instskip(NEXT) | instid1(VALU_DEP_1)
	v_lshl_or_b32 v1, v1, 2, v29
                                        ; implicit-def: $vgpr29
	v_and_or_b32 v1, v0, 3, v1
; %bb.4674:                             ;   in Loop: Header=BB6_3279 Depth=2
	s_and_not1_saveexec_b32 s10, s10
; %bb.4675:                             ;   in Loop: Header=BB6_3279 Depth=2
	v_mov_b32_e32 v1, v29
; %bb.4676:                             ;   in Loop: Header=BB6_3279 Depth=2
	s_or_b32 exec_lo, exec_lo, s10
.LBB6_4677:                             ;   in Loop: Header=BB6_3279 Depth=2
	s_delay_alu instid0(SALU_CYCLE_1)
	s_or_b32 exec_lo, exec_lo, s28
                                        ; implicit-def: $vgpr29
.LBB6_4678:                             ;   in Loop: Header=BB6_3279 Depth=2
	s_and_not1_saveexec_b32 s10, s27
; %bb.4679:                             ;   in Loop: Header=BB6_3279 Depth=2
	v_or_b32_e32 v1, 0x7b, v29
; %bb.4680:                             ;   in Loop: Header=BB6_3279 Depth=2
	s_or_b32 exec_lo, exec_lo, s10
                                        ; implicit-def: $vgpr0
.LBB6_4681:                             ;   in Loop: Header=BB6_3279 Depth=2
	s_and_not1_saveexec_b32 s10, s26
	s_cbranch_execz .LBB6_3278
; %bb.4682:                             ;   in Loop: Header=BB6_3279 Depth=2
	s_mov_b32 s26, exec_lo
                                        ; implicit-def: $vgpr1
	v_cmpx_ne_u64_e32 0, v[4:5]
	s_xor_b32 s26, exec_lo, s26
; %bb.4683:                             ;   in Loop: Header=BB6_3279 Depth=2
	v_lshrrev_b32_e32 v0, 24, v0
	s_delay_alu instid0(VALU_DEP_1)
	v_or_b32_e32 v1, 0x7f, v0
                                        ; implicit-def: $vgpr0
; %bb.4684:                             ;   in Loop: Header=BB6_3279 Depth=2
	s_and_not1_saveexec_b32 s26, s26
	s_cbranch_execz .LBB6_3277
; %bb.4685:                             ;   in Loop: Header=BB6_3279 Depth=2
	v_cmp_lt_i32_e32 vcc_lo, -1, v0
	v_cndmask_b32_e64 v1, -4, 0x7c, vcc_lo
	s_branch .LBB6_3277
.LBB6_4686:                             ;   in Loop: Header=BB6_49 Depth=1
	s_or_b32 exec_lo, exec_lo, s25
	s_clause 0x16
	scratch_load_b32 v56, off, s33 offset:348
	scratch_load_b32 v57, off, s33 offset:352
	;; [unrolled: 1-line block ×4, first 2 shown]
	scratch_load_b64 v[100:101], off, s33 offset:308
	scratch_load_b64 v[72:73], off, s33 offset:356
	scratch_load_b32 v74, off, s33 offset:364
	scratch_load_b64 v[102:103], off, s33 offset:316
	scratch_load_b64 v[116:117], off, s33 offset:324
	;; [unrolled: 1-line block ×5, first 2 shown]
	scratch_load_b32 v75, off, s33 offset:436
	scratch_load_b64 v[92:93], off, s33 offset:444
	scratch_load_b64 v[94:95], off, s33 offset:452
	;; [unrolled: 1-line block ×5, first 2 shown]
	scratch_load_b32 v62, off, s33 offset:400
	scratch_load_b32 v4, off, s33 offset:404
	;; [unrolled: 1-line block ×5, first 2 shown]
	v_dual_mov_b32 v104, 1 :: v_dual_mov_b32 v105, 0x90
	v_mov_b32_e32 v108, 0x7c
.LBB6_4687:                             ;   in Loop: Header=BB6_49 Depth=1
	s_wait_xcnt 0x0
	s_or_b32 exec_lo, exec_lo, s24
	s_wait_loadcnt 0x2
	v_and_b32_e32 v0, 0xfffffc00, v3
	s_delay_alu instid0(VALU_DEP_1)
	v_cmp_ne_u32_e32 vcc_lo, v3, v0
	s_and_b32 exec_lo, exec_lo, vcc_lo
	s_cbranch_execz .LBB6_4735
; %bb.4688:                             ;   in Loop: Header=BB6_49 Depth=1
	s_wait_loadcnt 0x0
	v_dual_add_nc_u32 v1, v7, v1 :: v_dual_lshlrev_b32 v2, 5, v126
	s_delay_alu instid0(VALU_DEP_1) | instskip(NEXT) | instid1(VALU_DEP_1)
	v_and_b32_e32 v1, 0xffffffe0, v1
	v_sub_nc_u32_e32 v1, v7, v1
	s_delay_alu instid0(VALU_DEP_1) | instskip(SKIP_1) | instid1(VALU_DEP_1)
	v_sub_nc_u32_e32 v1, v1, v2
	v_and_b32_e32 v2, 0x3ff, v3
	v_sub_nc_u32_e32 v12, v2, v1
	s_delay_alu instid0(VALU_DEP_1)
	v_cmp_lt_i32_e32 vcc_lo, 0, v12
	s_and_b32 exec_lo, exec_lo, vcc_lo
	s_cbranch_execz .LBB6_4735
; %bb.4689:                             ;   in Loop: Header=BB6_49 Depth=1
	s_trap 2
	ds_load_b128 v[6:9], v0
	ds_load_b64 v[10:11], v0
	v_add3_u32 v0, v0, v4, v1
	s_mov_b32 s24, 0
	s_delay_alu instid0(VALU_DEP_1) | instskip(SKIP_1) | instid1(VALU_DEP_1)
	v_ashrrev_i32_e32 v1, 31, v0
	s_wait_dscnt 0x1
	v_add_nc_u64_e32 v[6:7], v[6:7], v[0:1]
	v_add_nc_u64_e32 v[2:3], v[8:9], v[0:1]
	s_wait_dscnt 0x0
	v_add_nc_u64_e32 v[0:1], v[10:11], v[0:1]
	s_branch .LBB6_4692
.LBB6_4690:                             ;   in Loop: Header=BB6_4692 Depth=2
	s_or_b32 exec_lo, exec_lo, s25
.LBB6_4691:                             ;   in Loop: Header=BB6_4692 Depth=2
	s_delay_alu instid0(SALU_CYCLE_1)
	s_or_b32 exec_lo, exec_lo, s10
	v_sub_nc_u32_e32 v12, v12, v90
	flat_store_b8 v[0:1], v9 th:TH_STORE_NT
	v_add_nc_u64_e32 v[6:7], v[6:7], v[90:91]
	v_add_nc_u64_e32 v[2:3], v[2:3], v[90:91]
	s_wait_xcnt 0x0
	v_add_nc_u64_e32 v[0:1], v[0:1], v[90:91]
	v_cmp_gt_i32_e32 vcc_lo, 1, v12
	s_or_b32 s24, vcc_lo, s24
	s_delay_alu instid0(SALU_CYCLE_1)
	s_and_not1_b32 exec_lo, exec_lo, s24
	s_cbranch_execz .LBB6_4735
.LBB6_4692:                             ;   Parent Loop BB6_49 Depth=1
                                        ; =>  This Inner Loop Header: Depth=2
	flat_load_i8 v10, v[6:7] th:TH_LOAD_NT
	flat_load_i8 v8, v[2:3] th:TH_LOAD_NT
	v_dual_mov_b32 v4, 0 :: v_dual_mov_b32 v11, 0
	s_mov_b32 s10, exec_lo
	s_wait_loadcnt_dscnt 0x101
	s_wait_xcnt 0x0
	v_cmpx_ne_u16_e32 0, v10
	s_cbranch_execz .LBB6_4702
; %bb.4693:                             ;   in Loop: Header=BB6_4692 Depth=2
	v_bfrev_b32_e32 v11, 1
	s_mov_b32 s25, exec_lo
	v_cmpx_ne_u16_e32 0xff80, v10
	s_cbranch_execz .LBB6_4701
; %bb.4694:                             ;   in Loop: Header=BB6_4692 Depth=2
	v_and_b32_e32 v11, 0x7c, v10
	v_and_b32_e32 v9, 3, v10
	s_delay_alu instid0(VALU_DEP_2) | instskip(SKIP_1) | instid1(SALU_CYCLE_1)
	v_cmp_ne_u32_e32 vcc_lo, 0x7c, v11
                                        ; implicit-def: $vgpr11
	s_and_saveexec_b32 s26, vcc_lo
	s_xor_b32 s26, exec_lo, s26
	s_cbranch_execz .LBB6_4698
; %bb.4695:                             ;   in Loop: Header=BB6_4692 Depth=2
	v_and_b32_e32 v11, 0xff, v10
	s_mov_b32 s27, exec_lo
	s_delay_alu instid0(VALU_DEP_1) | instskip(NEXT) | instid1(VALU_DEP_1)
	v_bfe_u32 v11, v11, 2, 5
	v_cmpx_eq_u32_e32 0, v11
; %bb.4696:                             ;   in Loop: Header=BB6_4692 Depth=2
	v_clz_i32_u32_e32 v9, v9
	v_mov_b32_e32 v11, v5
	s_delay_alu instid0(VALU_DEP_2) | instskip(NEXT) | instid1(VALU_DEP_1)
	v_min_u32_e32 v9, 32, v9
	v_subrev_nc_u32_e32 v13, 29, v9
	s_delay_alu instid0(VALU_DEP_1) | instskip(NEXT) | instid1(VALU_DEP_1)
	v_lshlrev_b64_e32 v[14:15], v13, v[10:11]
	v_dual_sub_nc_u32 v11, 30, v9 :: v_dual_bitop2_b32 v9, 3, v14 bitop3:0x40
; %bb.4697:                             ;   in Loop: Header=BB6_4692 Depth=2
	s_or_b32 exec_lo, exec_lo, s27
	v_bfe_i32 v10, v10, 0, 16
	s_delay_alu instid0(VALU_DEP_1) | instskip(NEXT) | instid1(VALU_DEP_1)
	v_and_b32_e32 v10, 0x80000000, v10
	v_lshl_add_u32 v10, v11, 23, v10
	s_delay_alu instid0(VALU_DEP_1) | instskip(NEXT) | instid1(VALU_DEP_1)
	v_lshl_or_b32 v9, v9, 21, v10
                                        ; implicit-def: $vgpr10
	v_add_nc_u32_e32 v11, 0x38000000, v9
                                        ; implicit-def: $vgpr9
.LBB6_4698:                             ;   in Loop: Header=BB6_4692 Depth=2
	s_and_not1_saveexec_b32 s26, s26
; %bb.4699:                             ;   in Loop: Header=BB6_4692 Depth=2
	v_cmp_lt_i16_e32 vcc_lo, -1, v10
	v_cndmask_b32_e32 v10, 0xff800000, v109, vcc_lo
	v_cmp_eq_u32_e32 vcc_lo, 0, v9
	s_delay_alu instid0(VALU_DEP_2)
	v_cndmask_b32_e32 v11, 0x7f800001, v10, vcc_lo
; %bb.4700:                             ;   in Loop: Header=BB6_4692 Depth=2
	s_or_b32 exec_lo, exec_lo, s26
.LBB6_4701:                             ;   in Loop: Header=BB6_4692 Depth=2
	s_delay_alu instid0(SALU_CYCLE_1)
	s_or_b32 exec_lo, exec_lo, s25
.LBB6_4702:                             ;   in Loop: Header=BB6_4692 Depth=2
	s_delay_alu instid0(SALU_CYCLE_1) | instskip(NEXT) | instid1(SALU_CYCLE_1)
	s_or_b32 exec_lo, exec_lo, s10
	s_mov_b32 s10, exec_lo
	s_wait_loadcnt_dscnt 0x0
	v_cmpx_ne_u16_e32 0, v8
	s_cbranch_execz .LBB6_4712
; %bb.4703:                             ;   in Loop: Header=BB6_4692 Depth=2
	v_bfrev_b32_e32 v4, 1
	s_mov_b32 s25, exec_lo
	v_cmpx_ne_u16_e32 0xff80, v8
	s_cbranch_execz .LBB6_4711
; %bb.4704:                             ;   in Loop: Header=BB6_4692 Depth=2
	v_and_b32_e32 v4, 0x7c, v8
	v_and_b32_e32 v9, 3, v8
	s_delay_alu instid0(VALU_DEP_2) | instskip(SKIP_1) | instid1(SALU_CYCLE_1)
	v_cmp_ne_u32_e32 vcc_lo, 0x7c, v4
                                        ; implicit-def: $vgpr4
	s_and_saveexec_b32 s26, vcc_lo
	s_xor_b32 s26, exec_lo, s26
	s_cbranch_execz .LBB6_4708
; %bb.4705:                             ;   in Loop: Header=BB6_4692 Depth=2
	v_and_b32_e32 v4, 0xff, v8
	s_mov_b32 s27, exec_lo
	s_delay_alu instid0(VALU_DEP_1) | instskip(NEXT) | instid1(VALU_DEP_1)
	v_bfe_u32 v4, v4, 2, 5
	v_cmpx_eq_u32_e32 0, v4
	s_cbranch_execz .LBB6_4707
; %bb.4706:                             ;   in Loop: Header=BB6_4692 Depth=2
	v_clz_i32_u32_e32 v4, v9
	s_delay_alu instid0(VALU_DEP_1) | instskip(SKIP_1) | instid1(VALU_DEP_2)
	v_min_u32_e32 v4, 32, v4
	v_mov_b32_e32 v9, v5
	v_subrev_nc_u32_e32 v10, 29, v4
	v_sub_nc_u32_e32 v4, 30, v4
	s_delay_alu instid0(VALU_DEP_2) | instskip(NEXT) | instid1(VALU_DEP_1)
	v_lshlrev_b64_e32 v[14:15], v10, v[8:9]
	v_and_b32_e32 v9, 3, v14
.LBB6_4707:                             ;   in Loop: Header=BB6_4692 Depth=2
	s_or_b32 exec_lo, exec_lo, s27
	v_bfe_i32 v8, v8, 0, 16
	s_delay_alu instid0(VALU_DEP_1) | instskip(NEXT) | instid1(VALU_DEP_1)
	v_and_b32_e32 v8, 0x80000000, v8
	v_lshl_add_u32 v4, v4, 23, v8
                                        ; implicit-def: $vgpr8
	s_delay_alu instid0(VALU_DEP_1) | instskip(NEXT) | instid1(VALU_DEP_1)
	v_lshl_or_b32 v4, v9, 21, v4
                                        ; implicit-def: $vgpr9
	v_add_nc_u32_e32 v4, 0x38000000, v4
.LBB6_4708:                             ;   in Loop: Header=BB6_4692 Depth=2
	s_and_not1_saveexec_b32 s26, s26
; %bb.4709:                             ;   in Loop: Header=BB6_4692 Depth=2
	v_cmp_lt_i16_e32 vcc_lo, -1, v8
	v_cndmask_b32_e32 v4, 0xff800000, v109, vcc_lo
	v_cmp_eq_u32_e32 vcc_lo, 0, v9
	s_delay_alu instid0(VALU_DEP_2)
	v_cndmask_b32_e32 v4, 0x7f800001, v4, vcc_lo
; %bb.4710:                             ;   in Loop: Header=BB6_4692 Depth=2
	s_or_b32 exec_lo, exec_lo, s26
.LBB6_4711:                             ;   in Loop: Header=BB6_4692 Depth=2
	s_delay_alu instid0(SALU_CYCLE_1)
	s_or_b32 exec_lo, exec_lo, s25
.LBB6_4712:                             ;   in Loop: Header=BB6_4692 Depth=2
	s_delay_alu instid0(SALU_CYCLE_1) | instskip(NEXT) | instid1(VALU_DEP_1)
	s_or_b32 exec_lo, exec_lo, s10
	v_dual_mul_f32 v8, v11, v4 :: v_dual_mov_b32 v11, v5
                                        ; implicit-def: $vgpr9
	s_mov_b32 s10, exec_lo
	s_delay_alu instid0(VALU_DEP_1) | instskip(SKIP_1) | instid1(VALU_DEP_2)
	v_and_b32_e32 v10, 0x7f800000, v8
	v_and_b32_e32 v4, 0x7fffff, v8
	v_cmpx_ne_u64_e32 0x7f800000, v[10:11]
	s_xor_b32 s25, exec_lo, s10
	s_cbranch_execz .LBB6_4730
; %bb.4713:                             ;   in Loop: Header=BB6_4692 Depth=2
	v_dual_mov_b32 v11, v5 :: v_dual_lshrrev_b32 v9, 24, v8
	v_and_b32_e32 v10, 0x7fffffff, v8
	s_mov_b32 s10, exec_lo
	s_delay_alu instid0(VALU_DEP_2) | instskip(NEXT) | instid1(VALU_DEP_2)
	v_and_b32_e32 v13, 0x80, v9
                                        ; implicit-def: $vgpr9
	v_cmpx_gt_u64_e32 0x47600001, v[10:11]
	s_xor_b32 s26, exec_lo, s10
	s_cbranch_execz .LBB6_4727
; %bb.4714:                             ;   in Loop: Header=BB6_4692 Depth=2
	v_mov_b32_e32 v9, 0
	s_mov_b32 s27, exec_lo
	v_cmpx_ne_u32_e32 0, v8
	s_cbranch_execz .LBB6_4726
; %bb.4715:                             ;   in Loop: Header=BB6_4692 Depth=2
	v_bfe_u32 v14, v8, 23, 8
	v_or_b32_e32 v10, 0x800000, v4
	s_mov_b32 s28, exec_lo
	s_delay_alu instid0(VALU_DEP_2) | instskip(SKIP_1) | instid1(VALU_DEP_2)
	v_dual_mov_b32 v11, v5 :: v_dual_sub_nc_u32 v8, 0x71, v14
	v_cmp_gt_u32_e32 vcc_lo, 0x72, v14
	v_cndmask_b32_e32 v8, 0, v8, vcc_lo
	v_cmp_eq_u32_e32 vcc_lo, 0, v14
	s_delay_alu instid0(VALU_DEP_2) | instskip(NEXT) | instid1(VALU_DEP_1)
	v_cndmask_b32_e64 v15, v8, 0x70, vcc_lo
	v_dual_cndmask_b32 v10, v10, v4, vcc_lo :: v_dual_add_nc_u32 v8, 21, v15
	v_add_nc_u32_e32 v16, 20, v15
	s_delay_alu instid0(VALU_DEP_2) | instskip(NEXT) | instid1(VALU_DEP_2)
	v_lshlrev_b64_e64 v[8:9], v8, -1
	v_lshlrev_b64_e64 v[16:17], v16, 1
	s_delay_alu instid0(VALU_DEP_2) | instskip(NEXT) | instid1(VALU_DEP_3)
	v_bfi_b32 v19, v9, 0, 0
	v_bfi_b32 v18, v8, 0, v10
	v_lshrrev_b64 v[8:9], v15, v[10:11]
	s_delay_alu instid0(VALU_DEP_1) | instskip(NEXT) | instid1(VALU_DEP_3)
	v_mov_b64_e32 v[10:11], v[8:9]
	v_cmpx_eq_u64_e64 v[18:19], v[16:17]
; %bb.4716:                             ;   in Loop: Header=BB6_4692 Depth=2
	v_bfe_u32 v10, v8, 21, 1
	v_mov_b32_e32 v11, v5
	s_delay_alu instid0(VALU_DEP_1) | instskip(NEXT) | instid1(VALU_DEP_1)
	v_add_nc_u64_e32 v[10:11], v[8:9], v[10:11]
	v_add_nc_u64_e32 v[10:11], -1, v[10:11]
; %bb.4717:                             ;   in Loop: Header=BB6_4692 Depth=2
	s_or_b32 exec_lo, exec_lo, s28
	v_add_nc_u32_e32 v4, 0xffffff81, v14
	s_delay_alu instid0(VALU_DEP_2) | instskip(SKIP_2) | instid1(VALU_DEP_3)
	v_and_b32_e32 v10, 0x1fffff, v10
	v_lshrrev_b32_e32 v9, 23, v8
	s_mov_b32 s10, exec_lo
	v_cndmask_b32_e64 v4, v4, 0xffffff82, vcc_lo
	s_delay_alu instid0(VALU_DEP_1) | instskip(SKIP_1) | instid1(VALU_DEP_2)
	v_add3_u32 v11, v15, v4, v9
	v_add_nc_u32_e32 v4, v10, v8
                                        ; implicit-def: $vgpr8_vgpr9
                                        ; implicit-def: $vgpr10
	v_add_nc_u32_e32 v14, 14, v11
	s_delay_alu instid0(VALU_DEP_1)
	v_cmpx_ne_u32_e32 0, v14
	s_xor_b32 s10, exec_lo, s10
; %bb.4718:                             ;   in Loop: Header=BB6_4692 Depth=2
	s_delay_alu instid0(VALU_DEP_3) | instskip(SKIP_1) | instid1(VALU_DEP_1)
	v_cmp_lt_u64_e32 vcc_lo, 0xffffff, v[4:5]
	v_add_nc_u32_e32 v8, 15, v11
	v_cndmask_b32_e32 v10, v14, v8, vcc_lo
	v_cndmask_b32_e64 v8, 0, 1, vcc_lo
	s_delay_alu instid0(VALU_DEP_1)
	v_lshrrev_b64 v[8:9], v8, v[4:5]
; %bb.4719:                             ;   in Loop: Header=BB6_4692 Depth=2
	s_and_not1_saveexec_b32 s10, s10
; %bb.4720:                             ;   in Loop: Header=BB6_4692 Depth=2
	v_mov_b64_e32 v[8:9], v[4:5]
	v_bfe_u32 v10, v4, 23, 1
; %bb.4721:                             ;   in Loop: Header=BB6_4692 Depth=2
	s_or_b32 exec_lo, exec_lo, s10
	s_delay_alu instid0(VALU_DEP_2) | instskip(NEXT) | instid1(VALU_DEP_2)
	v_lshrrev_b64 v[8:9], 21, v[8:9]
	v_cmp_gt_i32_e32 vcc_lo, 32, v10
	v_cmp_ne_u32_e64 s10, 0, v10
	s_delay_alu instid0(VALU_DEP_3) | instskip(NEXT) | instid1(VALU_DEP_1)
	v_dual_cndmask_b32 v9, 0, v9 :: v_dual_cndmask_b32 v8, 3, v8
	v_cmp_ne_u64_e32 vcc_lo, 0, v[8:9]
                                        ; implicit-def: $vgpr9
	s_or_b32 s10, s10, vcc_lo
	s_delay_alu instid0(SALU_CYCLE_1) | instskip(NEXT) | instid1(SALU_CYCLE_1)
	s_and_saveexec_b32 s28, s10
	s_xor_b32 s10, exec_lo, s28
; %bb.4722:                             ;   in Loop: Header=BB6_4692 Depth=2
	v_min_i32_e32 v4, 31, v10
	s_delay_alu instid0(VALU_DEP_1) | instskip(NEXT) | instid1(VALU_DEP_1)
	v_lshl_or_b32 v4, v4, 2, v13
                                        ; implicit-def: $vgpr13
	v_and_or_b32 v9, v8, 3, v4
; %bb.4723:                             ;   in Loop: Header=BB6_4692 Depth=2
	s_and_not1_saveexec_b32 s10, s10
; %bb.4724:                             ;   in Loop: Header=BB6_4692 Depth=2
	v_mov_b32_e32 v9, v13
; %bb.4725:                             ;   in Loop: Header=BB6_4692 Depth=2
	s_or_b32 exec_lo, exec_lo, s10
.LBB6_4726:                             ;   in Loop: Header=BB6_4692 Depth=2
	s_delay_alu instid0(SALU_CYCLE_1)
	s_or_b32 exec_lo, exec_lo, s27
                                        ; implicit-def: $vgpr13
.LBB6_4727:                             ;   in Loop: Header=BB6_4692 Depth=2
	s_and_not1_saveexec_b32 s10, s26
; %bb.4728:                             ;   in Loop: Header=BB6_4692 Depth=2
	v_or_b32_e32 v9, 0x7b, v13
; %bb.4729:                             ;   in Loop: Header=BB6_4692 Depth=2
	s_or_b32 exec_lo, exec_lo, s10
                                        ; implicit-def: $vgpr8
.LBB6_4730:                             ;   in Loop: Header=BB6_4692 Depth=2
	s_and_not1_saveexec_b32 s10, s25
	s_cbranch_execz .LBB6_4691
; %bb.4731:                             ;   in Loop: Header=BB6_4692 Depth=2
	s_mov_b32 s25, exec_lo
                                        ; implicit-def: $vgpr9
	v_cmpx_ne_u64_e32 0, v[4:5]
	s_xor_b32 s25, exec_lo, s25
; %bb.4732:                             ;   in Loop: Header=BB6_4692 Depth=2
	v_lshrrev_b32_e32 v4, 24, v8
                                        ; implicit-def: $vgpr8
	s_delay_alu instid0(VALU_DEP_1)
	v_or_b32_e32 v9, 0x7f, v4
; %bb.4733:                             ;   in Loop: Header=BB6_4692 Depth=2
	s_and_not1_saveexec_b32 s25, s25
	s_cbranch_execz .LBB6_4690
; %bb.4734:                             ;   in Loop: Header=BB6_4692 Depth=2
	v_cmp_lt_i32_e32 vcc_lo, -1, v8
	v_cndmask_b32_e64 v9, -4, 0x7c, vcc_lo
	s_branch .LBB6_4690
.LBB6_4735:                             ;   in Loop: Header=BB6_49 Depth=1
	s_or_b32 exec_lo, exec_lo, s11
	v_cmp_ne_u32_e64 s10, 0, v62
.LBB6_4736:                             ;   in Loop: Header=BB6_49 Depth=1
	s_clause 0x3
	scratch_load_b128 v[112:115], off, s33 offset:284
	scratch_load_b128 v[60:63], off, s33 offset:252
	scratch_load_b64 v[76:77], off, s33 offset:268
	scratch_load_b64 v[78:79], off, s33 offset:276
	s_wait_loadcnt 0x3
	scratch_load_b64 v[114:115], off, s33 offset:300 ; 8-byte Folded Reload
	s_wait_xcnt 0x0
	s_and_saveexec_b32 s11, s2
	s_cbranch_execz .LBB6_4755
.LBB6_4737:                             ;   in Loop: Header=BB6_49 Depth=1
	s_and_saveexec_b32 s24, s3
	s_delay_alu instid0(SALU_CYCLE_1)
	s_xor_b32 s24, exec_lo, s24
	s_cbranch_execz .LBB6_4752
; %bb.4738:                             ;   in Loop: Header=BB6_49 Depth=1
	s_and_saveexec_b32 s25, s4
	s_cbranch_execz .LBB6_4751
; %bb.4739:                             ;   in Loop: Header=BB6_49 Depth=1
	s_mov_b32 s27, exec_lo
	s_mov_b32 s26, exec_lo
	v_mbcnt_lo_u32_b32 v0, s27, 0
	global_wb scope:SCOPE_DEV
	s_wait_storecnt 0x0
	s_wait_loadcnt_dscnt 0x0
	global_inv scope:SCOPE_DEV
	v_cmpx_eq_u32_e32 0, v0
	s_cbranch_execz .LBB6_4741
; %bb.4740:                             ;   in Loop: Header=BB6_49 Depth=1
	s_bcnt1_i32_b32 s27, s27
	s_delay_alu instid0(SALU_CYCLE_1)
	v_dual_mov_b32 v1, v5 :: v_dual_mov_b32 v0, s27
	s_wait_loadcnt 0x0
	ds_add_u64 v0, v[0:1]
	s_trap 2
.LBB6_4741:                             ;   in Loop: Header=BB6_49 Depth=1
	s_or_b32 exec_lo, exec_lo, s26
	s_trap 2
	ds_load_b64 v[0:1], v0
	s_wait_dscnt 0x0
	scratch_load_b64 v[2:3], off, s33 offset:236 ; 8-byte Folded Reload
	s_mov_b32 s26, exec_lo
	s_wait_loadcnt 0x0
	v_add_nc_u64_e32 v[78:79], v[78:79], v[2:3]
	s_delay_alu instid0(VALU_DEP_1)
	v_cmpx_lt_u64_e64 v[0:1], v[78:79]
	s_cbranch_execz .LBB6_4750
; %bb.4742:                             ;   in Loop: Header=BB6_49 Depth=1
	s_mov_b32 s27, 0
	s_mov_b32 s40, 0
                                        ; implicit-def: $sgpr28
                                        ; implicit-def: $sgpr29
	s_branch .LBB6_4744
.LBB6_4743:                             ;   in Loop: Header=BB6_4744 Depth=2
	s_or_b32 exec_lo, exec_lo, s42
	s_delay_alu instid0(SALU_CYCLE_1) | instskip(NEXT) | instid1(SALU_CYCLE_1)
	s_and_b32 s41, exec_lo, s43
	s_or_b32 s27, s41, s27
	s_and_not1_b32 s28, s28, exec_lo
	s_and_b32 s41, s29, exec_lo
	s_delay_alu instid0(SALU_CYCLE_1)
	s_or_b32 s28, s28, s41
	s_and_not1_b32 exec_lo, exec_lo, s27
	s_cbranch_execz .LBB6_4748
.LBB6_4744:                             ;   Parent Loop BB6_49 Depth=1
                                        ; =>  This Inner Loop Header: Depth=2
	s_add_co_i32 s40, s40, 1
	s_delay_alu instid0(SALU_CYCLE_1) | instskip(SKIP_1) | instid1(SALU_CYCLE_1)
	s_cmp_lg_u32 s40, 0x2710
	s_cselect_b32 s41, -1, 0
	s_and_b32 vcc_lo, exec_lo, s41
	s_cbranch_vccz .LBB6_4746
; %bb.4745:                             ;   in Loop: Header=BB6_4744 Depth=2
	s_mov_b32 s43, -1
	s_or_b32 s29, s29, exec_lo
	s_and_saveexec_b32 s42, s41
	s_cbranch_execz .LBB6_4743
	s_branch .LBB6_4747
.LBB6_4746:                             ;   in Loop: Header=BB6_4744 Depth=2
	s_trap 2
	ds_load_b64 v[0:1], v0
	s_and_not1_b32 s41, s41, exec_lo
	s_mov_b32 s40, 0
	s_wait_dscnt 0x0
	flat_load_b32 v0, v[0:1] scope:SCOPE_SYS
	s_wait_loadcnt_dscnt 0x0
	global_inv scope:SCOPE_SYS
	v_cmp_eq_u32_e32 vcc_lo, 0, v0
	s_and_b32 s42, vcc_lo, exec_lo
	s_delay_alu instid0(SALU_CYCLE_1)
	s_or_b32 s41, s41, s42
	s_mov_b32 s43, -1
	s_or_b32 s29, s29, exec_lo
	s_wait_xcnt 0x0
	s_and_saveexec_b32 s42, s41
	s_cbranch_execz .LBB6_4743
.LBB6_4747:                             ;   in Loop: Header=BB6_4744 Depth=2
	s_sleep 1
	s_trap 2
	ds_load_b64 v[0:1], v0
	s_wait_dscnt 0x0
	s_and_not1_b32 s29, s29, exec_lo
	v_cmp_ge_u64_e32 vcc_lo, v[0:1], v[78:79]
	s_or_not1_b32 s43, vcc_lo, exec_lo
	s_branch .LBB6_4743
.LBB6_4748:                             ;   in Loop: Header=BB6_49 Depth=1
	s_or_b32 exec_lo, exec_lo, s27
	s_and_saveexec_b32 s27, s28
	s_delay_alu instid0(SALU_CYCLE_1)
	s_xor_b32 s27, exec_lo, s27
	s_cbranch_execz .LBB6_4750
; %bb.4749:                             ;   in Loop: Header=BB6_49 Depth=1
	ds_store_b32 v0, v104
	s_trap 2
.LBB6_4750:                             ;   in Loop: Header=BB6_49 Depth=1
	s_or_b32 exec_lo, exec_lo, s26
	;;#ASMSTART
	s_wakeup
	;;#ASMEND
.LBB6_4751:                             ;   in Loop: Header=BB6_49 Depth=1
	s_or_b32 exec_lo, exec_lo, s25
.LBB6_4752:                             ;   in Loop: Header=BB6_49 Depth=1
	s_and_not1_saveexec_b32 s24, s24
	s_cbranch_execz .LBB6_4754
; %bb.4753:                             ;   in Loop: Header=BB6_49 Depth=1
	global_wb scope:SCOPE_DEV
	s_wait_storecnt 0x0
	s_wait_loadcnt_dscnt 0x0
	global_inv scope:SCOPE_DEV
	s_barrier_signal -1
	s_barrier_wait -1
.LBB6_4754:                             ;   in Loop: Header=BB6_49 Depth=1
	s_or_b32 exec_lo, exec_lo, s24
.LBB6_4755:                             ;   in Loop: Header=BB6_49 Depth=1
	s_delay_alu instid0(SALU_CYCLE_1) | instskip(SKIP_1) | instid1(VALU_DEP_1)
	s_or_b32 exec_lo, exec_lo, s11
	v_and_b32_e32 v0, 16, v59
	v_cmp_ne_u32_e32 vcc_lo, 0, v0
	s_and_b32 s11, vcc_lo, s10
	s_delay_alu instid0(SALU_CYCLE_1)
	s_and_saveexec_b32 s10, s11
	s_cbranch_execz .LBB6_4757
; %bb.4756:                             ;   in Loop: Header=BB6_49 Depth=1
	global_wb scope:SCOPE_SYS
	s_wait_storecnt 0x0
	s_wait_loadcnt_dscnt 0x0
	global_inv scope:SCOPE_SYS
.LBB6_4757:                             ;   in Loop: Header=BB6_49 Depth=1
	s_or_b32 exec_lo, exec_lo, s10
	v_cmp_ne_u32_e32 vcc_lo, 0, v0
	s_xor_b32 s10, s7, -1
	s_delay_alu instid0(SALU_CYCLE_1) | instskip(NEXT) | instid1(SALU_CYCLE_1)
	s_and_b32 s11, vcc_lo, s10
	s_and_saveexec_b32 s10, s11
	s_cbranch_execz .LBB6_4759
; %bb.4758:                             ;   in Loop: Header=BB6_49 Depth=1
	global_wb scope:SCOPE_SYS
	s_wait_storecnt 0x0
	s_wait_loadcnt_dscnt 0x0
	flat_store_b32 v[88:89], v104 scope:SCOPE_SYS
.LBB6_4759:                             ;   in Loop: Header=BB6_49 Depth=1
	s_wait_xcnt 0x0
	s_or_b32 exec_lo, exec_lo, s10
	v_and_b32_e32 v0, 48, v59
	s_mov_b32 s10, exec_lo
	s_delay_alu instid0(VALU_DEP_1)
	v_cmpx_ne_u32_e32 0, v0
	s_cbranch_execz .LBB6_4761
; %bb.4760:                             ;   in Loop: Header=BB6_49 Depth=1
	s_wait_loadcnt 0x3
	v_add_nc_u64_e32 v[62:63], 1, v[62:63]
	global_wb scope:SCOPE_SYS
	s_wait_storecnt 0x0
	s_wait_loadcnt_dscnt 0x0
	flat_store_b64 v[102:103], v[62:63] scope:SCOPE_SYS
.LBB6_4761:                             ;   in Loop: Header=BB6_49 Depth=1
	s_wait_xcnt 0x0
	s_or_b32 exec_lo, exec_lo, s10
	v_mov_b32_e32 v0, v120
.LBB6_4762:                             ;   in Loop: Header=BB6_49 Depth=1
	s_or_b32 exec_lo, exec_lo, s23
	s_and_saveexec_b32 s11, s22
	s_cbranch_execnz .LBB6_4763
; %bb.9804:                             ;   in Loop: Header=BB6_49 Depth=1
	s_add_pc_i64 .LBB6_48-.Lpost_addpc11
.Lpost_addpc11:
.LBB6_4763:                             ;   in Loop: Header=BB6_49 Depth=1
	s_delay_alu instid0(VALU_DEP_1) | instskip(SKIP_1) | instid1(VALU_DEP_1)
	v_dual_sub_nc_u32 v0, v110, v0 :: v_dual_bitop2_b32 v1, 12, v59 bitop3:0x40
	s_mov_b32 s22, exec_lo
	v_min_i32_e32 v6, v120, v0
	s_delay_alu instid0(VALU_DEP_2)
	v_cmpx_ne_u32_e32 0, v1
	s_cbranch_execz .LBB6_4789
; %bb.4764:                             ;   in Loop: Header=BB6_49 Depth=1
	v_dual_mov_b32 v1, v5 :: v_dual_bitop2_b32 v0, 8, v59 bitop3:0x40
	s_wait_loadcnt 0x3
	v_add_nc_u64_e32 v[2:3], 1, v[62:63]
	s_mov_b32 s23, exec_lo
	s_wait_loadcnt 0x0
	v_add_nc_u64_e32 v[8:9], v[76:77], v[0:1]
	s_delay_alu instid0(VALU_DEP_1)
	v_cmpx_lt_u64_e64 v[8:9], v[2:3]
	s_cbranch_execz .LBB6_4776
; %bb.4765:                             ;   in Loop: Header=BB6_49 Depth=1
	v_and_b32_e32 v4, 64, v59
	s_mov_b32 s24, 0
	s_mov_b32 s28, 0
                                        ; implicit-def: $sgpr25
                                        ; implicit-def: $sgpr26
                                        ; implicit-def: $sgpr27
	s_delay_alu instid0(VALU_DEP_1)
	v_cmp_eq_u32_e32 vcc_lo, 0, v4
	s_branch .LBB6_4769
.LBB6_4766:                             ;   in Loop: Header=BB6_4769 Depth=2
	s_wait_loadcnt_dscnt 0x0
	v_add_nc_u64_e32 v[8:9], v[76:77], v[0:1]
	s_or_b32 s41, s41, exec_lo
	s_delay_alu instid0(VALU_DEP_1)
	v_cmp_ge_u64_e64 s10, v[8:9], v[2:3]
	s_or_not1_b32 s40, s10, exec_lo
.LBB6_4767:                             ;   in Loop: Header=BB6_4769 Depth=2
	s_or_b32 exec_lo, exec_lo, s43
	s_delay_alu instid0(SALU_CYCLE_1)
	s_and_not1_b32 s10, s27, exec_lo
	s_and_b32 s27, s41, exec_lo
	s_and_not1_b32 s26, s26, exec_lo
	s_and_b32 s40, s40, exec_lo
	s_or_b32 s27, s10, s27
	s_or_b32 s26, s26, s40
.LBB6_4768:                             ;   in Loop: Header=BB6_4769 Depth=2
	s_or_b32 exec_lo, exec_lo, s29
	s_delay_alu instid0(SALU_CYCLE_1) | instskip(NEXT) | instid1(SALU_CYCLE_1)
	s_and_b32 s10, exec_lo, s26
	s_or_b32 s24, s10, s24
	s_and_not1_b32 s10, s25, exec_lo
	s_and_b32 s25, s27, exec_lo
	s_delay_alu instid0(SALU_CYCLE_1)
	s_or_b32 s25, s10, s25
	s_and_not1_b32 exec_lo, exec_lo, s24
	s_cbranch_execz .LBB6_4773
.LBB6_4769:                             ;   Parent Loop BB6_49 Depth=1
                                        ; =>  This Inner Loop Header: Depth=2
	s_sleep 1
	s_wait_loadcnt_dscnt 0x0
	flat_load_b64 v[76:77], v[102:103] scope:SCOPE_SYS
	s_or_b32 s27, s27, exec_lo
	s_or_b32 s26, s26, exec_lo
                                        ; implicit-def: $vgpr4
	s_wait_xcnt 0x0
	s_and_saveexec_b32 s29, vcc_lo
	s_cbranch_execz .LBB6_4768
; %bb.4770:                             ;   in Loop: Header=BB6_4769 Depth=2
	s_cmp_lt_i32 s28, 0x270f
	s_mov_b32 s40, -1
	s_cselect_b32 s42, -1, 0
	s_cmp_gt_i32 s28, 0x270e
	s_cbranch_scc0 .LBB6_4772
; %bb.4771:                             ;   in Loop: Header=BB6_4769 Depth=2
	s_trap 2
	ds_load_b64 v[8:9], v0
	s_and_not1_b32 s28, s42, exec_lo
	s_mov_b32 s41, 0
	s_wait_storecnt 0x0
	s_wait_loadcnt_dscnt 0x0
	flat_load_b32 v4, v[8:9] scope:SCOPE_SYS
	s_wait_loadcnt_dscnt 0x0
	global_inv scope:SCOPE_SYS
	v_cmp_eq_u32_e64 s10, 0, v4
	s_and_b32 s10, s10, exec_lo
	s_delay_alu instid0(SALU_CYCLE_1)
	s_or_b32 s42, s28, s10
	s_mov_b32 s28, 0
	s_and_saveexec_b32 s43, s42
	s_cbranch_execz .LBB6_4767
	s_branch .LBB6_4766
.LBB6_4772:                             ;   in Loop: Header=BB6_4769 Depth=2
	s_add_co_i32 s28, s28, 1
	s_mov_b32 s41, -1
                                        ; implicit-def: $vgpr4
	s_and_saveexec_b32 s43, s42
	s_cbranch_execz .LBB6_4767
	s_branch .LBB6_4766
.LBB6_4773:                             ;   in Loop: Header=BB6_49 Depth=1
	s_or_b32 exec_lo, exec_lo, s24
	s_xor_b32 s10, s25, -1
	s_delay_alu instid0(SALU_CYCLE_1) | instskip(NEXT) | instid1(SALU_CYCLE_1)
	s_and_saveexec_b32 s24, s10
	s_xor_b32 s10, exec_lo, s24
	s_cbranch_execz .LBB6_4775
; %bb.4774:                             ;   in Loop: Header=BB6_49 Depth=1
	v_or_b32_e32 v59, 64, v59
	s_wait_storecnt 0x0
	s_wait_loadcnt_dscnt 0x0
	ds_store_b32 v0, v4
	s_trap 2
.LBB6_4775:                             ;   in Loop: Header=BB6_49 Depth=1
	s_or_b32 exec_lo, exec_lo, s10
.LBB6_4776:                             ;   in Loop: Header=BB6_49 Depth=1
	s_delay_alu instid0(SALU_CYCLE_1) | instskip(SKIP_4) | instid1(VALU_DEP_2)
	s_or_b32 exec_lo, exec_lo, s23
	v_and_b32_e32 v1, 0x108, v59
	v_and_b32_e32 v8, 7, v62
	s_mov_b32 s10, exec_lo
	;;#ASMSTART
	s_wakeup
	;;#ASMEND
	v_cmpx_ne_u32_e32 0x108, v1
	s_xor_b32 s10, exec_lo, s10
; %bb.4777:                             ;   in Loop: Header=BB6_49 Depth=1
	v_mov_b32_e32 v9, v5
; %bb.4778:                             ;   in Loop: Header=BB6_49 Depth=1
	s_and_not1_saveexec_b32 s10, s10
	s_cbranch_execz .LBB6_4780
; %bb.4779:                             ;   in Loop: Header=BB6_49 Depth=1
	v_mad_nc_u64_u32 v[10:11], v8, 24, v[60:61]
	v_dual_ashrrev_i32 v7, 31, v6 :: v_dual_mov_b32 v9, v5
	flat_store_b64 v[10:11], v[6:7] offset:8
.LBB6_4780:                             ;   in Loop: Header=BB6_49 Depth=1
	s_wait_xcnt 0x0
	s_or_b32 exec_lo, exec_lo, s10
	v_and_b32_e32 v1, 0x100, v59
	s_mov_b32 s10, -1
	s_mov_b32 s23, exec_lo
                                        ; implicit-def: $vgpr10_vgpr11
	s_delay_alu instid0(VALU_DEP_1)
	v_cmpx_ne_u32_e32 0, v1
	s_cbranch_execz .LBB6_4784
; %bb.4781:                             ;   in Loop: Header=BB6_49 Depth=1
	v_mad_nc_u64_u32 v[12:13], v8, 24, v[60:61]
	s_mov_b32 s24, exec_lo
                                        ; implicit-def: $vgpr10_vgpr11
	s_delay_alu instid0(VALU_DEP_1)
	v_mad_u32 v13, v9, 24, v13
	flat_load_b32 v1, v[12:13]
	s_wait_loadcnt_dscnt 0x0
	v_cmp_ne_u32_e32 vcc_lo, 1, v1
	s_wait_xcnt 0x0
	v_cmpx_eq_u32_e32 1, v1
	s_cbranch_execz .LBB6_4783
; %bb.4782:                             ;   in Loop: Header=BB6_49 Depth=1
	flat_load_b32 v10, v[12:13] offset:4 scope:SCOPE_SYS
	s_wait_loadcnt_dscnt 0x0
	v_ashrrev_i32_e32 v11, 31, v10
.LBB6_4783:                             ;   in Loop: Header=BB6_49 Depth=1
	s_wait_xcnt 0x0
	s_or_b32 exec_lo, exec_lo, s24
	s_delay_alu instid0(SALU_CYCLE_1)
	s_or_not1_b32 s10, vcc_lo, exec_lo
.LBB6_4784:                             ;   in Loop: Header=BB6_49 Depth=1
	s_or_b32 exec_lo, exec_lo, s23
	s_and_saveexec_b32 s23, s10
; %bb.4785:                             ;   in Loop: Header=BB6_49 Depth=1
	v_mul_u64_e32 v[10:11], v[8:9], v[116:117]
; %bb.4786:                             ;   in Loop: Header=BB6_49 Depth=1
	s_or_b32 exec_lo, exec_lo, s23
	v_cmp_eq_u32_e32 vcc_lo, 0, v0
	s_delay_alu instid0(VALU_DEP_2) | instskip(SKIP_3) | instid1(VALU_DEP_1)
	v_add_nc_u64_e32 v[0:1], v[46:47], v[10:11]
	v_and_b32_e32 v7, 0x2000, v59
	s_mov_b32 s10, exec_lo
	v_cndmask_b32_e32 v4, 0xc8, v105, vcc_lo
	v_add_nc_u32_e32 v4, v0, v4
	ds_store_b64 v4, v[0:1] offset:584
	v_cmpx_ne_u32_e32 0, v7
	s_cbranch_execz .LBB6_4788
; %bb.4787:                             ;   in Loop: Header=BB6_49 Depth=1
	ds_load_b64 v[0:1], v0 offset:872
	s_wait_dscnt 0x0
	v_add_nc_u64_e32 v[0:1], 1, v[0:1]
	ds_store_b64 v0, v[0:1] offset:872
.LBB6_4788:                             ;   in Loop: Header=BB6_49 Depth=1
	s_or_b32 exec_lo, exec_lo, s10
	v_mov_b64_e32 v[62:63], v[2:3]
.LBB6_4789:                             ;   in Loop: Header=BB6_49 Depth=1
	s_or_b32 exec_lo, exec_lo, s22
	s_and_saveexec_b32 s10, s2
	s_cbranch_execz .LBB6_4808
; %bb.4790:                             ;   in Loop: Header=BB6_49 Depth=1
	s_and_saveexec_b32 s22, s3
	s_delay_alu instid0(SALU_CYCLE_1)
	s_xor_b32 s22, exec_lo, s22
	s_cbranch_execz .LBB6_4805
; %bb.4791:                             ;   in Loop: Header=BB6_49 Depth=1
	s_and_saveexec_b32 s23, s4
	s_cbranch_execz .LBB6_4804
; %bb.4792:                             ;   in Loop: Header=BB6_49 Depth=1
	s_mov_b32 s25, exec_lo
	s_mov_b32 s24, exec_lo
	v_mbcnt_lo_u32_b32 v0, s25, 0
	global_wb scope:SCOPE_DEV
	s_wait_storecnt 0x0
	s_wait_loadcnt_dscnt 0x0
	global_inv scope:SCOPE_DEV
	v_cmpx_eq_u32_e32 0, v0
	s_cbranch_execz .LBB6_4794
; %bb.4793:                             ;   in Loop: Header=BB6_49 Depth=1
	s_bcnt1_i32_b32 s25, s25
	s_delay_alu instid0(SALU_CYCLE_1)
	v_dual_mov_b32 v1, v5 :: v_dual_mov_b32 v0, s25
	s_wait_loadcnt 0x0
	ds_add_u64 v0, v[0:1]
	s_trap 2
.LBB6_4794:                             ;   in Loop: Header=BB6_49 Depth=1
	s_or_b32 exec_lo, exec_lo, s24
	s_trap 2
	ds_load_b64 v[0:1], v0
	s_wait_dscnt 0x0
	scratch_load_b64 v[2:3], off, s33 offset:236 ; 8-byte Folded Reload
	s_mov_b32 s24, exec_lo
	s_wait_loadcnt 0x0
	v_add_nc_u64_e32 v[78:79], v[78:79], v[2:3]
	s_delay_alu instid0(VALU_DEP_1)
	v_cmpx_lt_u64_e64 v[0:1], v[78:79]
	s_cbranch_execz .LBB6_4803
; %bb.4795:                             ;   in Loop: Header=BB6_49 Depth=1
	s_mov_b32 s25, 0
	s_mov_b32 s28, 0
                                        ; implicit-def: $sgpr26
                                        ; implicit-def: $sgpr27
	s_branch .LBB6_4797
.LBB6_4796:                             ;   in Loop: Header=BB6_4797 Depth=2
	s_or_b32 exec_lo, exec_lo, s40
	s_delay_alu instid0(SALU_CYCLE_1) | instskip(NEXT) | instid1(SALU_CYCLE_1)
	s_and_b32 s29, exec_lo, s41
	s_or_b32 s25, s29, s25
	s_and_not1_b32 s26, s26, exec_lo
	s_and_b32 s29, s27, exec_lo
	s_delay_alu instid0(SALU_CYCLE_1)
	s_or_b32 s26, s26, s29
	s_and_not1_b32 exec_lo, exec_lo, s25
	s_cbranch_execz .LBB6_4801
.LBB6_4797:                             ;   Parent Loop BB6_49 Depth=1
                                        ; =>  This Inner Loop Header: Depth=2
	s_add_co_i32 s28, s28, 1
	s_delay_alu instid0(SALU_CYCLE_1) | instskip(SKIP_1) | instid1(SALU_CYCLE_1)
	s_cmp_lg_u32 s28, 0x2710
	s_cselect_b32 s29, -1, 0
	s_and_b32 vcc_lo, exec_lo, s29
	s_cbranch_vccz .LBB6_4799
; %bb.4798:                             ;   in Loop: Header=BB6_4797 Depth=2
	s_mov_b32 s41, -1
	s_or_b32 s27, s27, exec_lo
	s_and_saveexec_b32 s40, s29
	s_cbranch_execz .LBB6_4796
	s_branch .LBB6_4800
.LBB6_4799:                             ;   in Loop: Header=BB6_4797 Depth=2
	s_trap 2
	ds_load_b64 v[0:1], v0
	s_and_not1_b32 s29, s29, exec_lo
	s_mov_b32 s28, 0
	s_wait_dscnt 0x0
	flat_load_b32 v0, v[0:1] scope:SCOPE_SYS
	s_wait_loadcnt_dscnt 0x0
	global_inv scope:SCOPE_SYS
	v_cmp_eq_u32_e32 vcc_lo, 0, v0
	s_and_b32 s40, vcc_lo, exec_lo
	s_delay_alu instid0(SALU_CYCLE_1)
	s_or_b32 s29, s29, s40
	s_mov_b32 s41, -1
	s_or_b32 s27, s27, exec_lo
	s_wait_xcnt 0x0
	s_and_saveexec_b32 s40, s29
	s_cbranch_execz .LBB6_4796
.LBB6_4800:                             ;   in Loop: Header=BB6_4797 Depth=2
	s_sleep 1
	s_trap 2
	ds_load_b64 v[0:1], v0
	s_wait_dscnt 0x0
	s_and_not1_b32 s27, s27, exec_lo
	v_cmp_ge_u64_e32 vcc_lo, v[0:1], v[78:79]
	s_or_not1_b32 s41, vcc_lo, exec_lo
	s_branch .LBB6_4796
.LBB6_4801:                             ;   in Loop: Header=BB6_49 Depth=1
	s_or_b32 exec_lo, exec_lo, s25
	s_and_saveexec_b32 s25, s26
	s_delay_alu instid0(SALU_CYCLE_1)
	s_xor_b32 s25, exec_lo, s25
	s_cbranch_execz .LBB6_4803
; %bb.4802:                             ;   in Loop: Header=BB6_49 Depth=1
	ds_store_b32 v0, v104
	s_trap 2
.LBB6_4803:                             ;   in Loop: Header=BB6_49 Depth=1
	s_or_b32 exec_lo, exec_lo, s24
	;;#ASMSTART
	s_wakeup
	;;#ASMEND
.LBB6_4804:                             ;   in Loop: Header=BB6_49 Depth=1
	s_or_b32 exec_lo, exec_lo, s23
.LBB6_4805:                             ;   in Loop: Header=BB6_49 Depth=1
	s_and_not1_saveexec_b32 s22, s22
	s_cbranch_execz .LBB6_4807
; %bb.4806:                             ;   in Loop: Header=BB6_49 Depth=1
	global_wb scope:SCOPE_DEV
	s_wait_storecnt 0x0
	s_wait_loadcnt_dscnt 0x0
	global_inv scope:SCOPE_DEV
	s_barrier_signal -1
	s_barrier_wait -1
.LBB6_4807:                             ;   in Loop: Header=BB6_49 Depth=1
	s_or_b32 exec_lo, exec_lo, s22
.LBB6_4808:                             ;   in Loop: Header=BB6_49 Depth=1
	s_delay_alu instid0(SALU_CYCLE_1)
	s_or_b32 exec_lo, exec_lo, s10
	s_trap 2
	ds_load_b32 v0, v0
	v_cmp_lt_i32_e32 vcc_lo, 0, v6
	s_wait_dscnt 0x0
	v_readfirstlane_b32 s10, v0
	v_and_b32_e32 v0, 16, v59
	s_cmp_eq_u32 s10, 0
	s_delay_alu instid0(VALU_DEP_1) | instskip(SKIP_1) | instid1(SALU_CYCLE_1)
	v_cmp_ne_u32_e64 s10, 0, v0
	s_cselect_b32 s22, -1, 0
	s_and_b32 s22, vcc_lo, s22
	s_delay_alu instid0(SALU_CYCLE_1) | instskip(NEXT) | instid1(SALU_CYCLE_1)
	s_and_b32 s22, s10, s22
	s_and_saveexec_b32 s10, s22
	s_cbranch_execz .LBB6_4810
; %bb.4809:                             ;   in Loop: Header=BB6_49 Depth=1
	global_wb scope:SCOPE_SYS
	s_wait_loadcnt 0x0
	s_wait_storecnt 0x0
	global_inv scope:SCOPE_SYS
.LBB6_4810:                             ;   in Loop: Header=BB6_49 Depth=1
	s_or_b32 exec_lo, exec_lo, s10
	v_cmp_ne_u32_e32 vcc_lo, 0, v0
	s_xor_b32 s10, s7, -1
	s_delay_alu instid0(SALU_CYCLE_1) | instskip(NEXT) | instid1(SALU_CYCLE_1)
	s_and_b32 s22, vcc_lo, s10
	s_and_saveexec_b32 s10, s22
	s_cbranch_execz .LBB6_4812
; %bb.4811:                             ;   in Loop: Header=BB6_49 Depth=1
	global_wb scope:SCOPE_SYS
	s_wait_loadcnt 0x0
	s_wait_storecnt 0x0
	flat_store_b32 v[88:89], v104 scope:SCOPE_SYS
.LBB6_4812:                             ;   in Loop: Header=BB6_49 Depth=1
	s_wait_xcnt 0x0
	s_or_b32 exec_lo, exec_lo, s10
	v_and_b32_e32 v0, 48, v59
	s_mov_b32 s10, exec_lo
	s_delay_alu instid0(VALU_DEP_1)
	v_cmpx_ne_u32_e32 0, v0
	s_cbranch_execnz .LBB6_4813
; %bb.9806:                             ;   in Loop: Header=BB6_49 Depth=1
	s_add_pc_i64 .LBB6_47-.Lpost_addpc12
.Lpost_addpc12:
.LBB6_4813:                             ;   in Loop: Header=BB6_49 Depth=1
	s_wait_loadcnt 0x3
	v_add_nc_u64_e32 v[62:63], 1, v[62:63]
	global_wb scope:SCOPE_SYS
	s_wait_storecnt 0x0
	s_wait_loadcnt_dscnt 0x0
	flat_store_b64 v[102:103], v[62:63] scope:SCOPE_SYS
; %bb.9788:                             ;   in Loop: Header=BB6_49 Depth=1
	s_add_pc_i64 .LBB6_47-.Lpost_addpc3
.Lpost_addpc3:
.LBB6_4814:
	s_or_b32 exec_lo, exec_lo, s19
.LBB6_4815:
	s_delay_alu instid0(SALU_CYCLE_1)
	s_or_b32 exec_lo, exec_lo, s18
                                        ; implicit-def: $vgpr100_vgpr101
                                        ; implicit-def: $vgpr112_vgpr113
                                        ; implicit-def: $vgpr116
                                        ; implicit-def: $vgpr76_vgpr77
                                        ; implicit-def: $vgpr46_vgpr47
                                        ; implicit-def: $vgpr102_vgpr103
                                        ; implicit-def: $vgpr58
                                        ; implicit-def: $vgpr14
                                        ; implicit-def: $vgpr114_vgpr115
.LBB6_4816:
	s_and_not1_saveexec_b32 s11, s17
	s_cbranch_execnz .LBB6_4817
; %bb.9808:
	s_add_pc_i64 .LBB6_9574-.Lpost_addpc13
.Lpost_addpc13:
.LBB6_4817:
	v_mov_b64_e32 v[78:79], 0
	s_mov_b32 s17, exec_lo
	v_cmpx_ne_u64_e32 0, v[112:113]
	s_cbranch_execnz .LBB6_4818
; %bb.9810:
	s_add_pc_i64 .LBB6_9573-.Lpost_addpc14
.Lpost_addpc14:
.LBB6_4818:
	s_wait_dscnt 0x1
	v_dual_ashrrev_i32 v0, 31, v58 :: v_dual_ashrrev_i32 v117, 31, v116
	s_ashr_i32 s4, s15, 31
	v_cmp_eq_u32_e32 vcc_lo, 32, v56
	s_lshr_b32 s4, s4, 24
	s_delay_alu instid0(VALU_DEP_2) | instskip(SKIP_3) | instid1(VALU_DEP_3)
	v_dual_lshrrev_b32 v0, 27, v0 :: v_dual_bitop2_b32 v1, 31, v57 bitop3:0x40
	s_add_co_i32 s7, s15, s4
	v_mov_b64_e32 v[94:95], 0
	v_mov_b64_e32 v[78:79], 0
	v_dual_mov_b32 v5, 0 :: v_dual_add_nc_u32 v0, v58, v0
	v_lshrrev_b32_e32 v6, 5, v56
	v_cmp_eq_u32_e64 s4, 0, v1
	v_cmp_ge_i32_e64 s1, v58, v56
	s_delay_alu instid0(VALU_DEP_4) | instskip(SKIP_4) | instid1(VALU_DEP_3)
	v_and_b32_e32 v2, 0xffffffe0, v0
	s_wait_dscnt 0x0
	v_dual_ashrrev_i32 v75, 5, v0 :: v_dual_mov_b32 v7, v5
	v_mov_b32_e32 v93, v5
	v_cmp_ne_u32_e64 s2, 32, v56
	v_dual_sub_nc_u32 v1, v58, v2 :: v_dual_lshlrev_b32 v0, 11, v75
	v_dual_lshlrev_b32 v90, 11, v6 :: v_dual_lshlrev_b32 v2, 10, v6
	v_cmp_ne_u32_e64 s3, v56, v74
	s_delay_alu instid0(VALU_DEP_3) | instskip(NEXT) | instid1(VALU_DEP_4)
	v_cmp_le_i32_e64 s5, v1, v14
	v_lshl_add_u32 v0, v1, 4, v0
	v_mov_b32_e32 v3, v5
	s_clause 0x1
	scratch_store_b64 off, v[6:7], s33 offset:236
	scratch_store_b32 off, v1, s33 offset:452
	v_cmp_gt_i32_e64 s6, 1, v1
	s_wait_xcnt 0x0
	v_ashrrev_i32_e32 v1, 31, v0
	scratch_store_b64 off, v[2:3], s33 offset:244 ; 8-byte Folded Spill
	v_and_b32_e32 v88, 0x1fe0, v56
	v_dual_mov_b32 v91, v5 :: v_dual_lshlrev_b32 v92, 9, v6
	scratch_store_b64 off, v[0:1], s33 offset:460 ; 8-byte Folded Spill
	s_wait_xcnt 0x0
	v_mov_b64_e32 v[0:1], v[112:113]
	v_dual_mov_b32 v89, v5 :: v_dual_mov_b32 v104, 0x7c
	v_mov_b32_e32 v105, 0x7f800000
	s_mov_b64 s[12:13], 0xffffffffffffff
	s_ashr_i32 s19, s7, 8
	s_mov_b32 s18, 0
	s_xor_b32 s20, vcc_lo, -1
	s_trap 2
	s_clause 0xe
	scratch_store_b64 off, v[100:101], s33 offset:308
	scratch_store_b128 off, v[0:3], s33 offset:284
	scratch_store_b64 off, v[102:103], s33 offset:316
	scratch_store_b64 off, v[116:117], s33 offset:324
	;; [unrolled: 1-line block ×4, first 2 shown]
	scratch_store_b32 off, v56, s33 offset:348
	scratch_store_b32 off, v57, s33 offset:352
	;; [unrolled: 1-line block ×3, first 2 shown]
	scratch_store_b64 off, v[72:73], s33 offset:356
	scratch_store_b32 off, v74, s33 offset:364
	scratch_store_b64 off, v[88:89], s33 offset:420
	scratch_store_b32 off, v75, s33 offset:428
	scratch_store_b64 off, v[90:91], s33 offset:436
	scratch_store_b64 off, v[92:93], s33 offset:444
	s_branch .LBB6_4821
.LBB6_4819:                             ;   in Loop: Header=BB6_4821 Depth=1
	s_wait_xcnt 0x0
	s_or_b32 exec_lo, exec_lo, s7
.LBB6_4820:                             ;   in Loop: Header=BB6_4821 Depth=1
	s_delay_alu instid0(SALU_CYCLE_1) | instskip(SKIP_2) | instid1(VALU_DEP_1)
	s_or_b32 exec_lo, exec_lo, s10
	s_wait_loadcnt 0x0
	v_add_nc_u64_e32 v[94:95], v[94:95], v[114:115]
	v_cmp_ge_u64_e32 vcc_lo, v[94:95], v[112:113]
	s_or_b32 s18, vcc_lo, s18
	s_delay_alu instid0(SALU_CYCLE_1)
	s_and_not1_b32 exec_lo, exec_lo, s18
	s_cbranch_execnz .LBB6_4821
; %bb.9812:
	s_add_pc_i64 .LBB6_9572-.Lpost_addpc15
.Lpost_addpc15:
.LBB6_4821:                             ; =>This Loop Header: Depth=1
                                        ;     Child Loop BB6_4830 Depth 2
                                        ;     Child Loop BB6_4854 Depth 2
	;; [unrolled: 1-line block ×10, first 2 shown]
	s_wait_xcnt 0xd
	v_sub_nc_u64_e32 v[0:1], v[112:113], v[94:95]
	v_mov_b32_e32 v4, v5
	s_delay_alu instid0(VALU_DEP_2) | instskip(NEXT) | instid1(VALU_DEP_1)
	v_min_u64 v[106:107], v[114:115], v[0:1]
	v_add_nc_u32_e32 v0, 15, v106
	s_delay_alu instid0(VALU_DEP_2) | instskip(NEXT) | instid1(VALU_DEP_2)
	v_cmp_eq_u64_e32 vcc_lo, 0, v[106:107]
	v_and_b32_e32 v0, 0x7ffffff0, v0
	s_or_b32 s21, s1, vcc_lo
	s_delay_alu instid0(SALU_CYCLE_1) | instskip(NEXT) | instid1(VALU_DEP_1)
	s_xor_b32 s7, s21, -1
	v_max_i32_e32 v107, s19, v0
	s_wait_xcnt 0x0
	s_and_saveexec_b32 s22, s7
	s_cbranch_execnz .LBB6_4822
; %bb.9814:                             ;   in Loop: Header=BB6_4821 Depth=1
	s_add_pc_i64 .LBB6_9526-.Lpost_addpc16
.Lpost_addpc16:
.LBB6_4822:                             ;   in Loop: Header=BB6_4821 Depth=1
	s_and_saveexec_b32 s7, s0
	s_cbranch_execz .LBB6_4824
; %bb.4823:                             ;   in Loop: Header=BB6_4821 Depth=1
	s_trap 2
	ds_load_b64 v[6:7], v0
	ds_load_2addr_b64 v[0:3], v0 offset1:1
	v_add_nc_u64_e32 v[8:9], v[94:95], v[100:101]
	s_wait_dscnt 0x1
	s_delay_alu instid0(VALU_DEP_1) | instskip(SKIP_4) | instid1(VALU_DEP_4)
	v_add_nc_u64_e32 v[10:11], v[6:7], v[8:9]
	v_cmp_ne_u64_e32 vcc_lo, 0, v[6:7]
	s_wait_dscnt 0x0
	v_add_nc_u64_e32 v[0:1], v[0:1], v[8:9]
	v_add_nc_u64_e32 v[2:3], v[2:3], v[8:9]
	v_dual_cndmask_b32 v7, 0, v11 :: v_dual_cndmask_b32 v6, 0, v10
	ds_store_b64 v0, v[0:1]
	ds_store_b64 v0, v[2:3]
	;; [unrolled: 1-line block ×3, first 2 shown]
.LBB6_4824:                             ;   in Loop: Header=BB6_4821 Depth=1
	s_or_b32 exec_lo, exec_lo, s7
	v_and_b32_e32 v0, 4, v59
	s_mov_b32 s10, exec_lo
	s_delay_alu instid0(VALU_DEP_1)
	v_cmpx_ne_u32_e32 0, v0
	s_cbranch_execz .LBB6_4846
; %bb.4825:                             ;   in Loop: Header=BB6_4821 Depth=1
	v_add_nc_u64_e32 v[2:3], 1, v[62:63]
	s_mov_b32 s23, exec_lo
	s_delay_alu instid0(VALU_DEP_1)
	v_cmpx_lt_u64_e64 v[76:77], v[2:3]
	s_cbranch_execz .LBB6_4837
; %bb.4826:                             ;   in Loop: Header=BB6_4821 Depth=1
	v_and_b32_e32 v0, 64, v59
	s_mov_b32 s24, 0
	s_mov_b32 s28, 0
                                        ; implicit-def: $sgpr25
                                        ; implicit-def: $sgpr26
                                        ; implicit-def: $sgpr27
	s_delay_alu instid0(VALU_DEP_1)
	v_cmp_eq_u32_e32 vcc_lo, 0, v0
	s_branch .LBB6_4830
.LBB6_4827:                             ;   in Loop: Header=BB6_4830 Depth=2
	s_wait_loadcnt_dscnt 0x0
	v_cmp_ge_u64_e64 s7, v[76:77], v[2:3]
	s_or_b32 s41, s41, exec_lo
	s_or_not1_b32 s40, s7, exec_lo
.LBB6_4828:                             ;   in Loop: Header=BB6_4830 Depth=2
	s_or_b32 exec_lo, exec_lo, s43
	s_delay_alu instid0(SALU_CYCLE_1)
	s_and_not1_b32 s7, s27, exec_lo
	s_and_b32 s27, s41, exec_lo
	s_and_not1_b32 s26, s26, exec_lo
	s_and_b32 s40, s40, exec_lo
	s_or_b32 s27, s7, s27
	s_or_b32 s26, s26, s40
.LBB6_4829:                             ;   in Loop: Header=BB6_4830 Depth=2
	s_or_b32 exec_lo, exec_lo, s29
	s_delay_alu instid0(SALU_CYCLE_1) | instskip(NEXT) | instid1(SALU_CYCLE_1)
	s_and_b32 s7, exec_lo, s26
	s_or_b32 s24, s7, s24
	s_and_not1_b32 s7, s25, exec_lo
	s_and_b32 s25, s27, exec_lo
	s_delay_alu instid0(SALU_CYCLE_1)
	s_or_b32 s25, s7, s25
	s_and_not1_b32 exec_lo, exec_lo, s24
	s_cbranch_execz .LBB6_4834
.LBB6_4830:                             ;   Parent Loop BB6_4821 Depth=1
                                        ; =>  This Inner Loop Header: Depth=2
	s_sleep 1
	s_wait_loadcnt_dscnt 0x0
	flat_load_b64 v[76:77], v[102:103] scope:SCOPE_SYS
	s_or_b32 s27, s27, exec_lo
	s_or_b32 s26, s26, exec_lo
                                        ; implicit-def: $vgpr0
	s_wait_xcnt 0x0
	s_and_saveexec_b32 s29, vcc_lo
	s_cbranch_execz .LBB6_4829
; %bb.4831:                             ;   in Loop: Header=BB6_4830 Depth=2
	s_cmp_lt_i32 s28, 0x270f
	s_mov_b32 s40, -1
	s_cselect_b32 s42, -1, 0
	s_cmp_gt_i32 s28, 0x270e
	s_cbranch_scc0 .LBB6_4833
; %bb.4832:                             ;   in Loop: Header=BB6_4830 Depth=2
	s_trap 2
	ds_load_b64 v[0:1], v0
	s_and_not1_b32 s28, s42, exec_lo
	s_mov_b32 s41, 0
	s_wait_storecnt 0x0
	s_wait_loadcnt_dscnt 0x0
	flat_load_b32 v0, v[0:1] scope:SCOPE_SYS
	s_wait_loadcnt_dscnt 0x0
	global_inv scope:SCOPE_SYS
	v_cmp_eq_u32_e64 s7, 0, v0
	s_and_b32 s7, s7, exec_lo
	s_delay_alu instid0(SALU_CYCLE_1)
	s_or_b32 s42, s28, s7
	s_mov_b32 s28, 0
	s_wait_xcnt 0x0
	s_and_saveexec_b32 s43, s42
	s_cbranch_execz .LBB6_4828
	s_branch .LBB6_4827
.LBB6_4833:                             ;   in Loop: Header=BB6_4830 Depth=2
	s_add_co_i32 s28, s28, 1
	s_mov_b32 s41, -1
                                        ; implicit-def: $vgpr0
	s_and_saveexec_b32 s43, s42
	s_cbranch_execz .LBB6_4828
	s_branch .LBB6_4827
.LBB6_4834:                             ;   in Loop: Header=BB6_4821 Depth=1
	s_or_b32 exec_lo, exec_lo, s24
	s_xor_b32 s7, s25, -1
	s_delay_alu instid0(SALU_CYCLE_1) | instskip(NEXT) | instid1(SALU_CYCLE_1)
	s_and_saveexec_b32 s24, s7
	s_xor_b32 s7, exec_lo, s24
	s_cbranch_execz .LBB6_4836
; %bb.4835:                             ;   in Loop: Header=BB6_4821 Depth=1
	v_or_b32_e32 v59, 64, v59
	s_wait_storecnt 0x0
	s_wait_loadcnt_dscnt 0x0
	ds_store_b32 v0, v0
	s_trap 2
.LBB6_4836:                             ;   in Loop: Header=BB6_4821 Depth=1
	s_or_b32 exec_lo, exec_lo, s7
.LBB6_4837:                             ;   in Loop: Header=BB6_4821 Depth=1
	s_delay_alu instid0(SALU_CYCLE_1) | instskip(SKIP_4) | instid1(VALU_DEP_2)
	s_or_b32 exec_lo, exec_lo, s23
	v_and_b32_e32 v1, 0x100, v59
	v_and_b32_e32 v0, 7, v62
	s_mov_b32 s7, -1
	;;#ASMSTART
	s_wakeup
	;;#ASMEND
                                        ; implicit-def: $vgpr6_vgpr7
	v_cmp_ne_u32_e32 vcc_lo, 0, v1
	v_mov_b32_e32 v1, v5
	s_and_saveexec_b32 s23, vcc_lo
	s_cbranch_execz .LBB6_4841
; %bb.4838:                             ;   in Loop: Header=BB6_4821 Depth=1
	v_mad_nc_u64_u32 v[8:9], v0, 24, v[60:61]
	s_mov_b32 s24, exec_lo
                                        ; implicit-def: $vgpr6_vgpr7
	flat_load_b32 v4, v[8:9]
	s_wait_loadcnt_dscnt 0x0
	v_cmp_ne_u32_e32 vcc_lo, 1, v4
	s_wait_xcnt 0x0
	v_cmpx_eq_u32_e32 1, v4
	s_cbranch_execz .LBB6_4840
; %bb.4839:                             ;   in Loop: Header=BB6_4821 Depth=1
	flat_load_b32 v6, v[8:9] offset:4 scope:SCOPE_SYS
	s_wait_loadcnt_dscnt 0x0
	v_ashrrev_i32_e32 v7, 31, v6
.LBB6_4840:                             ;   in Loop: Header=BB6_4821 Depth=1
	s_wait_xcnt 0x0
	s_or_b32 exec_lo, exec_lo, s24
	s_delay_alu instid0(SALU_CYCLE_1)
	s_or_not1_b32 s7, vcc_lo, exec_lo
.LBB6_4841:                             ;   in Loop: Header=BB6_4821 Depth=1
	s_or_b32 exec_lo, exec_lo, s23
	s_and_saveexec_b32 s23, s7
; %bb.4842:                             ;   in Loop: Header=BB6_4821 Depth=1
	v_mul_u64_e32 v[6:7], v[0:1], v[116:117]
; %bb.4843:                             ;   in Loop: Header=BB6_4821 Depth=1
	s_or_b32 exec_lo, exec_lo, s23
	s_delay_alu instid0(VALU_DEP_1)
	v_add_nc_u64_e32 v[0:1], v[46:47], v[6:7]
	v_and_b32_e32 v4, 0x2000, v59
	s_mov_b32 s7, exec_lo
	ds_store_b64 v0, v[0:1] offset:728
	v_cmpx_ne_u32_e32 0, v4
	s_cbranch_execz .LBB6_4845
; %bb.4844:                             ;   in Loop: Header=BB6_4821 Depth=1
	ds_load_b64 v[0:1], v0 offset:872
	s_wait_dscnt 0x0
	v_add_nc_u64_e32 v[0:1], 1, v[0:1]
	ds_store_b64 v0, v[0:1] offset:872
.LBB6_4845:                             ;   in Loop: Header=BB6_4821 Depth=1
	s_or_b32 exec_lo, exec_lo, s7
	v_mov_b64_e32 v[62:63], v[2:3]
.LBB6_4846:                             ;   in Loop: Header=BB6_4821 Depth=1
	s_or_b32 exec_lo, exec_lo, s10
	s_and_saveexec_b32 s7, s2
	s_cbranch_execz .LBB6_4865
; %bb.4847:                             ;   in Loop: Header=BB6_4821 Depth=1
	s_and_saveexec_b32 s10, s3
	s_delay_alu instid0(SALU_CYCLE_1)
	s_xor_b32 s10, exec_lo, s10
	s_cbranch_execz .LBB6_4862
; %bb.4848:                             ;   in Loop: Header=BB6_4821 Depth=1
	s_and_saveexec_b32 s23, s4
	s_cbranch_execz .LBB6_4861
; %bb.4849:                             ;   in Loop: Header=BB6_4821 Depth=1
	s_mov_b32 s25, exec_lo
	s_mov_b32 s24, exec_lo
	v_mbcnt_lo_u32_b32 v0, s25, 0
	global_wb scope:SCOPE_DEV
	s_wait_storecnt 0x0
	s_wait_loadcnt_dscnt 0x0
	global_inv scope:SCOPE_DEV
	v_cmpx_eq_u32_e32 0, v0
	s_cbranch_execz .LBB6_4851
; %bb.4850:                             ;   in Loop: Header=BB6_4821 Depth=1
	s_bcnt1_i32_b32 s25, s25
	s_delay_alu instid0(SALU_CYCLE_1)
	v_dual_mov_b32 v1, v5 :: v_dual_mov_b32 v0, s25
	s_wait_loadcnt 0x0
	ds_add_u64 v0, v[0:1]
	s_trap 2
.LBB6_4851:                             ;   in Loop: Header=BB6_4821 Depth=1
	s_or_b32 exec_lo, exec_lo, s24
	s_trap 2
	ds_load_b64 v[0:1], v0
	s_wait_dscnt 0x0
	scratch_load_b64 v[2:3], off, s33 offset:236 ; 8-byte Folded Reload
	s_mov_b32 s24, exec_lo
	s_wait_loadcnt 0x0
	v_add_nc_u64_e32 v[78:79], v[78:79], v[2:3]
	s_wait_xcnt 0x0
	s_delay_alu instid0(VALU_DEP_1)
	v_cmpx_lt_u64_e64 v[0:1], v[78:79]
	s_cbranch_execz .LBB6_4860
; %bb.4852:                             ;   in Loop: Header=BB6_4821 Depth=1
	s_mov_b32 s25, 0
	s_mov_b32 s28, 0
                                        ; implicit-def: $sgpr26
                                        ; implicit-def: $sgpr27
	s_branch .LBB6_4854
.LBB6_4853:                             ;   in Loop: Header=BB6_4854 Depth=2
	s_or_b32 exec_lo, exec_lo, s40
	s_delay_alu instid0(SALU_CYCLE_1) | instskip(NEXT) | instid1(SALU_CYCLE_1)
	s_and_b32 s29, exec_lo, s41
	s_or_b32 s25, s29, s25
	s_and_not1_b32 s26, s26, exec_lo
	s_and_b32 s29, s27, exec_lo
	s_delay_alu instid0(SALU_CYCLE_1)
	s_or_b32 s26, s26, s29
	s_and_not1_b32 exec_lo, exec_lo, s25
	s_cbranch_execz .LBB6_4858
.LBB6_4854:                             ;   Parent Loop BB6_4821 Depth=1
                                        ; =>  This Inner Loop Header: Depth=2
	s_add_co_i32 s28, s28, 1
	s_delay_alu instid0(SALU_CYCLE_1) | instskip(SKIP_1) | instid1(SALU_CYCLE_1)
	s_cmp_lg_u32 s28, 0x2710
	s_cselect_b32 s29, -1, 0
	s_and_b32 vcc_lo, exec_lo, s29
	s_cbranch_vccz .LBB6_4856
; %bb.4855:                             ;   in Loop: Header=BB6_4854 Depth=2
	s_mov_b32 s41, -1
	s_or_b32 s27, s27, exec_lo
	s_and_saveexec_b32 s40, s29
	s_cbranch_execz .LBB6_4853
	s_branch .LBB6_4857
.LBB6_4856:                             ;   in Loop: Header=BB6_4854 Depth=2
	s_trap 2
	ds_load_b64 v[0:1], v0
	s_and_not1_b32 s29, s29, exec_lo
	s_mov_b32 s28, 0
	s_wait_dscnt 0x0
	flat_load_b32 v0, v[0:1] scope:SCOPE_SYS
	s_wait_loadcnt_dscnt 0x0
	global_inv scope:SCOPE_SYS
	v_cmp_eq_u32_e32 vcc_lo, 0, v0
	s_and_b32 s40, vcc_lo, exec_lo
	s_delay_alu instid0(SALU_CYCLE_1)
	s_or_b32 s29, s29, s40
	s_mov_b32 s41, -1
	s_or_b32 s27, s27, exec_lo
	s_wait_xcnt 0x0
	s_and_saveexec_b32 s40, s29
	s_cbranch_execz .LBB6_4853
.LBB6_4857:                             ;   in Loop: Header=BB6_4854 Depth=2
	s_sleep 1
	s_trap 2
	ds_load_b64 v[0:1], v0
	s_wait_dscnt 0x0
	s_and_not1_b32 s27, s27, exec_lo
	v_cmp_ge_u64_e32 vcc_lo, v[0:1], v[78:79]
	s_or_not1_b32 s41, vcc_lo, exec_lo
	s_branch .LBB6_4853
.LBB6_4858:                             ;   in Loop: Header=BB6_4821 Depth=1
	s_or_b32 exec_lo, exec_lo, s25
	s_and_saveexec_b32 s25, s26
	s_delay_alu instid0(SALU_CYCLE_1)
	s_xor_b32 s25, exec_lo, s25
	s_cbranch_execz .LBB6_4860
; %bb.4859:                             ;   in Loop: Header=BB6_4821 Depth=1
	v_mov_b32_e32 v0, 1
	ds_store_b32 v0, v0
	s_trap 2
.LBB6_4860:                             ;   in Loop: Header=BB6_4821 Depth=1
	s_or_b32 exec_lo, exec_lo, s24
	;;#ASMSTART
	s_wakeup
	;;#ASMEND
.LBB6_4861:                             ;   in Loop: Header=BB6_4821 Depth=1
	s_or_b32 exec_lo, exec_lo, s23
.LBB6_4862:                             ;   in Loop: Header=BB6_4821 Depth=1
	s_and_not1_saveexec_b32 s10, s10
	s_cbranch_execz .LBB6_4864
; %bb.4863:                             ;   in Loop: Header=BB6_4821 Depth=1
	global_wb scope:SCOPE_DEV
	s_wait_storecnt 0x0
	s_wait_loadcnt_dscnt 0x0
	global_inv scope:SCOPE_DEV
	s_barrier_signal -1
	s_barrier_wait -1
.LBB6_4864:                             ;   in Loop: Header=BB6_4821 Depth=1
	s_or_b32 exec_lo, exec_lo, s10
.LBB6_4865:                             ;   in Loop: Header=BB6_4821 Depth=1
	s_delay_alu instid0(SALU_CYCLE_1) | instskip(SKIP_3) | instid1(VALU_DEP_1)
	s_or_b32 exec_lo, exec_lo, s7
	s_trap 2
	ds_load_b32 v0, v0
	v_and_b32_e32 v1, 0x4000, v59
	v_cmp_ne_u32_e32 vcc_lo, 0, v1
	s_and_b32 s10, s20, vcc_lo
	s_delay_alu instid0(SALU_CYCLE_1)
	s_and_saveexec_b32 s7, s10
	s_cbranch_execz .LBB6_4884
; %bb.4866:                             ;   in Loop: Header=BB6_4821 Depth=1
	s_and_saveexec_b32 s10, s3
	s_delay_alu instid0(SALU_CYCLE_1)
	s_xor_b32 s10, exec_lo, s10
	s_cbranch_execz .LBB6_4881
; %bb.4867:                             ;   in Loop: Header=BB6_4821 Depth=1
	s_and_saveexec_b32 s23, s4
	s_cbranch_execz .LBB6_4880
; %bb.4868:                             ;   in Loop: Header=BB6_4821 Depth=1
	s_mov_b32 s25, exec_lo
	s_mov_b32 s24, exec_lo
	v_mbcnt_lo_u32_b32 v1, s25, 0
	global_wb scope:SCOPE_DEV
	s_wait_storecnt 0x0
	s_wait_loadcnt_dscnt 0x0
	global_inv scope:SCOPE_DEV
	v_cmpx_eq_u32_e32 0, v1
	s_cbranch_execz .LBB6_4870
; %bb.4869:                             ;   in Loop: Header=BB6_4821 Depth=1
	s_bcnt1_i32_b32 s25, s25
	s_delay_alu instid0(SALU_CYCLE_1)
	v_dual_mov_b32 v3, v5 :: v_dual_mov_b32 v2, s25
	s_wait_loadcnt 0x0
	ds_add_u64 v0, v[2:3]
	s_trap 2
.LBB6_4870:                             ;   in Loop: Header=BB6_4821 Depth=1
	s_or_b32 exec_lo, exec_lo, s24
	s_trap 2
	ds_load_b64 v[2:3], v0
	s_wait_dscnt 0x0
	scratch_load_b64 v[6:7], off, s33 offset:236 ; 8-byte Folded Reload
	s_mov_b32 s24, exec_lo
	s_wait_loadcnt 0x0
	v_add_nc_u64_e32 v[78:79], v[78:79], v[6:7]
	s_wait_xcnt 0x0
	s_delay_alu instid0(VALU_DEP_1)
	v_cmpx_lt_u64_e64 v[2:3], v[78:79]
	s_cbranch_execz .LBB6_4879
; %bb.4871:                             ;   in Loop: Header=BB6_4821 Depth=1
	s_mov_b32 s25, 0
	s_mov_b32 s28, 0
                                        ; implicit-def: $sgpr26
                                        ; implicit-def: $sgpr27
	s_branch .LBB6_4873
.LBB6_4872:                             ;   in Loop: Header=BB6_4873 Depth=2
	s_or_b32 exec_lo, exec_lo, s40
	s_delay_alu instid0(SALU_CYCLE_1) | instskip(NEXT) | instid1(SALU_CYCLE_1)
	s_and_b32 s29, exec_lo, s41
	s_or_b32 s25, s29, s25
	s_and_not1_b32 s26, s26, exec_lo
	s_and_b32 s29, s27, exec_lo
	s_delay_alu instid0(SALU_CYCLE_1)
	s_or_b32 s26, s26, s29
	s_and_not1_b32 exec_lo, exec_lo, s25
	s_cbranch_execz .LBB6_4877
.LBB6_4873:                             ;   Parent Loop BB6_4821 Depth=1
                                        ; =>  This Inner Loop Header: Depth=2
	s_add_co_i32 s28, s28, 1
	s_delay_alu instid0(SALU_CYCLE_1) | instskip(SKIP_1) | instid1(SALU_CYCLE_1)
	s_cmp_lg_u32 s28, 0x2710
	s_cselect_b32 s29, -1, 0
	s_and_b32 vcc_lo, exec_lo, s29
	s_cbranch_vccz .LBB6_4875
; %bb.4874:                             ;   in Loop: Header=BB6_4873 Depth=2
	s_mov_b32 s41, -1
	s_or_b32 s27, s27, exec_lo
	s_and_saveexec_b32 s40, s29
	s_cbranch_execz .LBB6_4872
	s_branch .LBB6_4876
.LBB6_4875:                             ;   in Loop: Header=BB6_4873 Depth=2
	s_trap 2
	ds_load_b64 v[2:3], v0
	s_and_not1_b32 s29, s29, exec_lo
	s_mov_b32 s28, 0
	s_wait_dscnt 0x0
	flat_load_b32 v1, v[2:3] scope:SCOPE_SYS
	s_wait_loadcnt_dscnt 0x0
	global_inv scope:SCOPE_SYS
	v_cmp_eq_u32_e32 vcc_lo, 0, v1
	s_and_b32 s40, vcc_lo, exec_lo
	s_delay_alu instid0(SALU_CYCLE_1)
	s_or_b32 s29, s29, s40
	s_mov_b32 s41, -1
	s_or_b32 s27, s27, exec_lo
	s_wait_xcnt 0x0
	s_and_saveexec_b32 s40, s29
	s_cbranch_execz .LBB6_4872
.LBB6_4876:                             ;   in Loop: Header=BB6_4873 Depth=2
	s_sleep 1
	s_trap 2
	ds_load_b64 v[2:3], v0
	s_wait_dscnt 0x0
	s_and_not1_b32 s27, s27, exec_lo
	v_cmp_ge_u64_e32 vcc_lo, v[2:3], v[78:79]
	s_or_not1_b32 s41, vcc_lo, exec_lo
	s_branch .LBB6_4872
.LBB6_4877:                             ;   in Loop: Header=BB6_4821 Depth=1
	s_or_b32 exec_lo, exec_lo, s25
	s_and_saveexec_b32 s25, s26
	s_delay_alu instid0(SALU_CYCLE_1)
	s_xor_b32 s25, exec_lo, s25
	s_cbranch_execz .LBB6_4879
; %bb.4878:                             ;   in Loop: Header=BB6_4821 Depth=1
	v_mov_b32_e32 v1, 1
	ds_store_b32 v0, v1
	s_trap 2
.LBB6_4879:                             ;   in Loop: Header=BB6_4821 Depth=1
	s_or_b32 exec_lo, exec_lo, s24
	;;#ASMSTART
	s_wakeup
	;;#ASMEND
.LBB6_4880:                             ;   in Loop: Header=BB6_4821 Depth=1
	s_or_b32 exec_lo, exec_lo, s23
.LBB6_4881:                             ;   in Loop: Header=BB6_4821 Depth=1
	s_and_not1_saveexec_b32 s10, s10
	s_cbranch_execz .LBB6_4883
; %bb.4882:                             ;   in Loop: Header=BB6_4821 Depth=1
	global_wb scope:SCOPE_DEV
	s_wait_storecnt 0x0
	s_wait_loadcnt_dscnt 0x0
	global_inv scope:SCOPE_DEV
	s_barrier_signal -1
	s_barrier_wait -1
.LBB6_4883:                             ;   in Loop: Header=BB6_4821 Depth=1
	s_or_b32 exec_lo, exec_lo, s10
.LBB6_4884:                             ;   in Loop: Header=BB6_4821 Depth=1
	s_delay_alu instid0(SALU_CYCLE_1)
	s_or_b32 exec_lo, exec_lo, s7
	s_trap 2
	s_wait_dscnt 0x0
	ds_load_b64 v[118:119], v0
	v_min_u32_e32 v107, v107, v106
	s_wait_dscnt 0x0
	v_cmp_eq_u64_e32 vcc_lo, 0, v[118:119]
	s_cbranch_vccnz .LBB6_4892
; %bb.4885:                             ;   in Loop: Header=BB6_4821 Depth=1
	s_trap 2
	ds_load_b64 v[40:41], v0
	s_wait_dscnt 0x0
	v_cmp_eq_u64_e32 vcc_lo, 0, v[40:41]
	s_cbranch_vccnz .LBB6_4892
; %bb.4886:                             ;   in Loop: Header=BB6_4821 Depth=1
	s_mov_b32 s7, -1
	s_and_saveexec_b32 s10, s5
	s_cbranch_execz .LBB6_4888
; %bb.4887:                             ;   in Loop: Header=BB6_4821 Depth=1
	ds_load_b32 v1, v0 offset:720
	s_wait_dscnt 0x0
	v_and_b32_e32 v1, 15, v1
	s_delay_alu instid0(VALU_DEP_1)
	v_cmp_eq_u32_e32 vcc_lo, 0, v1
	s_or_not1_b32 s7, vcc_lo, exec_lo
.LBB6_4888:                             ;   in Loop: Header=BB6_4821 Depth=1
	s_or_b32 exec_lo, exec_lo, s10
	s_and_saveexec_b32 s10, s6
	s_cbranch_execz .LBB6_4890
; %bb.4889:                             ;   in Loop: Header=BB6_4821 Depth=1
	ds_load_b32 v1, v0 offset:784
	s_wait_dscnt 0x0
	v_and_b32_e32 v1, 15, v1
	s_delay_alu instid0(VALU_DEP_1) | instskip(SKIP_3) | instid1(SALU_CYCLE_1)
	v_cmp_eq_u32_e32 vcc_lo, 0, v1
	s_and_b32 s23, s7, vcc_lo
	s_and_not1_b32 s7, s7, exec_lo
	s_and_b32 s23, s23, exec_lo
	s_or_b32 s7, s7, s23
.LBB6_4890:                             ;   in Loop: Header=BB6_4821 Depth=1
	s_or_b32 exec_lo, exec_lo, s10
	v_cmp_eq_u32_e32 vcc_lo, 0, v0
	s_xor_b32 s7, s7, -1
	v_mov_b32_e32 v0, v75
	v_cndmask_b32_e64 v1, 0, 1, s7
	s_mov_b32 s7, -1
	v_dual_cndmask_b32 v108, 0, v107, vcc_lo :: v_dual_mov_b32 v4, 0
	v_mov_b32_e32 v7, v58
	s_delay_alu instid0(VALU_DEP_3) | instskip(NEXT) | instid1(VALU_DEP_3)
	v_cmp_ne_u32_e32 vcc_lo, 0, v1
	v_mov_b32_e32 v3, v108
	s_cbranch_vccz .LBB6_4893
; %bb.4891:                             ;   in Loop: Header=BB6_4821 Depth=1
	s_and_saveexec_b32 s10, s7
	s_cbranch_execnz .LBB6_8042
	s_branch .LBB6_9502
.LBB6_4892:                             ;   in Loop: Header=BB6_4821 Depth=1
	s_mov_b32 s7, 0
	s_and_saveexec_b32 s10, s2
	s_cbranch_execnz .LBB6_9503
	s_branch .LBB6_9521
.LBB6_4893:                             ;   in Loop: Header=BB6_4821 Depth=1
	v_lshrrev_b32_e32 v0, 11, v108
	s_mov_b32 s10, exec_lo
	s_delay_alu instid0(VALU_DEP_1) | instskip(NEXT) | instid1(VALU_DEP_1)
	v_sub_nc_u32_e32 v6, v0, v75
	v_cmpx_lt_i32_e32 0, v6
	s_cbranch_execz .LBB6_7457
; %bb.4894:                             ;   in Loop: Header=BB6_4821 Depth=1
	s_trap 2
	scratch_load_b64 v[2:3], off, s33 offset:460 ; 8-byte Folded Reload
	ds_load_b64 v[0:1], v0
	s_mov_b32 s23, 0
	s_wait_loadcnt 0x0
	v_add_nc_u64_e32 v[42:43], v[118:119], v[2:3]
	s_wait_dscnt 0x0
	v_add_nc_u64_e32 v[44:45], v[0:1], v[2:3]
	v_add_nc_u64_e32 v[46:47], v[40:41], v[2:3]
	s_branch .LBB6_4897
.LBB6_4895:                             ;   in Loop: Header=BB6_4897 Depth=2
	s_or_b32 exec_lo, exec_lo, s24
.LBB6_4896:                             ;   in Loop: Header=BB6_4897 Depth=2
	s_delay_alu instid0(SALU_CYCLE_1)
	s_or_b32 exec_lo, exec_lo, s7
	v_lshl_or_b32 v1, v84, 8, v83
	v_dual_lshlrev_b32 v2, 16, v85 :: v_dual_lshlrev_b32 v3, 24, v18
	v_lshl_or_b32 v4, v34, 8, v29
	v_dual_lshlrev_b32 v12, 16, v35 :: v_dual_lshlrev_b32 v13, 24, v86
	v_dual_lshlrev_b32 v29, 16, v69 :: v_dual_lshlrev_b32 v26, 24, v26
	s_delay_alu instid0(VALU_DEP_4)
	v_or3_b32 v17, v1, v2, v3
	v_lshlrev_b32_e32 v1, 24, v82
	v_lshl_or_b32 v2, v22, 8, v19
	v_dual_lshlrev_b32 v3, 16, v23 :: v_dual_lshlrev_b32 v19, 24, v20
	v_lshlrev_b32_e32 v20, 16, v97
	v_lshl_or_b32 v22, v96, 8, v87
	v_lshl_or_b32 v23, v68, 8, v67
	v_or3_b32 v16, v4, v12, v1
	v_or3_b32 v18, v2, v3, v13
	v_lshl_or_b32 v1, v32, 8, v27
	v_dual_lshlrev_b32 v2, 16, v33 :: v_dual_lshlrev_b32 v3, 24, v70
	v_or3_b32 v19, v22, v20, v19
	v_or3_b32 v35, v23, v29, v26
	v_dual_lshlrev_b32 v4, 24, v28 :: v_dual_lshlrev_b32 v12, 16, v81
	v_lshl_or_b32 v20, v52, 8, v31
	v_dual_lshlrev_b32 v22, 16, v53 :: v_dual_lshlrev_b32 v23, 24, v36
	v_lshl_or_b32 v7, v8, 8, v7
	v_dual_lshlrev_b32 v8, 16, v9 :: v_dual_lshlrev_b32 v9, 24, v30
	v_lshl_or_b32 v28, v48, 8, v37
	v_dual_lshlrev_b32 v29, 16, v49 :: v_dual_lshlrev_b32 v30, 24, v54
	v_or3_b32 v36, v1, v2, v3
	v_dual_lshlrev_b32 v1, 24, v38 :: v_dual_lshlrev_b32 v2, 16, v65
	v_lshl_or_b32 v3, v64, 8, v55
	v_lshl_or_b32 v34, v50, 8, v39
	v_dual_lshlrev_b32 v39, 16, v51 :: v_dual_lshlrev_b32 v50, 24, v66
	v_lshl_or_b32 v13, v80, 8, v71
	v_or3_b32 v27, v20, v22, v23
	v_or3_b32 v26, v7, v8, v9
	;; [unrolled: 1-line block ×6, first 2 shown]
	v_lshl_or_b32 v4, v100, 8, v99
	v_dual_lshlrev_b32 v7, 16, v101 :: v_dual_lshlrev_b32 v8, 24, v10
	v_lshl_or_b32 v9, v24, 8, v21
	v_dual_lshlrev_b32 v10, 16, v25 :: v_dual_lshlrev_b32 v12, 24, v98
	s_clause 0x1
	global_store_b128 v[46:47], v[26:29], off th:TH_STORE_NT
	global_store_b128 v[46:47], v[34:37], off offset:512 th:TH_STORE_NT
	v_dual_lshlrev_b32 v13, 16, v15 :: v_dual_lshlrev_b32 v15, 24, v0
	v_lshlrev_b32_e32 v20, 16, v113
	v_or3_b32 v1, v4, v7, v8
	v_or3_b32 v0, v9, v10, v12
	scratch_load_b64 v[8:9], off, s33 offset:236 ; 8-byte Folded Reload
	v_lshl_or_b32 v11, v14, 8, v11
	v_lshlrev_b32_e32 v14, 24, v102
	v_lshl_or_b32 v21, v112, 8, v103
	v_add_nc_u64_e32 v[42:43], v[42:43], v[90:91]
	v_add_nc_u64_e32 v[44:45], v[44:45], v[90:91]
	s_delay_alu instid0(VALU_DEP_4) | instskip(NEXT) | instid1(VALU_DEP_4)
	v_or3_b32 v2, v11, v13, v14
	v_or3_b32 v3, v21, v20, v15
	s_clause 0x1
	global_store_b128 v[46:47], v[16:19], off offset:1024 th:TH_STORE_NT
	global_store_b128 v[46:47], v[0:3], off offset:1536 th:TH_STORE_NT
	s_wait_xcnt 0x0
	v_add_nc_u64_e32 v[46:47], v[46:47], v[90:91]
	s_wait_loadcnt 0x0
	v_sub_nc_u32_e32 v6, v6, v8
	s_delay_alu instid0(VALU_DEP_1) | instskip(SKIP_1) | instid1(SALU_CYCLE_1)
	v_cmp_gt_i32_e32 vcc_lo, 1, v6
	s_or_b32 s23, vcc_lo, s23
	s_and_not1_b32 exec_lo, exec_lo, s23
	s_cbranch_execz .LBB6_7456
.LBB6_4897:                             ;   Parent Loop BB6_4821 Depth=1
                                        ; =>  This Inner Loop Header: Depth=2
	s_clause 0x3
	global_load_b128 v[48:51], v[42:43], off th:TH_LOAD_NT
	global_load_b128 v[32:35], v[42:43], off offset:512 th:TH_LOAD_NT
	global_load_b128 v[22:25], v[42:43], off offset:1024 th:TH_LOAD_NT
	;; [unrolled: 1-line block ×3, first 2 shown]
	s_clause 0x3
	global_load_b128 v[36:39], v[44:45], off th:TH_LOAD_NT
	global_load_b128 v[26:29], v[44:45], off offset:512 th:TH_LOAD_NT
	global_load_b128 v[18:21], v[44:45], off offset:1024 th:TH_LOAD_NT
	;; [unrolled: 1-line block ×3, first 2 shown]
	v_mov_b32_e32 v0, 0
	s_wait_loadcnt 0x7
	v_and_b32_e32 v1, 0xff, v48
	s_delay_alu instid0(VALU_DEP_1)
	v_cmp_ne_u16_e32 vcc_lo, 0, v1
	v_mov_b32_e32 v1, 0
	s_wait_xcnt 0x0
	s_and_saveexec_b32 s7, vcc_lo
	s_cbranch_execz .LBB6_4907
; %bb.4898:                             ;   in Loop: Header=BB6_4897 Depth=2
	v_bfe_i32 v3, v48, 0, 8
	v_bfrev_b32_e32 v1, 1
	s_mov_b32 s24, exec_lo
	s_delay_alu instid0(VALU_DEP_2)
	v_cmpx_ne_u16_e32 0xff80, v3
	s_cbranch_execz .LBB6_4906
; %bb.4899:                             ;   in Loop: Header=BB6_4897 Depth=2
	v_and_b32_e32 v1, 0x7c, v48
	v_and_b32_e32 v2, 3, v48
	s_delay_alu instid0(VALU_DEP_2) | instskip(SKIP_1) | instid1(SALU_CYCLE_1)
	v_cmp_ne_u32_e32 vcc_lo, 0x7c, v1
                                        ; implicit-def: $vgpr1
	s_and_saveexec_b32 s25, vcc_lo
	s_xor_b32 s25, exec_lo, s25
	s_cbranch_execz .LBB6_4903
; %bb.4900:                             ;   in Loop: Header=BB6_4897 Depth=2
	v_bfe_u32 v1, v48, 2, 5
	s_mov_b32 s26, exec_lo
	s_delay_alu instid0(VALU_DEP_1)
	v_cmpx_eq_u32_e32 0, v1
; %bb.4901:                             ;   in Loop: Header=BB6_4897 Depth=2
	v_clz_i32_u32_e32 v1, v2
	s_delay_alu instid0(VALU_DEP_1) | instskip(NEXT) | instid1(VALU_DEP_1)
	v_min_u32_e32 v1, 32, v1
	v_subrev_nc_u32_e32 v2, 29, v1
	s_delay_alu instid0(VALU_DEP_1) | instskip(NEXT) | instid1(VALU_DEP_1)
	v_lshlrev_b64_e32 v[2:3], v2, v[48:49]
	v_dual_sub_nc_u32 v1, 30, v1 :: v_dual_bitop2_b32 v2, 3, v2 bitop3:0x40
; %bb.4902:                             ;   in Loop: Header=BB6_4897 Depth=2
	s_or_b32 exec_lo, exec_lo, s26
	v_lshlrev_b32_e32 v3, 24, v48
	s_delay_alu instid0(VALU_DEP_1) | instskip(NEXT) | instid1(VALU_DEP_1)
	v_and_b32_e32 v3, 0x80000000, v3
	v_lshl_add_u32 v1, v1, 23, v3
                                        ; implicit-def: $vgpr3
	s_delay_alu instid0(VALU_DEP_1) | instskip(NEXT) | instid1(VALU_DEP_1)
	v_lshl_or_b32 v1, v2, 21, v1
                                        ; implicit-def: $vgpr2
	v_add_nc_u32_e32 v1, 0x38000000, v1
.LBB6_4903:                             ;   in Loop: Header=BB6_4897 Depth=2
	s_and_not1_saveexec_b32 s25, s25
; %bb.4904:                             ;   in Loop: Header=BB6_4897 Depth=2
	v_cmp_lt_i16_e32 vcc_lo, -1, v3
	v_cndmask_b32_e32 v1, 0xff800000, v105, vcc_lo
	v_cmp_eq_u32_e32 vcc_lo, 0, v2
	s_delay_alu instid0(VALU_DEP_2)
	v_cndmask_b32_e32 v1, 0x7f800001, v1, vcc_lo
; %bb.4905:                             ;   in Loop: Header=BB6_4897 Depth=2
	s_or_b32 exec_lo, exec_lo, s25
.LBB6_4906:                             ;   in Loop: Header=BB6_4897 Depth=2
	s_delay_alu instid0(SALU_CYCLE_1)
	s_or_b32 exec_lo, exec_lo, s24
.LBB6_4907:                             ;   in Loop: Header=BB6_4897 Depth=2
	s_delay_alu instid0(SALU_CYCLE_1) | instskip(SKIP_3) | instid1(VALU_DEP_1)
	s_or_b32 exec_lo, exec_lo, s7
	s_wait_loadcnt 0x3
	v_and_b32_e32 v2, 0xff, v36
	s_mov_b32 s7, exec_lo
	v_cmpx_ne_u16_e32 0, v2
	s_cbranch_execz .LBB6_4917
; %bb.4908:                             ;   in Loop: Header=BB6_4897 Depth=2
	v_bfe_i32 v3, v36, 0, 8
	v_bfrev_b32_e32 v0, 1
	s_mov_b32 s24, exec_lo
	s_delay_alu instid0(VALU_DEP_2)
	v_cmpx_ne_u16_e32 0xff80, v3
	s_cbranch_execz .LBB6_4916
; %bb.4909:                             ;   in Loop: Header=BB6_4897 Depth=2
	v_and_b32_e32 v0, 0x7c, v36
	v_and_b32_e32 v2, 3, v36
	s_delay_alu instid0(VALU_DEP_2) | instskip(SKIP_1) | instid1(SALU_CYCLE_1)
	v_cmp_ne_u32_e32 vcc_lo, 0x7c, v0
                                        ; implicit-def: $vgpr0
	s_and_saveexec_b32 s25, vcc_lo
	s_xor_b32 s25, exec_lo, s25
	s_cbranch_execz .LBB6_4913
; %bb.4910:                             ;   in Loop: Header=BB6_4897 Depth=2
	v_bfe_u32 v0, v36, 2, 5
	s_mov_b32 s26, exec_lo
	s_delay_alu instid0(VALU_DEP_1)
	v_cmpx_eq_u32_e32 0, v0
; %bb.4911:                             ;   in Loop: Header=BB6_4897 Depth=2
	v_clz_i32_u32_e32 v0, v2
	s_delay_alu instid0(VALU_DEP_1) | instskip(NEXT) | instid1(VALU_DEP_1)
	v_min_u32_e32 v0, 32, v0
	v_subrev_nc_u32_e32 v2, 29, v0
	s_delay_alu instid0(VALU_DEP_1) | instskip(NEXT) | instid1(VALU_DEP_1)
	v_lshlrev_b64_e32 v[2:3], v2, v[36:37]
	v_dual_sub_nc_u32 v0, 30, v0 :: v_dual_bitop2_b32 v2, 3, v2 bitop3:0x40
; %bb.4912:                             ;   in Loop: Header=BB6_4897 Depth=2
	s_or_b32 exec_lo, exec_lo, s26
	v_lshlrev_b32_e32 v3, 24, v36
	s_delay_alu instid0(VALU_DEP_1) | instskip(NEXT) | instid1(VALU_DEP_1)
	v_and_b32_e32 v3, 0x80000000, v3
	v_lshl_add_u32 v0, v0, 23, v3
                                        ; implicit-def: $vgpr3
	s_delay_alu instid0(VALU_DEP_1) | instskip(NEXT) | instid1(VALU_DEP_1)
	v_lshl_or_b32 v0, v2, 21, v0
                                        ; implicit-def: $vgpr2
	v_add_nc_u32_e32 v0, 0x38000000, v0
.LBB6_4913:                             ;   in Loop: Header=BB6_4897 Depth=2
	s_and_not1_saveexec_b32 s25, s25
; %bb.4914:                             ;   in Loop: Header=BB6_4897 Depth=2
	v_cmp_lt_i16_e32 vcc_lo, -1, v3
	v_cndmask_b32_e32 v0, 0xff800000, v105, vcc_lo
	v_cmp_eq_u32_e32 vcc_lo, 0, v2
	s_delay_alu instid0(VALU_DEP_2)
	v_cndmask_b32_e32 v0, 0x7f800001, v0, vcc_lo
; %bb.4915:                             ;   in Loop: Header=BB6_4897 Depth=2
	s_or_b32 exec_lo, exec_lo, s25
.LBB6_4916:                             ;   in Loop: Header=BB6_4897 Depth=2
	s_delay_alu instid0(SALU_CYCLE_1)
	s_or_b32 exec_lo, exec_lo, s24
.LBB6_4917:                             ;   in Loop: Header=BB6_4897 Depth=2
	s_delay_alu instid0(SALU_CYCLE_1) | instskip(NEXT) | instid1(VALU_DEP_1)
	s_or_b32 exec_lo, exec_lo, s7
	v_mul_f32_e32 v0, v1, v0
	v_mov_b32_e32 v3, v5
                                        ; implicit-def: $vgpr7
	s_mov_b32 s7, exec_lo
	s_delay_alu instid0(VALU_DEP_2) | instskip(SKIP_2) | instid1(VALU_DEP_3)
	v_and_b32_e32 v2, 0x7f800000, v0
	v_and_b32_e32 v4, 0x7fffff, v0
	v_lshrrev_b32_e32 v1, 24, v0
	v_cmpx_ne_u64_e32 0x7f800000, v[2:3]
	s_xor_b32 s24, exec_lo, s7
	s_cbranch_execz .LBB6_4931
; %bb.4918:                             ;   in Loop: Header=BB6_4897 Depth=2
	v_and_b32_e32 v2, 0x7fffffff, v0
	v_mov_b32_e32 v3, v5
	v_and_b32_e32 v8, 0x80, v1
                                        ; implicit-def: $vgpr7
	s_mov_b32 s7, exec_lo
	s_delay_alu instid0(VALU_DEP_2)
	v_cmpx_gt_u64_e32 0x47600001, v[2:3]
	s_xor_b32 s25, exec_lo, s7
	s_cbranch_execz .LBB6_4928
; %bb.4919:                             ;   in Loop: Header=BB6_4897 Depth=2
	v_mov_b32_e32 v7, 0
	s_mov_b32 s26, exec_lo
	v_cmpx_ne_u32_e32 0, v0
	s_cbranch_execz .LBB6_4927
; %bb.4920:                             ;   in Loop: Header=BB6_4897 Depth=2
	v_bfe_u32 v7, v0, 23, 8
	v_or_b32_e32 v2, 0x800000, v4
	s_mov_b32 s27, exec_lo
	s_delay_alu instid0(VALU_DEP_2) | instskip(SKIP_1) | instid1(VALU_DEP_2)
	v_dual_mov_b32 v3, v5 :: v_dual_sub_nc_u32 v0, 0x71, v7
	v_cmp_gt_u32_e32 vcc_lo, 0x72, v7
	v_cndmask_b32_e32 v0, 0, v0, vcc_lo
	v_cmp_eq_u32_e32 vcc_lo, 0, v7
	s_delay_alu instid0(VALU_DEP_2) | instskip(NEXT) | instid1(VALU_DEP_1)
	v_cndmask_b32_e64 v9, v0, 0x70, vcc_lo
	v_dual_cndmask_b32 v2, v2, v4, vcc_lo :: v_dual_add_nc_u32 v0, 21, v9
	v_add_nc_u32_e32 v30, 20, v9
	s_delay_alu instid0(VALU_DEP_2) | instskip(NEXT) | instid1(VALU_DEP_2)
	v_lshlrev_b64_e64 v[0:1], v0, -1
	v_lshlrev_b64_e64 v[30:31], v30, 1
	s_delay_alu instid0(VALU_DEP_2) | instskip(NEXT) | instid1(VALU_DEP_3)
	v_bfi_b32 v53, v1, 0, 0
	v_bfi_b32 v52, v0, 0, v2
	v_lshrrev_b64 v[0:1], v9, v[2:3]
	s_delay_alu instid0(VALU_DEP_1) | instskip(NEXT) | instid1(VALU_DEP_3)
	v_mov_b64_e32 v[2:3], v[0:1]
	v_cmpx_eq_u64_e64 v[52:53], v[30:31]
; %bb.4921:                             ;   in Loop: Header=BB6_4897 Depth=2
	v_bfe_u32 v2, v0, 21, 1
	v_mov_b32_e32 v3, v5
	s_delay_alu instid0(VALU_DEP_1) | instskip(NEXT) | instid1(VALU_DEP_1)
	v_add_nc_u64_e32 v[2:3], v[0:1], v[2:3]
	v_add_nc_u64_e32 v[2:3], -1, v[2:3]
; %bb.4922:                             ;   in Loop: Header=BB6_4897 Depth=2
	s_or_b32 exec_lo, exec_lo, s27
	v_add_nc_u32_e32 v1, 0xffffff81, v7
	v_lshrrev_b32_e32 v3, 23, v0
	s_mov_b32 s7, exec_lo
	s_delay_alu instid0(VALU_DEP_2) | instskip(NEXT) | instid1(VALU_DEP_1)
	v_cndmask_b32_e64 v1, v1, 0xffffff82, vcc_lo
	v_add3_u32 v3, v9, v1, v3
	v_and_b32_e32 v1, 0x1fffff, v2
                                        ; implicit-def: $vgpr2
	s_delay_alu instid0(VALU_DEP_1) | instskip(NEXT) | instid1(VALU_DEP_1)
	v_dual_add_nc_u32 v7, 14, v3 :: v_dual_add_nc_u32 v4, v1, v0
                                        ; implicit-def: $vgpr0_vgpr1
	v_cmpx_ne_u32_e32 0, v7
	s_xor_b32 s7, exec_lo, s7
; %bb.4923:                             ;   in Loop: Header=BB6_4897 Depth=2
	s_delay_alu instid0(VALU_DEP_2) | instskip(SKIP_1) | instid1(VALU_DEP_1)
	v_cmp_lt_u64_e32 vcc_lo, 0xffffff, v[4:5]
	v_add_nc_u32_e32 v0, 15, v3
	v_cndmask_b32_e32 v2, v7, v0, vcc_lo
	v_cndmask_b32_e64 v0, 0, 1, vcc_lo
	s_delay_alu instid0(VALU_DEP_1)
	v_lshrrev_b64 v[0:1], v0, v[4:5]
; %bb.4924:                             ;   in Loop: Header=BB6_4897 Depth=2
	s_and_not1_saveexec_b32 s7, s7
; %bb.4925:                             ;   in Loop: Header=BB6_4897 Depth=2
	v_mov_b64_e32 v[0:1], v[4:5]
	v_bfe_u32 v2, v4, 23, 1
; %bb.4926:                             ;   in Loop: Header=BB6_4897 Depth=2
	s_or_b32 exec_lo, exec_lo, s7
	s_delay_alu instid0(VALU_DEP_2) | instskip(NEXT) | instid1(VALU_DEP_2)
	v_lshrrev_b64 v[0:1], 21, v[0:1]
	v_cmp_gt_i32_e32 vcc_lo, 32, v2
	v_min_i32_e32 v3, 31, v2
	v_cmp_eq_u32_e64 s7, 0, v2
	s_delay_alu instid0(VALU_DEP_2) | instskip(SKIP_1) | instid1(VALU_DEP_2)
	v_dual_cndmask_b32 v1, 0, v1, vcc_lo :: v_dual_lshlrev_b32 v3, 2, v3
	v_cndmask_b32_e32 v0, 3, v0, vcc_lo
	v_and_b32_e32 v3, 0xfc, v3
	s_delay_alu instid0(VALU_DEP_2) | instskip(NEXT) | instid1(VALU_DEP_2)
	v_cmp_eq_u64_e32 vcc_lo, 0, v[0:1]
	v_and_or_b32 v0, v0, 3, v3
	s_and_b32 s7, s7, vcc_lo
	s_delay_alu instid0(VALU_DEP_1) | instid1(SALU_CYCLE_1)
	v_cndmask_b32_e64 v0, v0, 0, s7
	s_delay_alu instid0(VALU_DEP_1)
	v_or_b32_e32 v7, v0, v8
.LBB6_4927:                             ;   in Loop: Header=BB6_4897 Depth=2
	s_or_b32 exec_lo, exec_lo, s26
                                        ; implicit-def: $vgpr8
.LBB6_4928:                             ;   in Loop: Header=BB6_4897 Depth=2
	s_and_not1_saveexec_b32 s7, s25
; %bb.4929:                             ;   in Loop: Header=BB6_4897 Depth=2
	v_or_b32_e32 v7, 0x7b, v8
; %bb.4930:                             ;   in Loop: Header=BB6_4897 Depth=2
	s_or_b32 exec_lo, exec_lo, s7
                                        ; implicit-def: $vgpr0
                                        ; implicit-def: $vgpr1
.LBB6_4931:                             ;   in Loop: Header=BB6_4897 Depth=2
	s_and_not1_saveexec_b32 s7, s24
	s_cbranch_execz .LBB6_4937
; %bb.4932:                             ;   in Loop: Header=BB6_4897 Depth=2
	s_mov_b32 s24, exec_lo
                                        ; implicit-def: $vgpr7
	v_cmpx_ne_u64_e32 0, v[4:5]
	s_xor_b32 s24, exec_lo, s24
; %bb.4933:                             ;   in Loop: Header=BB6_4897 Depth=2
	v_or_b32_e32 v7, 0x7f, v1
                                        ; implicit-def: $vgpr0
; %bb.4934:                             ;   in Loop: Header=BB6_4897 Depth=2
	s_and_not1_saveexec_b32 s24, s24
; %bb.4935:                             ;   in Loop: Header=BB6_4897 Depth=2
	v_cmp_lt_i32_e32 vcc_lo, -1, v0
	v_cndmask_b32_e32 v7, 0xfc, v104, vcc_lo
; %bb.4936:                             ;   in Loop: Header=BB6_4897 Depth=2
	s_or_b32 exec_lo, exec_lo, s24
.LBB6_4937:                             ;   in Loop: Header=BB6_4897 Depth=2
	s_delay_alu instid0(SALU_CYCLE_1) | instskip(SKIP_3) | instid1(VALU_DEP_2)
	s_or_b32 exec_lo, exec_lo, s7
	v_lshrrev_b16 v0, 8, v48
	v_dual_mov_b32 v2, 0 :: v_dual_mov_b32 v3, 0
	s_mov_b32 s7, exec_lo
	v_cmpx_ne_u16_e32 0, v0
	s_cbranch_execz .LBB6_4947
; %bb.4938:                             ;   in Loop: Header=BB6_4897 Depth=2
	v_bfrev_b32_e32 v3, 1
	s_mov_b32 s24, exec_lo
	v_cmpx_ne_u16_e32 0x80, v0
	s_cbranch_execz .LBB6_4946
; %bb.4939:                             ;   in Loop: Header=BB6_4897 Depth=2
	v_and_b32_e32 v4, 0xffff, v0
	s_delay_alu instid0(VALU_DEP_1) | instskip(SKIP_1) | instid1(VALU_DEP_2)
	v_and_b32_e32 v3, 0x7c, v4
	v_and_b32_e32 v1, 3, v4
	v_cmp_ne_u32_e32 vcc_lo, 0x7c, v3
                                        ; implicit-def: $vgpr3
	s_and_saveexec_b32 s25, vcc_lo
	s_delay_alu instid0(SALU_CYCLE_1)
	s_xor_b32 s25, exec_lo, s25
	s_cbranch_execz .LBB6_4943
; %bb.4940:                             ;   in Loop: Header=BB6_4897 Depth=2
	v_bfe_u32 v3, v4, 2, 5
	s_mov_b32 s26, exec_lo
	s_delay_alu instid0(VALU_DEP_1)
	v_cmpx_eq_u32_e32 0, v3
	s_cbranch_execz .LBB6_4942
; %bb.4941:                             ;   in Loop: Header=BB6_4897 Depth=2
	v_clz_i32_u32_e32 v1, v1
	s_delay_alu instid0(VALU_DEP_1) | instskip(SKIP_1) | instid1(VALU_DEP_2)
	v_min_u32_e32 v3, 32, v1
	v_mov_b32_e32 v1, v5
	v_subrev_nc_u32_e32 v4, 29, v3
	v_sub_nc_u32_e32 v3, 30, v3
	s_delay_alu instid0(VALU_DEP_2) | instskip(NEXT) | instid1(VALU_DEP_1)
	v_lshlrev_b64_e32 v[0:1], v4, v[0:1]
	v_and_b32_e32 v1, 3, v0
.LBB6_4942:                             ;   in Loop: Header=BB6_4897 Depth=2
	s_or_b32 exec_lo, exec_lo, s26
	v_lshlrev_b32_e32 v0, 16, v48
	s_delay_alu instid0(VALU_DEP_1) | instskip(NEXT) | instid1(VALU_DEP_1)
	v_and_b32_e32 v0, 0x80000000, v0
	v_lshl_add_u32 v0, v3, 23, v0
	s_delay_alu instid0(VALU_DEP_1) | instskip(NEXT) | instid1(VALU_DEP_1)
	v_lshl_or_b32 v0, v1, 21, v0
                                        ; implicit-def: $vgpr1
	v_add_nc_u32_e32 v3, 0x38000000, v0
.LBB6_4943:                             ;   in Loop: Header=BB6_4897 Depth=2
	s_and_not1_saveexec_b32 s25, s25
; %bb.4944:                             ;   in Loop: Header=BB6_4897 Depth=2
	v_cmp_lt_i16_e32 vcc_lo, -1, v48
	v_cndmask_b32_e32 v0, 0xff800000, v105, vcc_lo
	v_cmp_eq_u32_e32 vcc_lo, 0, v1
	s_delay_alu instid0(VALU_DEP_2)
	v_cndmask_b32_e32 v3, 0x7f800001, v0, vcc_lo
; %bb.4945:                             ;   in Loop: Header=BB6_4897 Depth=2
	s_or_b32 exec_lo, exec_lo, s25
.LBB6_4946:                             ;   in Loop: Header=BB6_4897 Depth=2
	s_delay_alu instid0(SALU_CYCLE_1)
	s_or_b32 exec_lo, exec_lo, s24
.LBB6_4947:                             ;   in Loop: Header=BB6_4897 Depth=2
	s_delay_alu instid0(SALU_CYCLE_1) | instskip(SKIP_2) | instid1(VALU_DEP_1)
	s_or_b32 exec_lo, exec_lo, s7
	v_lshrrev_b16 v0, 8, v36
	s_mov_b32 s7, exec_lo
	v_cmpx_ne_u16_e32 0, v0
	s_cbranch_execz .LBB6_4957
; %bb.4948:                             ;   in Loop: Header=BB6_4897 Depth=2
	v_bfrev_b32_e32 v2, 1
	s_mov_b32 s24, exec_lo
	v_cmpx_ne_u16_e32 0x80, v0
	s_cbranch_execz .LBB6_4956
; %bb.4949:                             ;   in Loop: Header=BB6_4897 Depth=2
	v_and_b32_e32 v4, 0xffff, v0
	s_delay_alu instid0(VALU_DEP_1) | instskip(SKIP_1) | instid1(VALU_DEP_2)
	v_and_b32_e32 v2, 0x7c, v4
	v_and_b32_e32 v1, 3, v4
	v_cmp_ne_u32_e32 vcc_lo, 0x7c, v2
                                        ; implicit-def: $vgpr2
	s_and_saveexec_b32 s25, vcc_lo
	s_delay_alu instid0(SALU_CYCLE_1)
	s_xor_b32 s25, exec_lo, s25
	s_cbranch_execz .LBB6_4953
; %bb.4950:                             ;   in Loop: Header=BB6_4897 Depth=2
	v_bfe_u32 v2, v4, 2, 5
	s_mov_b32 s26, exec_lo
	s_delay_alu instid0(VALU_DEP_1)
	v_cmpx_eq_u32_e32 0, v2
	s_cbranch_execz .LBB6_4952
; %bb.4951:                             ;   in Loop: Header=BB6_4897 Depth=2
	v_clz_i32_u32_e32 v1, v1
	s_delay_alu instid0(VALU_DEP_1) | instskip(SKIP_1) | instid1(VALU_DEP_2)
	v_min_u32_e32 v2, 32, v1
	v_mov_b32_e32 v1, v5
	v_subrev_nc_u32_e32 v4, 29, v2
	v_sub_nc_u32_e32 v2, 30, v2
	s_delay_alu instid0(VALU_DEP_2) | instskip(NEXT) | instid1(VALU_DEP_1)
	v_lshlrev_b64_e32 v[0:1], v4, v[0:1]
	v_and_b32_e32 v1, 3, v0
.LBB6_4952:                             ;   in Loop: Header=BB6_4897 Depth=2
	s_or_b32 exec_lo, exec_lo, s26
	v_lshlrev_b32_e32 v0, 16, v36
	s_delay_alu instid0(VALU_DEP_1) | instskip(NEXT) | instid1(VALU_DEP_1)
	v_and_b32_e32 v0, 0x80000000, v0
	v_lshl_add_u32 v0, v2, 23, v0
	s_delay_alu instid0(VALU_DEP_1) | instskip(NEXT) | instid1(VALU_DEP_1)
	v_lshl_or_b32 v0, v1, 21, v0
                                        ; implicit-def: $vgpr1
	v_add_nc_u32_e32 v2, 0x38000000, v0
.LBB6_4953:                             ;   in Loop: Header=BB6_4897 Depth=2
	s_and_not1_saveexec_b32 s25, s25
; %bb.4954:                             ;   in Loop: Header=BB6_4897 Depth=2
	v_cmp_lt_i16_e32 vcc_lo, -1, v36
	v_cndmask_b32_e32 v0, 0xff800000, v105, vcc_lo
	v_cmp_eq_u32_e32 vcc_lo, 0, v1
	s_delay_alu instid0(VALU_DEP_2)
	v_cndmask_b32_e32 v2, 0x7f800001, v0, vcc_lo
; %bb.4955:                             ;   in Loop: Header=BB6_4897 Depth=2
	s_or_b32 exec_lo, exec_lo, s25
.LBB6_4956:                             ;   in Loop: Header=BB6_4897 Depth=2
	s_delay_alu instid0(SALU_CYCLE_1)
	s_or_b32 exec_lo, exec_lo, s24
.LBB6_4957:                             ;   in Loop: Header=BB6_4897 Depth=2
	s_delay_alu instid0(SALU_CYCLE_1) | instskip(NEXT) | instid1(VALU_DEP_1)
	s_or_b32 exec_lo, exec_lo, s7
	v_dual_mul_f32 v0, v3, v2 :: v_dual_mov_b32 v3, v5
                                        ; implicit-def: $vgpr8
	s_mov_b32 s7, exec_lo
	s_delay_alu instid0(VALU_DEP_1) | instskip(SKIP_2) | instid1(VALU_DEP_3)
	v_and_b32_e32 v2, 0x7f800000, v0
	v_and_b32_e32 v4, 0x7fffff, v0
	v_lshrrev_b32_e32 v1, 24, v0
	v_cmpx_ne_u64_e32 0x7f800000, v[2:3]
	s_xor_b32 s24, exec_lo, s7
	s_cbranch_execz .LBB6_4971
; %bb.4958:                             ;   in Loop: Header=BB6_4897 Depth=2
	v_and_b32_e32 v2, 0x7fffffff, v0
	v_mov_b32_e32 v3, v5
	v_and_b32_e32 v9, 0x80, v1
                                        ; implicit-def: $vgpr8
	s_mov_b32 s7, exec_lo
	s_delay_alu instid0(VALU_DEP_2)
	v_cmpx_gt_u64_e32 0x47600001, v[2:3]
	s_xor_b32 s25, exec_lo, s7
	s_cbranch_execz .LBB6_4968
; %bb.4959:                             ;   in Loop: Header=BB6_4897 Depth=2
	v_mov_b32_e32 v8, 0
	s_mov_b32 s26, exec_lo
	v_cmpx_ne_u32_e32 0, v0
	s_cbranch_execz .LBB6_4967
; %bb.4960:                             ;   in Loop: Header=BB6_4897 Depth=2
	v_bfe_u32 v8, v0, 23, 8
	v_or_b32_e32 v2, 0x800000, v4
	s_mov_b32 s27, exec_lo
	s_delay_alu instid0(VALU_DEP_2) | instskip(SKIP_1) | instid1(VALU_DEP_2)
	v_dual_mov_b32 v3, v5 :: v_dual_sub_nc_u32 v0, 0x71, v8
	v_cmp_gt_u32_e32 vcc_lo, 0x72, v8
	v_cndmask_b32_e32 v0, 0, v0, vcc_lo
	v_cmp_eq_u32_e32 vcc_lo, 0, v8
	s_delay_alu instid0(VALU_DEP_2) | instskip(NEXT) | instid1(VALU_DEP_1)
	v_cndmask_b32_e64 v30, v0, 0x70, vcc_lo
	v_dual_cndmask_b32 v2, v2, v4, vcc_lo :: v_dual_add_nc_u32 v0, 21, v30
	v_add_nc_u32_e32 v31, 20, v30
	s_delay_alu instid0(VALU_DEP_2) | instskip(NEXT) | instid1(VALU_DEP_2)
	v_lshlrev_b64_e64 v[0:1], v0, -1
	v_lshlrev_b64_e64 v[52:53], v31, 1
	s_delay_alu instid0(VALU_DEP_2) | instskip(NEXT) | instid1(VALU_DEP_3)
	v_bfi_b32 v55, v1, 0, 0
	v_bfi_b32 v54, v0, 0, v2
	v_lshrrev_b64 v[0:1], v30, v[2:3]
	s_delay_alu instid0(VALU_DEP_1) | instskip(NEXT) | instid1(VALU_DEP_3)
	v_mov_b64_e32 v[2:3], v[0:1]
	v_cmpx_eq_u64_e64 v[54:55], v[52:53]
; %bb.4961:                             ;   in Loop: Header=BB6_4897 Depth=2
	v_bfe_u32 v2, v0, 21, 1
	v_mov_b32_e32 v3, v5
	s_delay_alu instid0(VALU_DEP_1) | instskip(NEXT) | instid1(VALU_DEP_1)
	v_add_nc_u64_e32 v[2:3], v[0:1], v[2:3]
	v_add_nc_u64_e32 v[2:3], -1, v[2:3]
; %bb.4962:                             ;   in Loop: Header=BB6_4897 Depth=2
	s_or_b32 exec_lo, exec_lo, s27
	v_add_nc_u32_e32 v1, 0xffffff81, v8
	v_lshrrev_b32_e32 v3, 23, v0
	s_mov_b32 s7, exec_lo
	s_delay_alu instid0(VALU_DEP_2) | instskip(NEXT) | instid1(VALU_DEP_1)
	v_cndmask_b32_e64 v1, v1, 0xffffff82, vcc_lo
	v_add3_u32 v3, v30, v1, v3
	v_and_b32_e32 v1, 0x1fffff, v2
                                        ; implicit-def: $vgpr2
	s_delay_alu instid0(VALU_DEP_1) | instskip(NEXT) | instid1(VALU_DEP_1)
	v_dual_add_nc_u32 v8, 14, v3 :: v_dual_add_nc_u32 v4, v1, v0
                                        ; implicit-def: $vgpr0_vgpr1
	v_cmpx_ne_u32_e32 0, v8
	s_xor_b32 s7, exec_lo, s7
; %bb.4963:                             ;   in Loop: Header=BB6_4897 Depth=2
	s_delay_alu instid0(VALU_DEP_2) | instskip(SKIP_1) | instid1(VALU_DEP_1)
	v_cmp_lt_u64_e32 vcc_lo, 0xffffff, v[4:5]
	v_add_nc_u32_e32 v0, 15, v3
	v_cndmask_b32_e32 v2, v8, v0, vcc_lo
	v_cndmask_b32_e64 v0, 0, 1, vcc_lo
	s_delay_alu instid0(VALU_DEP_1)
	v_lshrrev_b64 v[0:1], v0, v[4:5]
; %bb.4964:                             ;   in Loop: Header=BB6_4897 Depth=2
	s_and_not1_saveexec_b32 s7, s7
; %bb.4965:                             ;   in Loop: Header=BB6_4897 Depth=2
	v_mov_b64_e32 v[0:1], v[4:5]
	v_bfe_u32 v2, v4, 23, 1
; %bb.4966:                             ;   in Loop: Header=BB6_4897 Depth=2
	s_or_b32 exec_lo, exec_lo, s7
	s_delay_alu instid0(VALU_DEP_2) | instskip(NEXT) | instid1(VALU_DEP_2)
	v_lshrrev_b64 v[0:1], 21, v[0:1]
	v_cmp_gt_i32_e32 vcc_lo, 32, v2
	v_min_i32_e32 v3, 31, v2
	v_cmp_eq_u32_e64 s7, 0, v2
	s_delay_alu instid0(VALU_DEP_2) | instskip(SKIP_1) | instid1(VALU_DEP_2)
	v_dual_cndmask_b32 v1, 0, v1, vcc_lo :: v_dual_lshlrev_b32 v3, 2, v3
	v_cndmask_b32_e32 v0, 3, v0, vcc_lo
	v_and_b32_e32 v3, 0xfc, v3
	s_delay_alu instid0(VALU_DEP_2) | instskip(NEXT) | instid1(VALU_DEP_2)
	v_cmp_eq_u64_e32 vcc_lo, 0, v[0:1]
	v_and_or_b32 v0, v0, 3, v3
	s_and_b32 s7, s7, vcc_lo
	s_delay_alu instid0(VALU_DEP_1) | instid1(SALU_CYCLE_1)
	v_cndmask_b32_e64 v0, v0, 0, s7
	s_delay_alu instid0(VALU_DEP_1)
	v_or_b32_e32 v8, v0, v9
.LBB6_4967:                             ;   in Loop: Header=BB6_4897 Depth=2
	s_or_b32 exec_lo, exec_lo, s26
                                        ; implicit-def: $vgpr9
.LBB6_4968:                             ;   in Loop: Header=BB6_4897 Depth=2
	s_and_not1_saveexec_b32 s7, s25
; %bb.4969:                             ;   in Loop: Header=BB6_4897 Depth=2
	v_or_b32_e32 v8, 0x7b, v9
; %bb.4970:                             ;   in Loop: Header=BB6_4897 Depth=2
	s_or_b32 exec_lo, exec_lo, s7
                                        ; implicit-def: $vgpr0
                                        ; implicit-def: $vgpr1
.LBB6_4971:                             ;   in Loop: Header=BB6_4897 Depth=2
	s_and_not1_saveexec_b32 s7, s24
	s_cbranch_execz .LBB6_4977
; %bb.4972:                             ;   in Loop: Header=BB6_4897 Depth=2
	s_mov_b32 s24, exec_lo
                                        ; implicit-def: $vgpr8
	v_cmpx_ne_u64_e32 0, v[4:5]
	s_xor_b32 s24, exec_lo, s24
; %bb.4973:                             ;   in Loop: Header=BB6_4897 Depth=2
	v_or_b32_e32 v8, 0x7f, v1
                                        ; implicit-def: $vgpr0
; %bb.4974:                             ;   in Loop: Header=BB6_4897 Depth=2
	s_and_not1_saveexec_b32 s24, s24
; %bb.4975:                             ;   in Loop: Header=BB6_4897 Depth=2
	v_cmp_lt_i32_e32 vcc_lo, -1, v0
	v_cndmask_b32_e32 v8, 0xfc, v104, vcc_lo
; %bb.4976:                             ;   in Loop: Header=BB6_4897 Depth=2
	s_or_b32 exec_lo, exec_lo, s24
.LBB6_4977:                             ;   in Loop: Header=BB6_4897 Depth=2
	s_delay_alu instid0(SALU_CYCLE_1) | instskip(SKIP_3) | instid1(VALU_DEP_2)
	s_or_b32 exec_lo, exec_lo, s7
	v_dual_mov_b32 v1, 0 :: v_dual_lshrrev_b32 v0, 16, v48
	v_mov_b32_e32 v2, 0
	s_mov_b32 s7, exec_lo
	v_and_b32_e32 v3, 0xff, v0
	s_delay_alu instid0(VALU_DEP_1)
	v_cmpx_ne_u16_e32 0, v3
	s_cbranch_execz .LBB6_4987
; %bb.4978:                             ;   in Loop: Header=BB6_4897 Depth=2
	v_bfrev_b32_e32 v2, 1
	s_mov_b32 s24, exec_lo
	v_cmpx_ne_u16_e32 0x80, v3
	s_cbranch_execz .LBB6_4986
; %bb.4979:                             ;   in Loop: Header=BB6_4897 Depth=2
	v_and_b32_e32 v2, 0x7c0000, v48
	v_bfe_u32 v3, v48, 16, 2
	s_delay_alu instid0(VALU_DEP_2) | instskip(SKIP_1) | instid1(SALU_CYCLE_1)
	v_cmp_ne_u32_e32 vcc_lo, 0x7c0000, v2
                                        ; implicit-def: $vgpr2
	s_and_saveexec_b32 s25, vcc_lo
	s_xor_b32 s25, exec_lo, s25
	s_cbranch_execz .LBB6_4983
; %bb.4980:                             ;   in Loop: Header=BB6_4897 Depth=2
	v_bfe_u32 v2, v48, 18, 5
	s_mov_b32 s26, exec_lo
	s_delay_alu instid0(VALU_DEP_1)
	v_cmpx_eq_u32_e32 0, v2
; %bb.4981:                             ;   in Loop: Header=BB6_4897 Depth=2
	v_clz_i32_u32_e32 v2, v3
	s_delay_alu instid0(VALU_DEP_1) | instskip(NEXT) | instid1(VALU_DEP_1)
	v_min_u32_e32 v2, 32, v2
	v_subrev_nc_u32_e32 v3, 29, v2
	v_sub_nc_u32_e32 v2, 30, v2
	s_delay_alu instid0(VALU_DEP_2) | instskip(NEXT) | instid1(VALU_DEP_1)
	v_lshlrev_b64_e32 v[30:31], v3, v[0:1]
	v_and_b32_e32 v3, 3, v30
; %bb.4982:                             ;   in Loop: Header=BB6_4897 Depth=2
	s_or_b32 exec_lo, exec_lo, s26
	v_lshlrev_b32_e32 v0, 24, v0
	s_delay_alu instid0(VALU_DEP_1) | instskip(NEXT) | instid1(VALU_DEP_1)
	v_and_b32_e32 v0, 0x80000000, v0
	v_lshl_add_u32 v0, v2, 23, v0
	s_delay_alu instid0(VALU_DEP_1) | instskip(NEXT) | instid1(VALU_DEP_1)
	v_lshl_or_b32 v0, v3, 21, v0
                                        ; implicit-def: $vgpr3
	v_add_nc_u32_e32 v2, 0x38000000, v0
                                        ; implicit-def: $vgpr0
.LBB6_4983:                             ;   in Loop: Header=BB6_4897 Depth=2
	s_and_not1_saveexec_b32 s25, s25
; %bb.4984:                             ;   in Loop: Header=BB6_4897 Depth=2
	v_bfe_i32 v0, v0, 0, 8
	s_delay_alu instid0(VALU_DEP_1) | instskip(SKIP_2) | instid1(VALU_DEP_2)
	v_cmp_lt_i16_e32 vcc_lo, -1, v0
	v_cndmask_b32_e32 v0, 0xff800000, v105, vcc_lo
	v_cmp_eq_u32_e32 vcc_lo, 0, v3
	v_cndmask_b32_e32 v2, 0x7f800001, v0, vcc_lo
; %bb.4985:                             ;   in Loop: Header=BB6_4897 Depth=2
	s_or_b32 exec_lo, exec_lo, s25
.LBB6_4986:                             ;   in Loop: Header=BB6_4897 Depth=2
	s_delay_alu instid0(SALU_CYCLE_1)
	s_or_b32 exec_lo, exec_lo, s24
.LBB6_4987:                             ;   in Loop: Header=BB6_4897 Depth=2
	s_delay_alu instid0(SALU_CYCLE_1) | instskip(SKIP_2) | instid1(VALU_DEP_1)
	s_or_b32 exec_lo, exec_lo, s7
	v_lshrrev_b32_e32 v0, 16, v36
	s_mov_b32 s7, exec_lo
	v_and_b32_e32 v3, 0xff, v0
	s_delay_alu instid0(VALU_DEP_1)
	v_cmpx_ne_u16_e32 0, v3
	s_cbranch_execz .LBB6_4997
; %bb.4988:                             ;   in Loop: Header=BB6_4897 Depth=2
	v_bfrev_b32_e32 v1, 1
	s_mov_b32 s24, exec_lo
	v_cmpx_ne_u16_e32 0x80, v3
	s_cbranch_execz .LBB6_4996
; %bb.4989:                             ;   in Loop: Header=BB6_4897 Depth=2
	v_and_b32_e32 v1, 0x7c0000, v36
	v_bfe_u32 v3, v36, 16, 2
	s_delay_alu instid0(VALU_DEP_2) | instskip(SKIP_1) | instid1(SALU_CYCLE_1)
	v_cmp_ne_u32_e32 vcc_lo, 0x7c0000, v1
                                        ; implicit-def: $vgpr1
	s_and_saveexec_b32 s25, vcc_lo
	s_xor_b32 s25, exec_lo, s25
	s_cbranch_execz .LBB6_4993
; %bb.4990:                             ;   in Loop: Header=BB6_4897 Depth=2
	v_bfe_u32 v1, v36, 18, 5
	s_mov_b32 s26, exec_lo
	s_delay_alu instid0(VALU_DEP_1)
	v_cmpx_eq_u32_e32 0, v1
; %bb.4991:                             ;   in Loop: Header=BB6_4897 Depth=2
	v_clz_i32_u32_e32 v1, v3
	s_delay_alu instid0(VALU_DEP_1) | instskip(NEXT) | instid1(VALU_DEP_1)
	v_min_u32_e32 v1, 32, v1
	v_subrev_nc_u32_e32 v3, 29, v1
	s_delay_alu instid0(VALU_DEP_1) | instskip(NEXT) | instid1(VALU_DEP_1)
	v_lshlrev_b64_e32 v[30:31], v3, v[0:1]
	v_dual_sub_nc_u32 v1, 30, v1 :: v_dual_bitop2_b32 v3, 3, v30 bitop3:0x40
; %bb.4992:                             ;   in Loop: Header=BB6_4897 Depth=2
	s_or_b32 exec_lo, exec_lo, s26
	v_lshlrev_b32_e32 v0, 24, v0
	s_delay_alu instid0(VALU_DEP_1) | instskip(NEXT) | instid1(VALU_DEP_1)
	v_and_b32_e32 v0, 0x80000000, v0
	v_lshl_add_u32 v0, v1, 23, v0
	s_delay_alu instid0(VALU_DEP_1) | instskip(NEXT) | instid1(VALU_DEP_1)
	v_lshl_or_b32 v0, v3, 21, v0
                                        ; implicit-def: $vgpr3
	v_add_nc_u32_e32 v1, 0x38000000, v0
                                        ; implicit-def: $vgpr0
.LBB6_4993:                             ;   in Loop: Header=BB6_4897 Depth=2
	s_and_not1_saveexec_b32 s25, s25
; %bb.4994:                             ;   in Loop: Header=BB6_4897 Depth=2
	v_bfe_i32 v0, v0, 0, 8
	s_delay_alu instid0(VALU_DEP_1) | instskip(SKIP_2) | instid1(VALU_DEP_2)
	v_cmp_lt_i16_e32 vcc_lo, -1, v0
	v_cndmask_b32_e32 v0, 0xff800000, v105, vcc_lo
	v_cmp_eq_u32_e32 vcc_lo, 0, v3
	v_cndmask_b32_e32 v1, 0x7f800001, v0, vcc_lo
; %bb.4995:                             ;   in Loop: Header=BB6_4897 Depth=2
	s_or_b32 exec_lo, exec_lo, s25
.LBB6_4996:                             ;   in Loop: Header=BB6_4897 Depth=2
	s_delay_alu instid0(SALU_CYCLE_1)
	s_or_b32 exec_lo, exec_lo, s24
.LBB6_4997:                             ;   in Loop: Header=BB6_4897 Depth=2
	s_delay_alu instid0(SALU_CYCLE_1) | instskip(NEXT) | instid1(VALU_DEP_1)
	s_or_b32 exec_lo, exec_lo, s7
	v_dual_mul_f32 v0, v2, v1 :: v_dual_mov_b32 v3, v5
                                        ; implicit-def: $vgpr9
	s_mov_b32 s7, exec_lo
	s_delay_alu instid0(VALU_DEP_1) | instskip(SKIP_2) | instid1(VALU_DEP_3)
	v_and_b32_e32 v2, 0x7f800000, v0
	v_and_b32_e32 v4, 0x7fffff, v0
	v_lshrrev_b32_e32 v1, 24, v0
	v_cmpx_ne_u64_e32 0x7f800000, v[2:3]
	s_xor_b32 s24, exec_lo, s7
	s_cbranch_execz .LBB6_5011
; %bb.4998:                             ;   in Loop: Header=BB6_4897 Depth=2
	v_and_b32_e32 v2, 0x7fffffff, v0
	v_mov_b32_e32 v3, v5
	v_and_b32_e32 v30, 0x80, v1
                                        ; implicit-def: $vgpr9
	s_mov_b32 s7, exec_lo
	s_delay_alu instid0(VALU_DEP_2)
	v_cmpx_gt_u64_e32 0x47600001, v[2:3]
	s_xor_b32 s25, exec_lo, s7
	s_cbranch_execz .LBB6_5008
; %bb.4999:                             ;   in Loop: Header=BB6_4897 Depth=2
	v_mov_b32_e32 v9, 0
	s_mov_b32 s26, exec_lo
	v_cmpx_ne_u32_e32 0, v0
	s_cbranch_execz .LBB6_5007
; %bb.5000:                             ;   in Loop: Header=BB6_4897 Depth=2
	v_bfe_u32 v9, v0, 23, 8
	v_or_b32_e32 v2, 0x800000, v4
	s_mov_b32 s27, exec_lo
	s_delay_alu instid0(VALU_DEP_2) | instskip(SKIP_1) | instid1(VALU_DEP_2)
	v_dual_mov_b32 v3, v5 :: v_dual_sub_nc_u32 v0, 0x71, v9
	v_cmp_gt_u32_e32 vcc_lo, 0x72, v9
	v_cndmask_b32_e32 v0, 0, v0, vcc_lo
	v_cmp_eq_u32_e32 vcc_lo, 0, v9
	s_delay_alu instid0(VALU_DEP_2) | instskip(NEXT) | instid1(VALU_DEP_1)
	v_cndmask_b32_e64 v31, v0, 0x70, vcc_lo
	v_dual_cndmask_b32 v2, v2, v4, vcc_lo :: v_dual_add_nc_u32 v0, 21, v31
	v_add_nc_u32_e32 v52, 20, v31
	s_delay_alu instid0(VALU_DEP_2) | instskip(NEXT) | instid1(VALU_DEP_2)
	v_lshlrev_b64_e64 v[0:1], v0, -1
	v_lshlrev_b64_e64 v[52:53], v52, 1
	s_delay_alu instid0(VALU_DEP_2) | instskip(NEXT) | instid1(VALU_DEP_3)
	v_bfi_b32 v55, v1, 0, 0
	v_bfi_b32 v54, v0, 0, v2
	v_lshrrev_b64 v[0:1], v31, v[2:3]
	s_delay_alu instid0(VALU_DEP_1) | instskip(NEXT) | instid1(VALU_DEP_3)
	v_mov_b64_e32 v[2:3], v[0:1]
	v_cmpx_eq_u64_e64 v[54:55], v[52:53]
; %bb.5001:                             ;   in Loop: Header=BB6_4897 Depth=2
	v_bfe_u32 v2, v0, 21, 1
	v_mov_b32_e32 v3, v5
	s_delay_alu instid0(VALU_DEP_1) | instskip(NEXT) | instid1(VALU_DEP_1)
	v_add_nc_u64_e32 v[2:3], v[0:1], v[2:3]
	v_add_nc_u64_e32 v[2:3], -1, v[2:3]
; %bb.5002:                             ;   in Loop: Header=BB6_4897 Depth=2
	s_or_b32 exec_lo, exec_lo, s27
	v_add_nc_u32_e32 v1, 0xffffff81, v9
	v_lshrrev_b32_e32 v3, 23, v0
	s_mov_b32 s7, exec_lo
	s_delay_alu instid0(VALU_DEP_2) | instskip(NEXT) | instid1(VALU_DEP_1)
	v_cndmask_b32_e64 v1, v1, 0xffffff82, vcc_lo
	v_add3_u32 v3, v31, v1, v3
	v_and_b32_e32 v1, 0x1fffff, v2
                                        ; implicit-def: $vgpr2
	s_delay_alu instid0(VALU_DEP_1) | instskip(NEXT) | instid1(VALU_DEP_1)
	v_dual_add_nc_u32 v9, 14, v3 :: v_dual_add_nc_u32 v4, v1, v0
                                        ; implicit-def: $vgpr0_vgpr1
	v_cmpx_ne_u32_e32 0, v9
	s_xor_b32 s7, exec_lo, s7
; %bb.5003:                             ;   in Loop: Header=BB6_4897 Depth=2
	s_delay_alu instid0(VALU_DEP_2) | instskip(SKIP_1) | instid1(VALU_DEP_1)
	v_cmp_lt_u64_e32 vcc_lo, 0xffffff, v[4:5]
	v_add_nc_u32_e32 v0, 15, v3
	v_cndmask_b32_e32 v2, v9, v0, vcc_lo
	v_cndmask_b32_e64 v0, 0, 1, vcc_lo
	s_delay_alu instid0(VALU_DEP_1)
	v_lshrrev_b64 v[0:1], v0, v[4:5]
; %bb.5004:                             ;   in Loop: Header=BB6_4897 Depth=2
	s_and_not1_saveexec_b32 s7, s7
; %bb.5005:                             ;   in Loop: Header=BB6_4897 Depth=2
	v_mov_b64_e32 v[0:1], v[4:5]
	v_bfe_u32 v2, v4, 23, 1
; %bb.5006:                             ;   in Loop: Header=BB6_4897 Depth=2
	s_or_b32 exec_lo, exec_lo, s7
	s_delay_alu instid0(VALU_DEP_2) | instskip(NEXT) | instid1(VALU_DEP_2)
	v_lshrrev_b64 v[0:1], 21, v[0:1]
	v_cmp_gt_i32_e32 vcc_lo, 32, v2
	v_min_i32_e32 v3, 31, v2
	v_cmp_eq_u32_e64 s7, 0, v2
	s_delay_alu instid0(VALU_DEP_2) | instskip(SKIP_1) | instid1(VALU_DEP_2)
	v_dual_cndmask_b32 v1, 0, v1, vcc_lo :: v_dual_lshlrev_b32 v3, 2, v3
	v_cndmask_b32_e32 v0, 3, v0, vcc_lo
	v_and_b32_e32 v3, 0xfc, v3
	s_delay_alu instid0(VALU_DEP_2) | instskip(NEXT) | instid1(VALU_DEP_2)
	v_cmp_eq_u64_e32 vcc_lo, 0, v[0:1]
	v_and_or_b32 v0, v0, 3, v3
	s_and_b32 s7, s7, vcc_lo
	s_delay_alu instid0(VALU_DEP_1) | instid1(SALU_CYCLE_1)
	v_cndmask_b32_e64 v0, v0, 0, s7
	s_delay_alu instid0(VALU_DEP_1)
	v_or_b32_e32 v9, v0, v30
.LBB6_5007:                             ;   in Loop: Header=BB6_4897 Depth=2
	s_or_b32 exec_lo, exec_lo, s26
                                        ; implicit-def: $vgpr30
.LBB6_5008:                             ;   in Loop: Header=BB6_4897 Depth=2
	s_and_not1_saveexec_b32 s7, s25
; %bb.5009:                             ;   in Loop: Header=BB6_4897 Depth=2
	v_or_b32_e32 v9, 0x7b, v30
; %bb.5010:                             ;   in Loop: Header=BB6_4897 Depth=2
	s_or_b32 exec_lo, exec_lo, s7
                                        ; implicit-def: $vgpr0
                                        ; implicit-def: $vgpr1
.LBB6_5011:                             ;   in Loop: Header=BB6_4897 Depth=2
	s_and_not1_saveexec_b32 s7, s24
	s_cbranch_execz .LBB6_5017
; %bb.5012:                             ;   in Loop: Header=BB6_4897 Depth=2
	s_mov_b32 s24, exec_lo
                                        ; implicit-def: $vgpr9
	v_cmpx_ne_u64_e32 0, v[4:5]
	s_xor_b32 s24, exec_lo, s24
; %bb.5013:                             ;   in Loop: Header=BB6_4897 Depth=2
	v_or_b32_e32 v9, 0x7f, v1
                                        ; implicit-def: $vgpr0
; %bb.5014:                             ;   in Loop: Header=BB6_4897 Depth=2
	s_and_not1_saveexec_b32 s24, s24
; %bb.5015:                             ;   in Loop: Header=BB6_4897 Depth=2
	v_cmp_lt_i32_e32 vcc_lo, -1, v0
	v_cndmask_b32_e32 v9, 0xfc, v104, vcc_lo
; %bb.5016:                             ;   in Loop: Header=BB6_4897 Depth=2
	s_or_b32 exec_lo, exec_lo, s24
.LBB6_5017:                             ;   in Loop: Header=BB6_4897 Depth=2
	s_delay_alu instid0(SALU_CYCLE_1)
	s_or_b32 exec_lo, exec_lo, s7
	v_dual_mov_b32 v1, 0 :: v_dual_mov_b32 v2, 0
	s_mov_b32 s7, exec_lo
	v_cmpx_lt_u32_e32 0xffffff, v48
	s_cbranch_execz .LBB6_5027
; %bb.5018:                             ;   in Loop: Header=BB6_4897 Depth=2
	v_lshrrev_b32_e32 v0, 24, v48
	v_bfrev_b32_e32 v2, 1
	s_mov_b32 s24, exec_lo
	s_delay_alu instid0(VALU_DEP_2)
	v_cmpx_ne_u32_e32 0x80, v0
	s_cbranch_execz .LBB6_5026
; %bb.5019:                             ;   in Loop: Header=BB6_4897 Depth=2
	v_and_b32_e32 v2, 0x7c000000, v48
	v_bfe_u32 v3, v48, 24, 2
	s_delay_alu instid0(VALU_DEP_2) | instskip(SKIP_1) | instid1(SALU_CYCLE_1)
	v_cmp_ne_u32_e32 vcc_lo, 0x7c000000, v2
                                        ; implicit-def: $vgpr2
	s_and_saveexec_b32 s25, vcc_lo
	s_xor_b32 s25, exec_lo, s25
	s_cbranch_execz .LBB6_5023
; %bb.5020:                             ;   in Loop: Header=BB6_4897 Depth=2
	v_bfe_u32 v2, v48, 26, 5
	s_mov_b32 s26, exec_lo
	s_delay_alu instid0(VALU_DEP_1)
	v_cmpx_eq_u32_e32 0, v2
; %bb.5021:                             ;   in Loop: Header=BB6_4897 Depth=2
	v_clz_i32_u32_e32 v2, v3
	s_delay_alu instid0(VALU_DEP_1) | instskip(NEXT) | instid1(VALU_DEP_1)
	v_min_u32_e32 v2, 32, v2
	v_subrev_nc_u32_e32 v3, 29, v2
	v_sub_nc_u32_e32 v2, 30, v2
	s_delay_alu instid0(VALU_DEP_2) | instskip(NEXT) | instid1(VALU_DEP_1)
	v_lshlrev_b64_e32 v[30:31], v3, v[0:1]
	v_and_b32_e32 v3, 3, v30
; %bb.5022:                             ;   in Loop: Header=BB6_4897 Depth=2
	s_or_b32 exec_lo, exec_lo, s26
	v_and_b32_e32 v0, 0x80000000, v48
	s_delay_alu instid0(VALU_DEP_1) | instskip(NEXT) | instid1(VALU_DEP_1)
	v_lshl_add_u32 v0, v2, 23, v0
	v_lshl_or_b32 v0, v3, 21, v0
                                        ; implicit-def: $vgpr3
	s_delay_alu instid0(VALU_DEP_1)
	v_add_nc_u32_e32 v2, 0x38000000, v0
.LBB6_5023:                             ;   in Loop: Header=BB6_4897 Depth=2
	s_and_not1_saveexec_b32 s25, s25
; %bb.5024:                             ;   in Loop: Header=BB6_4897 Depth=2
	v_cmp_lt_i32_e32 vcc_lo, -1, v48
	v_cndmask_b32_e32 v0, 0xff800000, v105, vcc_lo
	v_cmp_eq_u32_e32 vcc_lo, 0, v3
	s_delay_alu instid0(VALU_DEP_2)
	v_cndmask_b32_e32 v2, 0x7f800001, v0, vcc_lo
; %bb.5025:                             ;   in Loop: Header=BB6_4897 Depth=2
	s_or_b32 exec_lo, exec_lo, s25
.LBB6_5026:                             ;   in Loop: Header=BB6_4897 Depth=2
	s_delay_alu instid0(SALU_CYCLE_1)
	s_or_b32 exec_lo, exec_lo, s24
.LBB6_5027:                             ;   in Loop: Header=BB6_4897 Depth=2
	s_delay_alu instid0(SALU_CYCLE_1) | instskip(NEXT) | instid1(SALU_CYCLE_1)
	s_or_b32 exec_lo, exec_lo, s7
	s_mov_b32 s7, exec_lo
	v_cmpx_lt_u32_e32 0xffffff, v36
	s_cbranch_execz .LBB6_5037
; %bb.5028:                             ;   in Loop: Header=BB6_4897 Depth=2
	v_lshrrev_b32_e32 v0, 24, v36
	v_bfrev_b32_e32 v1, 1
	s_mov_b32 s24, exec_lo
	s_delay_alu instid0(VALU_DEP_2)
	v_cmpx_ne_u32_e32 0x80, v0
	s_cbranch_execz .LBB6_5036
; %bb.5029:                             ;   in Loop: Header=BB6_4897 Depth=2
	v_and_b32_e32 v1, 0x7c000000, v36
	v_bfe_u32 v3, v36, 24, 2
	s_delay_alu instid0(VALU_DEP_2) | instskip(SKIP_1) | instid1(SALU_CYCLE_1)
	v_cmp_ne_u32_e32 vcc_lo, 0x7c000000, v1
                                        ; implicit-def: $vgpr1
	s_and_saveexec_b32 s25, vcc_lo
	s_xor_b32 s25, exec_lo, s25
	s_cbranch_execz .LBB6_5033
; %bb.5030:                             ;   in Loop: Header=BB6_4897 Depth=2
	v_bfe_u32 v1, v36, 26, 5
	s_mov_b32 s26, exec_lo
	s_delay_alu instid0(VALU_DEP_1)
	v_cmpx_eq_u32_e32 0, v1
; %bb.5031:                             ;   in Loop: Header=BB6_4897 Depth=2
	v_clz_i32_u32_e32 v1, v3
	s_delay_alu instid0(VALU_DEP_1) | instskip(NEXT) | instid1(VALU_DEP_1)
	v_min_u32_e32 v3, 32, v1
	v_subrev_nc_u32_e32 v1, 29, v3
	s_delay_alu instid0(VALU_DEP_1) | instskip(NEXT) | instid1(VALU_DEP_1)
	v_lshlrev_b64_e32 v[0:1], v1, v[0:1]
	v_dual_sub_nc_u32 v1, 30, v3 :: v_dual_bitop2_b32 v3, 3, v0 bitop3:0x40
; %bb.5032:                             ;   in Loop: Header=BB6_4897 Depth=2
	s_or_b32 exec_lo, exec_lo, s26
	v_and_b32_e32 v0, 0x80000000, v36
	s_delay_alu instid0(VALU_DEP_1) | instskip(NEXT) | instid1(VALU_DEP_1)
	v_lshl_add_u32 v0, v1, 23, v0
	v_lshl_or_b32 v0, v3, 21, v0
                                        ; implicit-def: $vgpr3
	s_delay_alu instid0(VALU_DEP_1)
	v_add_nc_u32_e32 v1, 0x38000000, v0
.LBB6_5033:                             ;   in Loop: Header=BB6_4897 Depth=2
	s_and_not1_saveexec_b32 s25, s25
; %bb.5034:                             ;   in Loop: Header=BB6_4897 Depth=2
	v_cmp_lt_i32_e32 vcc_lo, -1, v36
	v_cndmask_b32_e32 v0, 0xff800000, v105, vcc_lo
	v_cmp_eq_u32_e32 vcc_lo, 0, v3
	s_delay_alu instid0(VALU_DEP_2)
	v_cndmask_b32_e32 v1, 0x7f800001, v0, vcc_lo
; %bb.5035:                             ;   in Loop: Header=BB6_4897 Depth=2
	s_or_b32 exec_lo, exec_lo, s25
.LBB6_5036:                             ;   in Loop: Header=BB6_4897 Depth=2
	s_delay_alu instid0(SALU_CYCLE_1)
	s_or_b32 exec_lo, exec_lo, s24
.LBB6_5037:                             ;   in Loop: Header=BB6_4897 Depth=2
	s_delay_alu instid0(SALU_CYCLE_1) | instskip(NEXT) | instid1(VALU_DEP_1)
	s_or_b32 exec_lo, exec_lo, s7
	v_dual_mul_f32 v0, v2, v1 :: v_dual_mov_b32 v3, v5
                                        ; implicit-def: $vgpr30
	s_mov_b32 s7, exec_lo
	s_delay_alu instid0(VALU_DEP_1) | instskip(SKIP_2) | instid1(VALU_DEP_3)
	v_and_b32_e32 v2, 0x7f800000, v0
	v_and_b32_e32 v4, 0x7fffff, v0
	v_lshrrev_b32_e32 v1, 24, v0
	v_cmpx_ne_u64_e32 0x7f800000, v[2:3]
	s_xor_b32 s24, exec_lo, s7
	s_cbranch_execz .LBB6_5051
; %bb.5038:                             ;   in Loop: Header=BB6_4897 Depth=2
	v_and_b32_e32 v2, 0x7fffffff, v0
	v_mov_b32_e32 v3, v5
	v_and_b32_e32 v31, 0x80, v1
                                        ; implicit-def: $vgpr30
	s_mov_b32 s7, exec_lo
	s_delay_alu instid0(VALU_DEP_2)
	v_cmpx_gt_u64_e32 0x47600001, v[2:3]
	s_xor_b32 s25, exec_lo, s7
	s_cbranch_execz .LBB6_5048
; %bb.5039:                             ;   in Loop: Header=BB6_4897 Depth=2
	v_mov_b32_e32 v30, 0
	s_mov_b32 s26, exec_lo
	v_cmpx_ne_u32_e32 0, v0
	s_cbranch_execz .LBB6_5047
; %bb.5040:                             ;   in Loop: Header=BB6_4897 Depth=2
	v_bfe_u32 v30, v0, 23, 8
	v_or_b32_e32 v2, 0x800000, v4
	s_mov_b32 s27, exec_lo
	s_delay_alu instid0(VALU_DEP_2) | instskip(SKIP_1) | instid1(VALU_DEP_2)
	v_dual_mov_b32 v3, v5 :: v_dual_sub_nc_u32 v0, 0x71, v30
	v_cmp_gt_u32_e32 vcc_lo, 0x72, v30
	v_cndmask_b32_e32 v0, 0, v0, vcc_lo
	v_cmp_eq_u32_e32 vcc_lo, 0, v30
	s_delay_alu instid0(VALU_DEP_2) | instskip(SKIP_1) | instid1(VALU_DEP_2)
	v_cndmask_b32_e64 v52, v0, 0x70, vcc_lo
	v_cndmask_b32_e32 v2, v2, v4, vcc_lo
	v_dual_add_nc_u32 v0, 21, v52 :: v_dual_add_nc_u32 v53, 20, v52
	s_delay_alu instid0(VALU_DEP_1) | instskip(NEXT) | instid1(VALU_DEP_2)
	v_lshlrev_b64_e64 v[0:1], v0, -1
	v_lshlrev_b64_e64 v[54:55], v53, 1
	s_delay_alu instid0(VALU_DEP_2) | instskip(NEXT) | instid1(VALU_DEP_3)
	v_bfi_b32 v65, v1, 0, 0
	v_bfi_b32 v64, v0, 0, v2
	v_lshrrev_b64 v[0:1], v52, v[2:3]
	s_delay_alu instid0(VALU_DEP_1) | instskip(NEXT) | instid1(VALU_DEP_3)
	v_mov_b64_e32 v[2:3], v[0:1]
	v_cmpx_eq_u64_e64 v[64:65], v[54:55]
; %bb.5041:                             ;   in Loop: Header=BB6_4897 Depth=2
	v_bfe_u32 v2, v0, 21, 1
	v_mov_b32_e32 v3, v5
	s_delay_alu instid0(VALU_DEP_1) | instskip(NEXT) | instid1(VALU_DEP_1)
	v_add_nc_u64_e32 v[2:3], v[0:1], v[2:3]
	v_add_nc_u64_e32 v[2:3], -1, v[2:3]
; %bb.5042:                             ;   in Loop: Header=BB6_4897 Depth=2
	s_or_b32 exec_lo, exec_lo, s27
	v_add_nc_u32_e32 v1, 0xffffff81, v30
	v_lshrrev_b32_e32 v3, 23, v0
	s_mov_b32 s7, exec_lo
	s_delay_alu instid0(VALU_DEP_2) | instskip(NEXT) | instid1(VALU_DEP_1)
	v_cndmask_b32_e64 v1, v1, 0xffffff82, vcc_lo
	v_add3_u32 v3, v52, v1, v3
	v_and_b32_e32 v1, 0x1fffff, v2
                                        ; implicit-def: $vgpr2
	s_delay_alu instid0(VALU_DEP_1) | instskip(NEXT) | instid1(VALU_DEP_1)
	v_dual_add_nc_u32 v30, 14, v3 :: v_dual_add_nc_u32 v4, v1, v0
                                        ; implicit-def: $vgpr0_vgpr1
	v_cmpx_ne_u32_e32 0, v30
	s_xor_b32 s7, exec_lo, s7
; %bb.5043:                             ;   in Loop: Header=BB6_4897 Depth=2
	s_delay_alu instid0(VALU_DEP_2) | instskip(SKIP_1) | instid1(VALU_DEP_1)
	v_cmp_lt_u64_e32 vcc_lo, 0xffffff, v[4:5]
	v_add_nc_u32_e32 v0, 15, v3
	v_cndmask_b32_e32 v2, v30, v0, vcc_lo
	v_cndmask_b32_e64 v0, 0, 1, vcc_lo
	s_delay_alu instid0(VALU_DEP_1)
	v_lshrrev_b64 v[0:1], v0, v[4:5]
; %bb.5044:                             ;   in Loop: Header=BB6_4897 Depth=2
	s_and_not1_saveexec_b32 s7, s7
; %bb.5045:                             ;   in Loop: Header=BB6_4897 Depth=2
	v_mov_b64_e32 v[0:1], v[4:5]
	v_bfe_u32 v2, v4, 23, 1
; %bb.5046:                             ;   in Loop: Header=BB6_4897 Depth=2
	s_or_b32 exec_lo, exec_lo, s7
	s_delay_alu instid0(VALU_DEP_2) | instskip(NEXT) | instid1(VALU_DEP_2)
	v_lshrrev_b64 v[0:1], 21, v[0:1]
	v_cmp_gt_i32_e32 vcc_lo, 32, v2
	v_min_i32_e32 v3, 31, v2
	v_cmp_eq_u32_e64 s7, 0, v2
	s_delay_alu instid0(VALU_DEP_2) | instskip(SKIP_1) | instid1(VALU_DEP_2)
	v_dual_cndmask_b32 v1, 0, v1, vcc_lo :: v_dual_lshlrev_b32 v3, 2, v3
	v_cndmask_b32_e32 v0, 3, v0, vcc_lo
	v_and_b32_e32 v3, 0xfc, v3
	s_delay_alu instid0(VALU_DEP_2) | instskip(NEXT) | instid1(VALU_DEP_2)
	v_cmp_eq_u64_e32 vcc_lo, 0, v[0:1]
	v_and_or_b32 v0, v0, 3, v3
	s_and_b32 s7, s7, vcc_lo
	s_delay_alu instid0(VALU_DEP_1) | instid1(SALU_CYCLE_1)
	v_cndmask_b32_e64 v0, v0, 0, s7
	s_delay_alu instid0(VALU_DEP_1)
	v_or_b32_e32 v30, v0, v31
.LBB6_5047:                             ;   in Loop: Header=BB6_4897 Depth=2
	s_or_b32 exec_lo, exec_lo, s26
                                        ; implicit-def: $vgpr31
.LBB6_5048:                             ;   in Loop: Header=BB6_4897 Depth=2
	s_and_not1_saveexec_b32 s7, s25
; %bb.5049:                             ;   in Loop: Header=BB6_4897 Depth=2
	v_or_b32_e32 v30, 0x7b, v31
; %bb.5050:                             ;   in Loop: Header=BB6_4897 Depth=2
	s_or_b32 exec_lo, exec_lo, s7
                                        ; implicit-def: $vgpr0
                                        ; implicit-def: $vgpr1
.LBB6_5051:                             ;   in Loop: Header=BB6_4897 Depth=2
	s_and_not1_saveexec_b32 s7, s24
	s_cbranch_execz .LBB6_5057
; %bb.5052:                             ;   in Loop: Header=BB6_4897 Depth=2
	s_mov_b32 s24, exec_lo
                                        ; implicit-def: $vgpr30
	v_cmpx_ne_u64_e32 0, v[4:5]
	s_xor_b32 s24, exec_lo, s24
; %bb.5053:                             ;   in Loop: Header=BB6_4897 Depth=2
	v_or_b32_e32 v30, 0x7f, v1
                                        ; implicit-def: $vgpr0
; %bb.5054:                             ;   in Loop: Header=BB6_4897 Depth=2
	s_and_not1_saveexec_b32 s24, s24
; %bb.5055:                             ;   in Loop: Header=BB6_4897 Depth=2
	v_cmp_lt_i32_e32 vcc_lo, -1, v0
	v_cndmask_b32_e32 v30, 0xfc, v104, vcc_lo
; %bb.5056:                             ;   in Loop: Header=BB6_4897 Depth=2
	s_or_b32 exec_lo, exec_lo, s24
.LBB6_5057:                             ;   in Loop: Header=BB6_4897 Depth=2
	s_delay_alu instid0(SALU_CYCLE_1) | instskip(SKIP_4) | instid1(VALU_DEP_3)
	s_or_b32 exec_lo, exec_lo, s7
	v_and_b32_e32 v2, 0xff, v49
	v_dual_mov_b32 v4, v49 :: v_dual_mov_b32 v1, 0
	v_mov_b32_e32 v0, 0
	s_mov_b32 s7, exec_lo
	v_cmpx_ne_u16_e32 0, v2
	s_cbranch_execz .LBB6_5067
; %bb.5058:                             ;   in Loop: Header=BB6_4897 Depth=2
	v_bfrev_b32_e32 v0, 1
	s_mov_b32 s24, exec_lo
	v_cmpx_ne_u16_e32 0x80, v2
	s_cbranch_execz .LBB6_5066
; %bb.5059:                             ;   in Loop: Header=BB6_4897 Depth=2
	v_and_b32_e32 v0, 0x7c, v49
	v_and_b32_e32 v2, 3, v49
	s_delay_alu instid0(VALU_DEP_2) | instskip(SKIP_1) | instid1(SALU_CYCLE_1)
	v_cmp_ne_u32_e32 vcc_lo, 0x7c, v0
                                        ; implicit-def: $vgpr0
	s_and_saveexec_b32 s25, vcc_lo
	s_xor_b32 s25, exec_lo, s25
	s_cbranch_execz .LBB6_5063
; %bb.5060:                             ;   in Loop: Header=BB6_4897 Depth=2
	v_bfe_u32 v0, v49, 2, 5
	s_mov_b32 s26, exec_lo
	s_delay_alu instid0(VALU_DEP_1)
	v_cmpx_eq_u32_e32 0, v0
; %bb.5061:                             ;   in Loop: Header=BB6_4897 Depth=2
	v_clz_i32_u32_e32 v0, v2
	s_delay_alu instid0(VALU_DEP_1) | instskip(NEXT) | instid1(VALU_DEP_1)
	v_min_u32_e32 v0, 32, v0
	v_subrev_nc_u32_e32 v2, 29, v0
	s_delay_alu instid0(VALU_DEP_1) | instskip(NEXT) | instid1(VALU_DEP_1)
	v_lshlrev_b64_e32 v[2:3], v2, v[4:5]
	v_dual_sub_nc_u32 v0, 30, v0 :: v_dual_bitop2_b32 v2, 3, v2 bitop3:0x40
; %bb.5062:                             ;   in Loop: Header=BB6_4897 Depth=2
	s_or_b32 exec_lo, exec_lo, s26
	v_lshlrev_b32_e32 v3, 24, v49
	s_delay_alu instid0(VALU_DEP_1) | instskip(NEXT) | instid1(VALU_DEP_1)
	v_and_b32_e32 v3, 0x80000000, v3
	v_lshl_add_u32 v0, v0, 23, v3
	s_delay_alu instid0(VALU_DEP_1) | instskip(NEXT) | instid1(VALU_DEP_1)
	v_lshl_or_b32 v0, v2, 21, v0
                                        ; implicit-def: $vgpr2
	v_add_nc_u32_e32 v0, 0x38000000, v0
.LBB6_5063:                             ;   in Loop: Header=BB6_4897 Depth=2
	s_and_not1_saveexec_b32 s25, s25
; %bb.5064:                             ;   in Loop: Header=BB6_4897 Depth=2
	v_bfe_i32 v0, v49, 0, 8
	s_delay_alu instid0(VALU_DEP_1) | instskip(SKIP_2) | instid1(VALU_DEP_2)
	v_cmp_lt_i16_e32 vcc_lo, -1, v0
	v_cndmask_b32_e32 v0, 0xff800000, v105, vcc_lo
	v_cmp_eq_u32_e32 vcc_lo, 0, v2
	v_cndmask_b32_e32 v0, 0x7f800001, v0, vcc_lo
; %bb.5065:                             ;   in Loop: Header=BB6_4897 Depth=2
	s_or_b32 exec_lo, exec_lo, s25
.LBB6_5066:                             ;   in Loop: Header=BB6_4897 Depth=2
	s_delay_alu instid0(SALU_CYCLE_1)
	s_or_b32 exec_lo, exec_lo, s24
.LBB6_5067:                             ;   in Loop: Header=BB6_4897 Depth=2
	s_delay_alu instid0(SALU_CYCLE_1) | instskip(SKIP_2) | instid1(VALU_DEP_1)
	s_or_b32 exec_lo, exec_lo, s7
	v_and_b32_e32 v2, 0xff, v37
	s_mov_b32 s7, exec_lo
	v_cmpx_ne_u16_e32 0, v2
	s_cbranch_execz .LBB6_5077
; %bb.5068:                             ;   in Loop: Header=BB6_4897 Depth=2
	v_bfrev_b32_e32 v1, 1
	s_mov_b32 s24, exec_lo
	v_cmpx_ne_u16_e32 0x80, v2
	s_cbranch_execz .LBB6_5076
; %bb.5069:                             ;   in Loop: Header=BB6_4897 Depth=2
	v_and_b32_e32 v1, 0x7c, v37
	v_and_b32_e32 v2, 3, v37
	s_delay_alu instid0(VALU_DEP_2) | instskip(SKIP_1) | instid1(SALU_CYCLE_1)
	v_cmp_ne_u32_e32 vcc_lo, 0x7c, v1
                                        ; implicit-def: $vgpr1
	s_and_saveexec_b32 s25, vcc_lo
	s_xor_b32 s25, exec_lo, s25
	s_cbranch_execz .LBB6_5073
; %bb.5070:                             ;   in Loop: Header=BB6_4897 Depth=2
	v_bfe_u32 v1, v37, 2, 5
	s_mov_b32 s26, exec_lo
	s_delay_alu instid0(VALU_DEP_1)
	v_cmpx_eq_u32_e32 0, v1
; %bb.5071:                             ;   in Loop: Header=BB6_4897 Depth=2
	v_clz_i32_u32_e32 v1, v2
	v_dual_mov_b32 v2, v37 :: v_dual_mov_b32 v3, v5
	s_delay_alu instid0(VALU_DEP_2) | instskip(NEXT) | instid1(VALU_DEP_1)
	v_min_u32_e32 v1, 32, v1
	v_subrev_nc_u32_e32 v31, 29, v1
	s_delay_alu instid0(VALU_DEP_1) | instskip(NEXT) | instid1(VALU_DEP_1)
	v_lshlrev_b64_e32 v[2:3], v31, v[2:3]
	v_dual_sub_nc_u32 v1, 30, v1 :: v_dual_bitop2_b32 v2, 3, v2 bitop3:0x40
; %bb.5072:                             ;   in Loop: Header=BB6_4897 Depth=2
	s_or_b32 exec_lo, exec_lo, s26
	v_lshlrev_b32_e32 v3, 24, v37
	s_delay_alu instid0(VALU_DEP_1) | instskip(NEXT) | instid1(VALU_DEP_1)
	v_and_b32_e32 v3, 0x80000000, v3
	v_lshl_add_u32 v1, v1, 23, v3
	s_delay_alu instid0(VALU_DEP_1) | instskip(NEXT) | instid1(VALU_DEP_1)
	v_lshl_or_b32 v1, v2, 21, v1
                                        ; implicit-def: $vgpr2
	v_add_nc_u32_e32 v1, 0x38000000, v1
.LBB6_5073:                             ;   in Loop: Header=BB6_4897 Depth=2
	s_and_not1_saveexec_b32 s25, s25
; %bb.5074:                             ;   in Loop: Header=BB6_4897 Depth=2
	v_bfe_i32 v1, v37, 0, 8
	s_delay_alu instid0(VALU_DEP_1) | instskip(SKIP_2) | instid1(VALU_DEP_2)
	v_cmp_lt_i16_e32 vcc_lo, -1, v1
	v_cndmask_b32_e32 v1, 0xff800000, v105, vcc_lo
	v_cmp_eq_u32_e32 vcc_lo, 0, v2
	v_cndmask_b32_e32 v1, 0x7f800001, v1, vcc_lo
; %bb.5075:                             ;   in Loop: Header=BB6_4897 Depth=2
	s_or_b32 exec_lo, exec_lo, s25
.LBB6_5076:                             ;   in Loop: Header=BB6_4897 Depth=2
	s_delay_alu instid0(SALU_CYCLE_1)
	s_or_b32 exec_lo, exec_lo, s24
.LBB6_5077:                             ;   in Loop: Header=BB6_4897 Depth=2
	s_delay_alu instid0(SALU_CYCLE_1) | instskip(NEXT) | instid1(VALU_DEP_1)
	s_or_b32 exec_lo, exec_lo, s7
	v_dual_mul_f32 v2, v0, v1 :: v_dual_mov_b32 v53, v5
	v_mov_b32_e32 v1, v5
                                        ; implicit-def: $vgpr31
	s_mov_b32 s7, exec_lo
	s_delay_alu instid0(VALU_DEP_2) | instskip(SKIP_2) | instid1(VALU_DEP_3)
	v_and_b32_e32 v52, 0x7f800000, v2
	v_and_b32_e32 v0, 0x7fffff, v2
	v_lshrrev_b32_e32 v3, 24, v2
	v_cmpx_ne_u64_e32 0x7f800000, v[52:53]
	s_xor_b32 s24, exec_lo, s7
	s_cbranch_execz .LBB6_5091
; %bb.5078:                             ;   in Loop: Header=BB6_4897 Depth=2
	v_and_b32_e32 v52, 0x7fffffff, v2
	v_mov_b32_e32 v53, v5
                                        ; implicit-def: $vgpr31
	s_delay_alu instid0(VALU_DEP_1) | instskip(SKIP_2) | instid1(SALU_CYCLE_1)
	v_cmp_gt_u64_e32 vcc_lo, 0x47600001, v[52:53]
	v_and_b32_e32 v52, 0x80, v3
	s_and_saveexec_b32 s7, vcc_lo
	s_xor_b32 s25, exec_lo, s7
	s_cbranch_execz .LBB6_5088
; %bb.5079:                             ;   in Loop: Header=BB6_4897 Depth=2
	v_mov_b32_e32 v31, 0
	s_mov_b32 s26, exec_lo
	v_cmpx_ne_u32_e32 0, v2
	s_cbranch_execz .LBB6_5087
; %bb.5080:                             ;   in Loop: Header=BB6_4897 Depth=2
	v_bfe_u32 v31, v2, 23, 8
	v_or_b32_e32 v54, 0x800000, v0
	s_delay_alu instid0(VALU_DEP_2) | instskip(SKIP_1) | instid1(VALU_DEP_2)
	v_sub_nc_u32_e32 v2, 0x71, v31
	v_cmp_gt_u32_e32 vcc_lo, 0x72, v31
	v_cndmask_b32_e32 v2, 0, v2, vcc_lo
	v_cmp_eq_u32_e32 vcc_lo, 0, v31
	s_delay_alu instid0(VALU_DEP_2) | instskip(NEXT) | instid1(VALU_DEP_1)
	v_cndmask_b32_e64 v53, v2, 0x70, vcc_lo
	v_dual_cndmask_b32 v0, v54, v0, vcc_lo :: v_dual_add_nc_u32 v2, 21, v53
	v_add_nc_u32_e32 v55, 20, v53
	s_delay_alu instid0(VALU_DEP_2) | instskip(NEXT) | instid1(VALU_DEP_2)
	v_lshlrev_b64_e64 v[2:3], v2, -1
	v_lshlrev_b64_e64 v[54:55], v55, 1
	s_delay_alu instid0(VALU_DEP_2) | instskip(SKIP_1) | instid1(VALU_DEP_4)
	v_bfi_b32 v2, v2, 0, v0
	v_lshrrev_b64 v[0:1], v53, v[0:1]
	v_bfi_b32 v3, v3, 0, 0
	s_delay_alu instid0(VALU_DEP_1) | instskip(NEXT) | instid1(VALU_DEP_3)
	v_cmp_eq_u64_e64 s7, v[2:3], v[54:55]
	v_mov_b64_e32 v[2:3], v[0:1]
	s_and_saveexec_b32 s27, s7
; %bb.5081:                             ;   in Loop: Header=BB6_4897 Depth=2
	v_bfe_u32 v2, v0, 21, 1
	v_mov_b32_e32 v3, v5
	s_delay_alu instid0(VALU_DEP_1) | instskip(NEXT) | instid1(VALU_DEP_1)
	v_add_nc_u64_e32 v[2:3], v[0:1], v[2:3]
	v_add_nc_u64_e32 v[2:3], -1, v[2:3]
; %bb.5082:                             ;   in Loop: Header=BB6_4897 Depth=2
	s_or_b32 exec_lo, exec_lo, s27
	v_add_nc_u32_e32 v1, 0xffffff81, v31
	v_lshrrev_b32_e32 v3, 23, v0
	s_mov_b32 s7, exec_lo
	s_delay_alu instid0(VALU_DEP_2) | instskip(NEXT) | instid1(VALU_DEP_1)
	v_cndmask_b32_e64 v1, v1, 0xffffff82, vcc_lo
	v_add3_u32 v3, v53, v1, v3
	v_and_b32_e32 v1, 0x1fffff, v2
                                        ; implicit-def: $vgpr2
	s_delay_alu instid0(VALU_DEP_1) | instskip(SKIP_1) | instid1(VALU_DEP_2)
	v_dual_add_nc_u32 v31, 14, v3 :: v_dual_add_nc_u32 v0, v1, v0
	v_mov_b32_e32 v1, v5
	v_cmpx_ne_u32_e32 0, v31
	s_xor_b32 s7, exec_lo, s7
; %bb.5083:                             ;   in Loop: Header=BB6_4897 Depth=2
	s_delay_alu instid0(VALU_DEP_2) | instskip(SKIP_2) | instid1(VALU_DEP_2)
	v_cmp_lt_u64_e32 vcc_lo, 0xffffff, v[0:1]
	v_add_nc_u32_e32 v2, 15, v3
	v_cndmask_b32_e64 v3, 0, 1, vcc_lo
	v_cndmask_b32_e32 v2, v31, v2, vcc_lo
	s_delay_alu instid0(VALU_DEP_2)
	v_lshrrev_b64 v[0:1], v3, v[0:1]
; %bb.5084:                             ;   in Loop: Header=BB6_4897 Depth=2
	s_and_not1_saveexec_b32 s7, s7
; %bb.5085:                             ;   in Loop: Header=BB6_4897 Depth=2
	s_delay_alu instid0(VALU_DEP_1)
	v_bfe_u32 v2, v0, 23, 1
; %bb.5086:                             ;   in Loop: Header=BB6_4897 Depth=2
	s_or_b32 exec_lo, exec_lo, s7
	s_delay_alu instid0(VALU_DEP_2) | instskip(NEXT) | instid1(VALU_DEP_2)
	v_lshrrev_b64 v[0:1], 21, v[0:1]
	v_cmp_gt_i32_e32 vcc_lo, 32, v2
	v_min_i32_e32 v3, 31, v2
	v_cmp_eq_u32_e64 s7, 0, v2
	s_delay_alu instid0(VALU_DEP_2) | instskip(SKIP_1) | instid1(VALU_DEP_2)
	v_dual_cndmask_b32 v1, 0, v1, vcc_lo :: v_dual_lshlrev_b32 v3, 2, v3
	v_cndmask_b32_e32 v0, 3, v0, vcc_lo
	v_and_b32_e32 v3, 0xfc, v3
	s_delay_alu instid0(VALU_DEP_2) | instskip(NEXT) | instid1(VALU_DEP_2)
	v_cmp_eq_u64_e32 vcc_lo, 0, v[0:1]
	v_and_or_b32 v0, v0, 3, v3
	s_and_b32 s7, s7, vcc_lo
	s_delay_alu instid0(VALU_DEP_1) | instid1(SALU_CYCLE_1)
	v_cndmask_b32_e64 v0, v0, 0, s7
	s_delay_alu instid0(VALU_DEP_1)
	v_or_b32_e32 v31, v0, v52
.LBB6_5087:                             ;   in Loop: Header=BB6_4897 Depth=2
	s_or_b32 exec_lo, exec_lo, s26
                                        ; implicit-def: $vgpr52
.LBB6_5088:                             ;   in Loop: Header=BB6_4897 Depth=2
	s_and_not1_saveexec_b32 s7, s25
; %bb.5089:                             ;   in Loop: Header=BB6_4897 Depth=2
	v_or_b32_e32 v31, 0x7b, v52
; %bb.5090:                             ;   in Loop: Header=BB6_4897 Depth=2
	s_or_b32 exec_lo, exec_lo, s7
                                        ; implicit-def: $vgpr2
                                        ; implicit-def: $vgpr0_vgpr1
                                        ; implicit-def: $vgpr3
.LBB6_5091:                             ;   in Loop: Header=BB6_4897 Depth=2
	s_and_not1_saveexec_b32 s7, s24
	s_cbranch_execz .LBB6_5097
; %bb.5092:                             ;   in Loop: Header=BB6_4897 Depth=2
	s_mov_b32 s24, exec_lo
                                        ; implicit-def: $vgpr31
	v_cmpx_ne_u64_e32 0, v[0:1]
	s_xor_b32 s24, exec_lo, s24
; %bb.5093:                             ;   in Loop: Header=BB6_4897 Depth=2
	v_or_b32_e32 v31, 0x7f, v3
                                        ; implicit-def: $vgpr2
; %bb.5094:                             ;   in Loop: Header=BB6_4897 Depth=2
	s_and_not1_saveexec_b32 s24, s24
; %bb.5095:                             ;   in Loop: Header=BB6_4897 Depth=2
	v_cmp_lt_i32_e32 vcc_lo, -1, v2
	v_cndmask_b32_e32 v31, 0xfc, v104, vcc_lo
; %bb.5096:                             ;   in Loop: Header=BB6_4897 Depth=2
	s_or_b32 exec_lo, exec_lo, s24
.LBB6_5097:                             ;   in Loop: Header=BB6_4897 Depth=2
	s_delay_alu instid0(SALU_CYCLE_1) | instskip(SKIP_3) | instid1(VALU_DEP_2)
	s_or_b32 exec_lo, exec_lo, s7
	v_lshrrev_b16 v0, 8, v4
	v_dual_mov_b32 v2, 0 :: v_dual_mov_b32 v3, 0
	s_mov_b32 s7, exec_lo
	v_cmpx_ne_u16_e32 0, v0
	s_cbranch_execz .LBB6_5107
; %bb.5098:                             ;   in Loop: Header=BB6_4897 Depth=2
	v_bfrev_b32_e32 v3, 1
	s_mov_b32 s24, exec_lo
	v_cmpx_ne_u16_e32 0x80, v0
	s_cbranch_execz .LBB6_5106
; %bb.5099:                             ;   in Loop: Header=BB6_4897 Depth=2
	v_and_b32_e32 v52, 0xffff, v0
	s_delay_alu instid0(VALU_DEP_1) | instskip(SKIP_1) | instid1(VALU_DEP_2)
	v_and_b32_e32 v3, 0x7c, v52
	v_and_b32_e32 v1, 3, v52
	v_cmp_ne_u32_e32 vcc_lo, 0x7c, v3
                                        ; implicit-def: $vgpr3
	s_and_saveexec_b32 s25, vcc_lo
	s_delay_alu instid0(SALU_CYCLE_1)
	s_xor_b32 s25, exec_lo, s25
	s_cbranch_execz .LBB6_5103
; %bb.5100:                             ;   in Loop: Header=BB6_4897 Depth=2
	v_bfe_u32 v3, v52, 2, 5
	s_mov_b32 s26, exec_lo
	s_delay_alu instid0(VALU_DEP_1)
	v_cmpx_eq_u32_e32 0, v3
	s_cbranch_execz .LBB6_5102
; %bb.5101:                             ;   in Loop: Header=BB6_4897 Depth=2
	v_clz_i32_u32_e32 v1, v1
	s_delay_alu instid0(VALU_DEP_1) | instskip(SKIP_1) | instid1(VALU_DEP_2)
	v_min_u32_e32 v3, 32, v1
	v_mov_b32_e32 v1, v5
	v_subrev_nc_u32_e32 v52, 29, v3
	v_sub_nc_u32_e32 v3, 30, v3
	s_delay_alu instid0(VALU_DEP_2) | instskip(NEXT) | instid1(VALU_DEP_1)
	v_lshlrev_b64_e32 v[0:1], v52, v[0:1]
	v_and_b32_e32 v1, 3, v0
.LBB6_5102:                             ;   in Loop: Header=BB6_4897 Depth=2
	s_or_b32 exec_lo, exec_lo, s26
	v_lshlrev_b32_e32 v0, 16, v4
	s_delay_alu instid0(VALU_DEP_1) | instskip(NEXT) | instid1(VALU_DEP_1)
	v_and_b32_e32 v0, 0x80000000, v0
	v_lshl_add_u32 v0, v3, 23, v0
	s_delay_alu instid0(VALU_DEP_1) | instskip(NEXT) | instid1(VALU_DEP_1)
	v_lshl_or_b32 v0, v1, 21, v0
                                        ; implicit-def: $vgpr1
	v_add_nc_u32_e32 v3, 0x38000000, v0
.LBB6_5103:                             ;   in Loop: Header=BB6_4897 Depth=2
	s_and_not1_saveexec_b32 s25, s25
; %bb.5104:                             ;   in Loop: Header=BB6_4897 Depth=2
	v_cmp_lt_i16_e32 vcc_lo, -1, v4
	v_cndmask_b32_e32 v0, 0xff800000, v105, vcc_lo
	v_cmp_eq_u32_e32 vcc_lo, 0, v1
	s_delay_alu instid0(VALU_DEP_2)
	v_cndmask_b32_e32 v3, 0x7f800001, v0, vcc_lo
; %bb.5105:                             ;   in Loop: Header=BB6_4897 Depth=2
	s_or_b32 exec_lo, exec_lo, s25
.LBB6_5106:                             ;   in Loop: Header=BB6_4897 Depth=2
	s_delay_alu instid0(SALU_CYCLE_1)
	s_or_b32 exec_lo, exec_lo, s24
.LBB6_5107:                             ;   in Loop: Header=BB6_4897 Depth=2
	s_delay_alu instid0(SALU_CYCLE_1) | instskip(SKIP_2) | instid1(VALU_DEP_1)
	s_or_b32 exec_lo, exec_lo, s7
	v_lshrrev_b16 v0, 8, v37
	s_mov_b32 s7, exec_lo
	v_cmpx_ne_u16_e32 0, v0
	s_cbranch_execz .LBB6_5117
; %bb.5108:                             ;   in Loop: Header=BB6_4897 Depth=2
	v_bfrev_b32_e32 v2, 1
	s_mov_b32 s24, exec_lo
	v_cmpx_ne_u16_e32 0x80, v0
	s_cbranch_execz .LBB6_5116
; %bb.5109:                             ;   in Loop: Header=BB6_4897 Depth=2
	v_and_b32_e32 v4, 0xffff, v0
	s_delay_alu instid0(VALU_DEP_1) | instskip(SKIP_1) | instid1(VALU_DEP_2)
	v_and_b32_e32 v2, 0x7c, v4
	v_and_b32_e32 v1, 3, v4
	v_cmp_ne_u32_e32 vcc_lo, 0x7c, v2
                                        ; implicit-def: $vgpr2
	s_and_saveexec_b32 s25, vcc_lo
	s_delay_alu instid0(SALU_CYCLE_1)
	s_xor_b32 s25, exec_lo, s25
	s_cbranch_execz .LBB6_5113
; %bb.5110:                             ;   in Loop: Header=BB6_4897 Depth=2
	v_bfe_u32 v2, v4, 2, 5
	s_mov_b32 s26, exec_lo
	s_delay_alu instid0(VALU_DEP_1)
	v_cmpx_eq_u32_e32 0, v2
	s_cbranch_execz .LBB6_5112
; %bb.5111:                             ;   in Loop: Header=BB6_4897 Depth=2
	v_clz_i32_u32_e32 v1, v1
	s_delay_alu instid0(VALU_DEP_1) | instskip(SKIP_1) | instid1(VALU_DEP_2)
	v_min_u32_e32 v2, 32, v1
	v_mov_b32_e32 v1, v5
	v_subrev_nc_u32_e32 v4, 29, v2
	v_sub_nc_u32_e32 v2, 30, v2
	s_delay_alu instid0(VALU_DEP_2) | instskip(NEXT) | instid1(VALU_DEP_1)
	v_lshlrev_b64_e32 v[0:1], v4, v[0:1]
	v_and_b32_e32 v1, 3, v0
.LBB6_5112:                             ;   in Loop: Header=BB6_4897 Depth=2
	s_or_b32 exec_lo, exec_lo, s26
	v_lshlrev_b32_e32 v0, 16, v37
	s_delay_alu instid0(VALU_DEP_1) | instskip(NEXT) | instid1(VALU_DEP_1)
	v_and_b32_e32 v0, 0x80000000, v0
	v_lshl_add_u32 v0, v2, 23, v0
	s_delay_alu instid0(VALU_DEP_1) | instskip(NEXT) | instid1(VALU_DEP_1)
	v_lshl_or_b32 v0, v1, 21, v0
                                        ; implicit-def: $vgpr1
	v_add_nc_u32_e32 v2, 0x38000000, v0
.LBB6_5113:                             ;   in Loop: Header=BB6_4897 Depth=2
	s_and_not1_saveexec_b32 s25, s25
; %bb.5114:                             ;   in Loop: Header=BB6_4897 Depth=2
	v_cmp_lt_i16_e32 vcc_lo, -1, v37
	v_cndmask_b32_e32 v0, 0xff800000, v105, vcc_lo
	v_cmp_eq_u32_e32 vcc_lo, 0, v1
	s_delay_alu instid0(VALU_DEP_2)
	v_cndmask_b32_e32 v2, 0x7f800001, v0, vcc_lo
; %bb.5115:                             ;   in Loop: Header=BB6_4897 Depth=2
	s_or_b32 exec_lo, exec_lo, s25
.LBB6_5116:                             ;   in Loop: Header=BB6_4897 Depth=2
	s_delay_alu instid0(SALU_CYCLE_1)
	s_or_b32 exec_lo, exec_lo, s24
.LBB6_5117:                             ;   in Loop: Header=BB6_4897 Depth=2
	s_delay_alu instid0(SALU_CYCLE_1) | instskip(NEXT) | instid1(VALU_DEP_1)
	s_or_b32 exec_lo, exec_lo, s7
	v_dual_mul_f32 v0, v3, v2 :: v_dual_mov_b32 v3, v5
                                        ; implicit-def: $vgpr52
	s_mov_b32 s7, exec_lo
	s_delay_alu instid0(VALU_DEP_1) | instskip(SKIP_2) | instid1(VALU_DEP_3)
	v_and_b32_e32 v2, 0x7f800000, v0
	v_and_b32_e32 v4, 0x7fffff, v0
	v_lshrrev_b32_e32 v1, 24, v0
	v_cmpx_ne_u64_e32 0x7f800000, v[2:3]
	s_xor_b32 s24, exec_lo, s7
	s_cbranch_execz .LBB6_5131
; %bb.5118:                             ;   in Loop: Header=BB6_4897 Depth=2
	v_and_b32_e32 v2, 0x7fffffff, v0
	v_mov_b32_e32 v3, v5
	v_and_b32_e32 v53, 0x80, v1
                                        ; implicit-def: $vgpr52
	s_mov_b32 s7, exec_lo
	s_delay_alu instid0(VALU_DEP_2)
	v_cmpx_gt_u64_e32 0x47600001, v[2:3]
	s_xor_b32 s25, exec_lo, s7
	s_cbranch_execz .LBB6_5128
; %bb.5119:                             ;   in Loop: Header=BB6_4897 Depth=2
	v_mov_b32_e32 v52, 0
	s_mov_b32 s26, exec_lo
	v_cmpx_ne_u32_e32 0, v0
	s_cbranch_execz .LBB6_5127
; %bb.5120:                             ;   in Loop: Header=BB6_4897 Depth=2
	v_bfe_u32 v52, v0, 23, 8
	v_or_b32_e32 v2, 0x800000, v4
	s_mov_b32 s27, exec_lo
	s_delay_alu instid0(VALU_DEP_2) | instskip(SKIP_1) | instid1(VALU_DEP_2)
	v_dual_mov_b32 v3, v5 :: v_dual_sub_nc_u32 v0, 0x71, v52
	v_cmp_gt_u32_e32 vcc_lo, 0x72, v52
	v_cndmask_b32_e32 v0, 0, v0, vcc_lo
	v_cmp_eq_u32_e32 vcc_lo, 0, v52
	s_delay_alu instid0(VALU_DEP_2) | instskip(NEXT) | instid1(VALU_DEP_1)
	v_cndmask_b32_e64 v54, v0, 0x70, vcc_lo
	v_dual_cndmask_b32 v2, v2, v4, vcc_lo :: v_dual_add_nc_u32 v0, 21, v54
	v_add_nc_u32_e32 v55, 20, v54
	s_delay_alu instid0(VALU_DEP_2) | instskip(NEXT) | instid1(VALU_DEP_2)
	v_lshlrev_b64_e64 v[0:1], v0, -1
	v_lshlrev_b64_e64 v[64:65], v55, 1
	s_delay_alu instid0(VALU_DEP_2) | instskip(NEXT) | instid1(VALU_DEP_3)
	v_bfi_b32 v67, v1, 0, 0
	v_bfi_b32 v66, v0, 0, v2
	v_lshrrev_b64 v[0:1], v54, v[2:3]
	s_delay_alu instid0(VALU_DEP_1) | instskip(NEXT) | instid1(VALU_DEP_3)
	v_mov_b64_e32 v[2:3], v[0:1]
	v_cmpx_eq_u64_e64 v[66:67], v[64:65]
; %bb.5121:                             ;   in Loop: Header=BB6_4897 Depth=2
	v_bfe_u32 v2, v0, 21, 1
	v_mov_b32_e32 v3, v5
	s_delay_alu instid0(VALU_DEP_1) | instskip(NEXT) | instid1(VALU_DEP_1)
	v_add_nc_u64_e32 v[2:3], v[0:1], v[2:3]
	v_add_nc_u64_e32 v[2:3], -1, v[2:3]
; %bb.5122:                             ;   in Loop: Header=BB6_4897 Depth=2
	s_or_b32 exec_lo, exec_lo, s27
	v_add_nc_u32_e32 v1, 0xffffff81, v52
	v_lshrrev_b32_e32 v3, 23, v0
	s_mov_b32 s7, exec_lo
	s_delay_alu instid0(VALU_DEP_2) | instskip(NEXT) | instid1(VALU_DEP_1)
	v_cndmask_b32_e64 v1, v1, 0xffffff82, vcc_lo
	v_add3_u32 v3, v54, v1, v3
	v_and_b32_e32 v1, 0x1fffff, v2
                                        ; implicit-def: $vgpr2
	s_delay_alu instid0(VALU_DEP_1) | instskip(NEXT) | instid1(VALU_DEP_1)
	v_dual_add_nc_u32 v52, 14, v3 :: v_dual_add_nc_u32 v4, v1, v0
                                        ; implicit-def: $vgpr0_vgpr1
	v_cmpx_ne_u32_e32 0, v52
	s_xor_b32 s7, exec_lo, s7
; %bb.5123:                             ;   in Loop: Header=BB6_4897 Depth=2
	s_delay_alu instid0(VALU_DEP_2) | instskip(SKIP_1) | instid1(VALU_DEP_1)
	v_cmp_lt_u64_e32 vcc_lo, 0xffffff, v[4:5]
	v_add_nc_u32_e32 v0, 15, v3
	v_cndmask_b32_e32 v2, v52, v0, vcc_lo
	v_cndmask_b32_e64 v0, 0, 1, vcc_lo
	s_delay_alu instid0(VALU_DEP_1)
	v_lshrrev_b64 v[0:1], v0, v[4:5]
; %bb.5124:                             ;   in Loop: Header=BB6_4897 Depth=2
	s_and_not1_saveexec_b32 s7, s7
; %bb.5125:                             ;   in Loop: Header=BB6_4897 Depth=2
	v_mov_b64_e32 v[0:1], v[4:5]
	v_bfe_u32 v2, v4, 23, 1
; %bb.5126:                             ;   in Loop: Header=BB6_4897 Depth=2
	s_or_b32 exec_lo, exec_lo, s7
	s_delay_alu instid0(VALU_DEP_2) | instskip(NEXT) | instid1(VALU_DEP_2)
	v_lshrrev_b64 v[0:1], 21, v[0:1]
	v_cmp_gt_i32_e32 vcc_lo, 32, v2
	v_min_i32_e32 v3, 31, v2
	v_cmp_eq_u32_e64 s7, 0, v2
	s_delay_alu instid0(VALU_DEP_2) | instskip(SKIP_1) | instid1(VALU_DEP_2)
	v_dual_cndmask_b32 v1, 0, v1, vcc_lo :: v_dual_lshlrev_b32 v3, 2, v3
	v_cndmask_b32_e32 v0, 3, v0, vcc_lo
	v_and_b32_e32 v3, 0xfc, v3
	s_delay_alu instid0(VALU_DEP_2) | instskip(NEXT) | instid1(VALU_DEP_2)
	v_cmp_eq_u64_e32 vcc_lo, 0, v[0:1]
	v_and_or_b32 v0, v0, 3, v3
	s_and_b32 s7, s7, vcc_lo
	s_delay_alu instid0(VALU_DEP_1) | instid1(SALU_CYCLE_1)
	v_cndmask_b32_e64 v0, v0, 0, s7
	s_delay_alu instid0(VALU_DEP_1)
	v_or_b32_e32 v52, v0, v53
.LBB6_5127:                             ;   in Loop: Header=BB6_4897 Depth=2
	s_or_b32 exec_lo, exec_lo, s26
                                        ; implicit-def: $vgpr53
.LBB6_5128:                             ;   in Loop: Header=BB6_4897 Depth=2
	s_and_not1_saveexec_b32 s7, s25
; %bb.5129:                             ;   in Loop: Header=BB6_4897 Depth=2
	v_or_b32_e32 v52, 0x7b, v53
; %bb.5130:                             ;   in Loop: Header=BB6_4897 Depth=2
	s_or_b32 exec_lo, exec_lo, s7
                                        ; implicit-def: $vgpr0
                                        ; implicit-def: $vgpr1
.LBB6_5131:                             ;   in Loop: Header=BB6_4897 Depth=2
	s_and_not1_saveexec_b32 s7, s24
	s_cbranch_execz .LBB6_5137
; %bb.5132:                             ;   in Loop: Header=BB6_4897 Depth=2
	s_mov_b32 s24, exec_lo
                                        ; implicit-def: $vgpr52
	v_cmpx_ne_u64_e32 0, v[4:5]
	s_xor_b32 s24, exec_lo, s24
; %bb.5133:                             ;   in Loop: Header=BB6_4897 Depth=2
	v_or_b32_e32 v52, 0x7f, v1
                                        ; implicit-def: $vgpr0
; %bb.5134:                             ;   in Loop: Header=BB6_4897 Depth=2
	s_and_not1_saveexec_b32 s24, s24
; %bb.5135:                             ;   in Loop: Header=BB6_4897 Depth=2
	v_cmp_lt_i32_e32 vcc_lo, -1, v0
	v_cndmask_b32_e32 v52, 0xfc, v104, vcc_lo
; %bb.5136:                             ;   in Loop: Header=BB6_4897 Depth=2
	s_or_b32 exec_lo, exec_lo, s24
.LBB6_5137:                             ;   in Loop: Header=BB6_4897 Depth=2
	s_delay_alu instid0(SALU_CYCLE_1) | instskip(SKIP_3) | instid1(VALU_DEP_2)
	s_or_b32 exec_lo, exec_lo, s7
	v_dual_mov_b32 v1, 0 :: v_dual_lshrrev_b32 v0, 16, v49
	v_mov_b32_e32 v2, 0
	s_mov_b32 s7, exec_lo
	v_and_b32_e32 v3, 0xff, v0
	s_delay_alu instid0(VALU_DEP_1)
	v_cmpx_ne_u16_e32 0, v3
	s_cbranch_execz .LBB6_5147
; %bb.5138:                             ;   in Loop: Header=BB6_4897 Depth=2
	v_bfrev_b32_e32 v2, 1
	s_mov_b32 s24, exec_lo
	v_cmpx_ne_u16_e32 0x80, v3
	s_cbranch_execz .LBB6_5146
; %bb.5139:                             ;   in Loop: Header=BB6_4897 Depth=2
	v_and_b32_e32 v2, 0x7c0000, v49
	v_bfe_u32 v3, v49, 16, 2
	s_delay_alu instid0(VALU_DEP_2) | instskip(SKIP_1) | instid1(SALU_CYCLE_1)
	v_cmp_ne_u32_e32 vcc_lo, 0x7c0000, v2
                                        ; implicit-def: $vgpr2
	s_and_saveexec_b32 s25, vcc_lo
	s_xor_b32 s25, exec_lo, s25
	s_cbranch_execz .LBB6_5143
; %bb.5140:                             ;   in Loop: Header=BB6_4897 Depth=2
	v_bfe_u32 v2, v49, 18, 5
	s_mov_b32 s26, exec_lo
	s_delay_alu instid0(VALU_DEP_1)
	v_cmpx_eq_u32_e32 0, v2
; %bb.5141:                             ;   in Loop: Header=BB6_4897 Depth=2
	v_clz_i32_u32_e32 v2, v3
	s_delay_alu instid0(VALU_DEP_1) | instskip(NEXT) | instid1(VALU_DEP_1)
	v_min_u32_e32 v2, 32, v2
	v_subrev_nc_u32_e32 v3, 29, v2
	v_sub_nc_u32_e32 v2, 30, v2
	s_delay_alu instid0(VALU_DEP_2) | instskip(NEXT) | instid1(VALU_DEP_1)
	v_lshlrev_b64_e32 v[54:55], v3, v[0:1]
	v_and_b32_e32 v3, 3, v54
; %bb.5142:                             ;   in Loop: Header=BB6_4897 Depth=2
	s_or_b32 exec_lo, exec_lo, s26
	v_lshlrev_b32_e32 v0, 24, v0
	s_delay_alu instid0(VALU_DEP_1) | instskip(NEXT) | instid1(VALU_DEP_1)
	v_and_b32_e32 v0, 0x80000000, v0
	v_lshl_add_u32 v0, v2, 23, v0
	s_delay_alu instid0(VALU_DEP_1) | instskip(NEXT) | instid1(VALU_DEP_1)
	v_lshl_or_b32 v0, v3, 21, v0
                                        ; implicit-def: $vgpr3
	v_add_nc_u32_e32 v2, 0x38000000, v0
                                        ; implicit-def: $vgpr0
.LBB6_5143:                             ;   in Loop: Header=BB6_4897 Depth=2
	s_and_not1_saveexec_b32 s25, s25
; %bb.5144:                             ;   in Loop: Header=BB6_4897 Depth=2
	v_bfe_i32 v0, v0, 0, 8
	s_delay_alu instid0(VALU_DEP_1) | instskip(SKIP_2) | instid1(VALU_DEP_2)
	v_cmp_lt_i16_e32 vcc_lo, -1, v0
	v_cndmask_b32_e32 v0, 0xff800000, v105, vcc_lo
	v_cmp_eq_u32_e32 vcc_lo, 0, v3
	v_cndmask_b32_e32 v2, 0x7f800001, v0, vcc_lo
; %bb.5145:                             ;   in Loop: Header=BB6_4897 Depth=2
	s_or_b32 exec_lo, exec_lo, s25
.LBB6_5146:                             ;   in Loop: Header=BB6_4897 Depth=2
	s_delay_alu instid0(SALU_CYCLE_1)
	s_or_b32 exec_lo, exec_lo, s24
.LBB6_5147:                             ;   in Loop: Header=BB6_4897 Depth=2
	s_delay_alu instid0(SALU_CYCLE_1) | instskip(SKIP_2) | instid1(VALU_DEP_1)
	s_or_b32 exec_lo, exec_lo, s7
	v_lshrrev_b32_e32 v0, 16, v37
	s_mov_b32 s7, exec_lo
	v_and_b32_e32 v3, 0xff, v0
	s_delay_alu instid0(VALU_DEP_1)
	v_cmpx_ne_u16_e32 0, v3
	s_cbranch_execz .LBB6_5157
; %bb.5148:                             ;   in Loop: Header=BB6_4897 Depth=2
	v_bfrev_b32_e32 v1, 1
	s_mov_b32 s24, exec_lo
	v_cmpx_ne_u16_e32 0x80, v3
	s_cbranch_execz .LBB6_5156
; %bb.5149:                             ;   in Loop: Header=BB6_4897 Depth=2
	v_and_b32_e32 v1, 0x7c0000, v37
	v_bfe_u32 v3, v37, 16, 2
	s_delay_alu instid0(VALU_DEP_2) | instskip(SKIP_1) | instid1(SALU_CYCLE_1)
	v_cmp_ne_u32_e32 vcc_lo, 0x7c0000, v1
                                        ; implicit-def: $vgpr1
	s_and_saveexec_b32 s25, vcc_lo
	s_xor_b32 s25, exec_lo, s25
	s_cbranch_execz .LBB6_5153
; %bb.5150:                             ;   in Loop: Header=BB6_4897 Depth=2
	v_bfe_u32 v1, v37, 18, 5
	s_mov_b32 s26, exec_lo
	s_delay_alu instid0(VALU_DEP_1)
	v_cmpx_eq_u32_e32 0, v1
; %bb.5151:                             ;   in Loop: Header=BB6_4897 Depth=2
	v_clz_i32_u32_e32 v1, v3
	s_delay_alu instid0(VALU_DEP_1) | instskip(NEXT) | instid1(VALU_DEP_1)
	v_min_u32_e32 v1, 32, v1
	v_subrev_nc_u32_e32 v3, 29, v1
	s_delay_alu instid0(VALU_DEP_1) | instskip(NEXT) | instid1(VALU_DEP_1)
	v_lshlrev_b64_e32 v[54:55], v3, v[0:1]
	v_dual_sub_nc_u32 v1, 30, v1 :: v_dual_bitop2_b32 v3, 3, v54 bitop3:0x40
; %bb.5152:                             ;   in Loop: Header=BB6_4897 Depth=2
	s_or_b32 exec_lo, exec_lo, s26
	v_lshlrev_b32_e32 v0, 24, v0
	s_delay_alu instid0(VALU_DEP_1) | instskip(NEXT) | instid1(VALU_DEP_1)
	v_and_b32_e32 v0, 0x80000000, v0
	v_lshl_add_u32 v0, v1, 23, v0
	s_delay_alu instid0(VALU_DEP_1) | instskip(NEXT) | instid1(VALU_DEP_1)
	v_lshl_or_b32 v0, v3, 21, v0
                                        ; implicit-def: $vgpr3
	v_add_nc_u32_e32 v1, 0x38000000, v0
                                        ; implicit-def: $vgpr0
.LBB6_5153:                             ;   in Loop: Header=BB6_4897 Depth=2
	s_and_not1_saveexec_b32 s25, s25
; %bb.5154:                             ;   in Loop: Header=BB6_4897 Depth=2
	v_bfe_i32 v0, v0, 0, 8
	s_delay_alu instid0(VALU_DEP_1) | instskip(SKIP_2) | instid1(VALU_DEP_2)
	v_cmp_lt_i16_e32 vcc_lo, -1, v0
	v_cndmask_b32_e32 v0, 0xff800000, v105, vcc_lo
	v_cmp_eq_u32_e32 vcc_lo, 0, v3
	v_cndmask_b32_e32 v1, 0x7f800001, v0, vcc_lo
; %bb.5155:                             ;   in Loop: Header=BB6_4897 Depth=2
	s_or_b32 exec_lo, exec_lo, s25
.LBB6_5156:                             ;   in Loop: Header=BB6_4897 Depth=2
	s_delay_alu instid0(SALU_CYCLE_1)
	s_or_b32 exec_lo, exec_lo, s24
.LBB6_5157:                             ;   in Loop: Header=BB6_4897 Depth=2
	s_delay_alu instid0(SALU_CYCLE_1) | instskip(NEXT) | instid1(VALU_DEP_1)
	s_or_b32 exec_lo, exec_lo, s7
	v_dual_mul_f32 v0, v2, v1 :: v_dual_mov_b32 v3, v5
                                        ; implicit-def: $vgpr53
	s_mov_b32 s7, exec_lo
	s_delay_alu instid0(VALU_DEP_1) | instskip(SKIP_2) | instid1(VALU_DEP_3)
	v_and_b32_e32 v2, 0x7f800000, v0
	v_and_b32_e32 v4, 0x7fffff, v0
	v_lshrrev_b32_e32 v1, 24, v0
	v_cmpx_ne_u64_e32 0x7f800000, v[2:3]
	s_xor_b32 s24, exec_lo, s7
	s_cbranch_execz .LBB6_5171
; %bb.5158:                             ;   in Loop: Header=BB6_4897 Depth=2
	v_and_b32_e32 v2, 0x7fffffff, v0
	v_mov_b32_e32 v3, v5
	v_and_b32_e32 v54, 0x80, v1
                                        ; implicit-def: $vgpr53
	s_mov_b32 s7, exec_lo
	s_delay_alu instid0(VALU_DEP_2)
	v_cmpx_gt_u64_e32 0x47600001, v[2:3]
	s_xor_b32 s25, exec_lo, s7
	s_cbranch_execz .LBB6_5168
; %bb.5159:                             ;   in Loop: Header=BB6_4897 Depth=2
	v_mov_b32_e32 v53, 0
	s_mov_b32 s26, exec_lo
	v_cmpx_ne_u32_e32 0, v0
	s_cbranch_execz .LBB6_5167
; %bb.5160:                             ;   in Loop: Header=BB6_4897 Depth=2
	v_bfe_u32 v53, v0, 23, 8
	v_or_b32_e32 v2, 0x800000, v4
	s_mov_b32 s27, exec_lo
	s_delay_alu instid0(VALU_DEP_2) | instskip(SKIP_1) | instid1(VALU_DEP_2)
	v_dual_mov_b32 v3, v5 :: v_dual_sub_nc_u32 v0, 0x71, v53
	v_cmp_gt_u32_e32 vcc_lo, 0x72, v53
	v_cndmask_b32_e32 v0, 0, v0, vcc_lo
	v_cmp_eq_u32_e32 vcc_lo, 0, v53
	s_delay_alu instid0(VALU_DEP_2) | instskip(NEXT) | instid1(VALU_DEP_1)
	v_cndmask_b32_e64 v55, v0, 0x70, vcc_lo
	v_dual_cndmask_b32 v2, v2, v4, vcc_lo :: v_dual_add_nc_u32 v0, 21, v55
	v_add_nc_u32_e32 v64, 20, v55
	s_delay_alu instid0(VALU_DEP_2) | instskip(NEXT) | instid1(VALU_DEP_2)
	v_lshlrev_b64_e64 v[0:1], v0, -1
	v_lshlrev_b64_e64 v[64:65], v64, 1
	s_delay_alu instid0(VALU_DEP_2) | instskip(NEXT) | instid1(VALU_DEP_3)
	v_bfi_b32 v67, v1, 0, 0
	v_bfi_b32 v66, v0, 0, v2
	v_lshrrev_b64 v[0:1], v55, v[2:3]
	s_delay_alu instid0(VALU_DEP_1) | instskip(NEXT) | instid1(VALU_DEP_3)
	v_mov_b64_e32 v[2:3], v[0:1]
	v_cmpx_eq_u64_e64 v[66:67], v[64:65]
; %bb.5161:                             ;   in Loop: Header=BB6_4897 Depth=2
	v_bfe_u32 v2, v0, 21, 1
	v_mov_b32_e32 v3, v5
	s_delay_alu instid0(VALU_DEP_1) | instskip(NEXT) | instid1(VALU_DEP_1)
	v_add_nc_u64_e32 v[2:3], v[0:1], v[2:3]
	v_add_nc_u64_e32 v[2:3], -1, v[2:3]
; %bb.5162:                             ;   in Loop: Header=BB6_4897 Depth=2
	s_or_b32 exec_lo, exec_lo, s27
	v_add_nc_u32_e32 v1, 0xffffff81, v53
	v_lshrrev_b32_e32 v3, 23, v0
	s_mov_b32 s7, exec_lo
	s_delay_alu instid0(VALU_DEP_2) | instskip(NEXT) | instid1(VALU_DEP_1)
	v_cndmask_b32_e64 v1, v1, 0xffffff82, vcc_lo
	v_add3_u32 v3, v55, v1, v3
	v_and_b32_e32 v1, 0x1fffff, v2
                                        ; implicit-def: $vgpr2
	s_delay_alu instid0(VALU_DEP_1) | instskip(NEXT) | instid1(VALU_DEP_1)
	v_dual_add_nc_u32 v53, 14, v3 :: v_dual_add_nc_u32 v4, v1, v0
                                        ; implicit-def: $vgpr0_vgpr1
	v_cmpx_ne_u32_e32 0, v53
	s_xor_b32 s7, exec_lo, s7
; %bb.5163:                             ;   in Loop: Header=BB6_4897 Depth=2
	s_delay_alu instid0(VALU_DEP_2) | instskip(SKIP_1) | instid1(VALU_DEP_1)
	v_cmp_lt_u64_e32 vcc_lo, 0xffffff, v[4:5]
	v_add_nc_u32_e32 v0, 15, v3
	v_cndmask_b32_e32 v2, v53, v0, vcc_lo
	v_cndmask_b32_e64 v0, 0, 1, vcc_lo
	s_delay_alu instid0(VALU_DEP_1)
	v_lshrrev_b64 v[0:1], v0, v[4:5]
; %bb.5164:                             ;   in Loop: Header=BB6_4897 Depth=2
	s_and_not1_saveexec_b32 s7, s7
; %bb.5165:                             ;   in Loop: Header=BB6_4897 Depth=2
	v_mov_b64_e32 v[0:1], v[4:5]
	v_bfe_u32 v2, v4, 23, 1
; %bb.5166:                             ;   in Loop: Header=BB6_4897 Depth=2
	s_or_b32 exec_lo, exec_lo, s7
	s_delay_alu instid0(VALU_DEP_2) | instskip(NEXT) | instid1(VALU_DEP_2)
	v_lshrrev_b64 v[0:1], 21, v[0:1]
	v_cmp_gt_i32_e32 vcc_lo, 32, v2
	v_min_i32_e32 v3, 31, v2
	v_cmp_eq_u32_e64 s7, 0, v2
	s_delay_alu instid0(VALU_DEP_2) | instskip(SKIP_1) | instid1(VALU_DEP_2)
	v_dual_cndmask_b32 v1, 0, v1, vcc_lo :: v_dual_lshlrev_b32 v3, 2, v3
	v_cndmask_b32_e32 v0, 3, v0, vcc_lo
	v_and_b32_e32 v3, 0xfc, v3
	s_delay_alu instid0(VALU_DEP_2) | instskip(NEXT) | instid1(VALU_DEP_2)
	v_cmp_eq_u64_e32 vcc_lo, 0, v[0:1]
	v_and_or_b32 v0, v0, 3, v3
	s_and_b32 s7, s7, vcc_lo
	s_delay_alu instid0(VALU_DEP_1) | instid1(SALU_CYCLE_1)
	v_cndmask_b32_e64 v0, v0, 0, s7
	s_delay_alu instid0(VALU_DEP_1)
	v_or_b32_e32 v53, v0, v54
.LBB6_5167:                             ;   in Loop: Header=BB6_4897 Depth=2
	s_or_b32 exec_lo, exec_lo, s26
                                        ; implicit-def: $vgpr54
.LBB6_5168:                             ;   in Loop: Header=BB6_4897 Depth=2
	s_and_not1_saveexec_b32 s7, s25
; %bb.5169:                             ;   in Loop: Header=BB6_4897 Depth=2
	v_or_b32_e32 v53, 0x7b, v54
; %bb.5170:                             ;   in Loop: Header=BB6_4897 Depth=2
	s_or_b32 exec_lo, exec_lo, s7
                                        ; implicit-def: $vgpr0
                                        ; implicit-def: $vgpr1
.LBB6_5171:                             ;   in Loop: Header=BB6_4897 Depth=2
	s_and_not1_saveexec_b32 s7, s24
	s_cbranch_execz .LBB6_5177
; %bb.5172:                             ;   in Loop: Header=BB6_4897 Depth=2
	s_mov_b32 s24, exec_lo
                                        ; implicit-def: $vgpr53
	v_cmpx_ne_u64_e32 0, v[4:5]
	s_xor_b32 s24, exec_lo, s24
; %bb.5173:                             ;   in Loop: Header=BB6_4897 Depth=2
	v_or_b32_e32 v53, 0x7f, v1
                                        ; implicit-def: $vgpr0
; %bb.5174:                             ;   in Loop: Header=BB6_4897 Depth=2
	s_and_not1_saveexec_b32 s24, s24
; %bb.5175:                             ;   in Loop: Header=BB6_4897 Depth=2
	v_cmp_lt_i32_e32 vcc_lo, -1, v0
	v_cndmask_b32_e32 v53, 0xfc, v104, vcc_lo
; %bb.5176:                             ;   in Loop: Header=BB6_4897 Depth=2
	s_or_b32 exec_lo, exec_lo, s24
.LBB6_5177:                             ;   in Loop: Header=BB6_4897 Depth=2
	s_delay_alu instid0(SALU_CYCLE_1)
	s_or_b32 exec_lo, exec_lo, s7
	v_dual_mov_b32 v1, 0 :: v_dual_mov_b32 v2, 0
	s_mov_b32 s7, exec_lo
	v_cmpx_lt_u64_e64 s[12:13], v[48:49]
	s_cbranch_execz .LBB6_5187
; %bb.5178:                             ;   in Loop: Header=BB6_4897 Depth=2
	v_lshrrev_b32_e32 v0, 24, v49
	v_bfrev_b32_e32 v2, 1
	s_mov_b32 s24, exec_lo
	s_delay_alu instid0(VALU_DEP_2)
	v_cmpx_ne_u32_e32 0x80, v0
	s_cbranch_execz .LBB6_5186
; %bb.5179:                             ;   in Loop: Header=BB6_4897 Depth=2
	v_and_b32_e32 v2, 0x7c000000, v49
	v_bfe_u32 v3, v49, 24, 2
	s_delay_alu instid0(VALU_DEP_2) | instskip(SKIP_1) | instid1(SALU_CYCLE_1)
	v_cmp_ne_u32_e32 vcc_lo, 0x7c000000, v2
                                        ; implicit-def: $vgpr2
	s_and_saveexec_b32 s25, vcc_lo
	s_xor_b32 s25, exec_lo, s25
	s_cbranch_execz .LBB6_5183
; %bb.5180:                             ;   in Loop: Header=BB6_4897 Depth=2
	v_bfe_u32 v2, v49, 26, 5
	s_mov_b32 s26, exec_lo
	s_delay_alu instid0(VALU_DEP_1)
	v_cmpx_eq_u32_e32 0, v2
; %bb.5181:                             ;   in Loop: Header=BB6_4897 Depth=2
	v_clz_i32_u32_e32 v2, v3
	s_delay_alu instid0(VALU_DEP_1) | instskip(NEXT) | instid1(VALU_DEP_1)
	v_min_u32_e32 v2, 32, v2
	v_subrev_nc_u32_e32 v3, 29, v2
	v_sub_nc_u32_e32 v2, 30, v2
	s_delay_alu instid0(VALU_DEP_2) | instskip(NEXT) | instid1(VALU_DEP_1)
	v_lshlrev_b64_e32 v[54:55], v3, v[0:1]
	v_and_b32_e32 v3, 3, v54
; %bb.5182:                             ;   in Loop: Header=BB6_4897 Depth=2
	s_or_b32 exec_lo, exec_lo, s26
	v_and_b32_e32 v0, 0x80000000, v49
	s_delay_alu instid0(VALU_DEP_1) | instskip(NEXT) | instid1(VALU_DEP_1)
	v_lshl_add_u32 v0, v2, 23, v0
	v_lshl_or_b32 v0, v3, 21, v0
                                        ; implicit-def: $vgpr3
	s_delay_alu instid0(VALU_DEP_1)
	v_add_nc_u32_e32 v2, 0x38000000, v0
.LBB6_5183:                             ;   in Loop: Header=BB6_4897 Depth=2
	s_and_not1_saveexec_b32 s25, s25
; %bb.5184:                             ;   in Loop: Header=BB6_4897 Depth=2
	v_cmp_lt_i64_e32 vcc_lo, -1, v[48:49]
	v_cndmask_b32_e32 v0, 0xff800000, v105, vcc_lo
	v_cmp_eq_u32_e32 vcc_lo, 0, v3
	s_delay_alu instid0(VALU_DEP_2)
	v_cndmask_b32_e32 v2, 0x7f800001, v0, vcc_lo
; %bb.5185:                             ;   in Loop: Header=BB6_4897 Depth=2
	s_or_b32 exec_lo, exec_lo, s25
.LBB6_5186:                             ;   in Loop: Header=BB6_4897 Depth=2
	s_delay_alu instid0(SALU_CYCLE_1)
	s_or_b32 exec_lo, exec_lo, s24
.LBB6_5187:                             ;   in Loop: Header=BB6_4897 Depth=2
	s_delay_alu instid0(SALU_CYCLE_1) | instskip(NEXT) | instid1(SALU_CYCLE_1)
	s_or_b32 exec_lo, exec_lo, s7
	s_mov_b32 s7, exec_lo
	v_cmpx_lt_u64_e64 s[12:13], v[36:37]
	s_cbranch_execz .LBB6_5197
; %bb.5188:                             ;   in Loop: Header=BB6_4897 Depth=2
	v_lshrrev_b32_e32 v0, 24, v37
	v_bfrev_b32_e32 v1, 1
	s_mov_b32 s24, exec_lo
	s_delay_alu instid0(VALU_DEP_2)
	v_cmpx_ne_u32_e32 0x80, v0
	s_cbranch_execz .LBB6_5196
; %bb.5189:                             ;   in Loop: Header=BB6_4897 Depth=2
	v_and_b32_e32 v1, 0x7c000000, v37
	v_bfe_u32 v3, v37, 24, 2
	s_delay_alu instid0(VALU_DEP_2) | instskip(SKIP_1) | instid1(SALU_CYCLE_1)
	v_cmp_ne_u32_e32 vcc_lo, 0x7c000000, v1
                                        ; implicit-def: $vgpr1
	s_and_saveexec_b32 s25, vcc_lo
	s_xor_b32 s25, exec_lo, s25
	s_cbranch_execz .LBB6_5193
; %bb.5190:                             ;   in Loop: Header=BB6_4897 Depth=2
	v_bfe_u32 v1, v37, 26, 5
	s_mov_b32 s26, exec_lo
	s_delay_alu instid0(VALU_DEP_1)
	v_cmpx_eq_u32_e32 0, v1
; %bb.5191:                             ;   in Loop: Header=BB6_4897 Depth=2
	v_clz_i32_u32_e32 v1, v3
	s_delay_alu instid0(VALU_DEP_1) | instskip(NEXT) | instid1(VALU_DEP_1)
	v_min_u32_e32 v3, 32, v1
	v_subrev_nc_u32_e32 v1, 29, v3
	s_delay_alu instid0(VALU_DEP_1) | instskip(NEXT) | instid1(VALU_DEP_1)
	v_lshlrev_b64_e32 v[0:1], v1, v[0:1]
	v_dual_sub_nc_u32 v1, 30, v3 :: v_dual_bitop2_b32 v3, 3, v0 bitop3:0x40
; %bb.5192:                             ;   in Loop: Header=BB6_4897 Depth=2
	s_or_b32 exec_lo, exec_lo, s26
	v_and_b32_e32 v0, 0x80000000, v37
	s_delay_alu instid0(VALU_DEP_1) | instskip(NEXT) | instid1(VALU_DEP_1)
	v_lshl_add_u32 v0, v1, 23, v0
	v_lshl_or_b32 v0, v3, 21, v0
                                        ; implicit-def: $vgpr3
	s_delay_alu instid0(VALU_DEP_1)
	v_add_nc_u32_e32 v1, 0x38000000, v0
.LBB6_5193:                             ;   in Loop: Header=BB6_4897 Depth=2
	s_and_not1_saveexec_b32 s25, s25
; %bb.5194:                             ;   in Loop: Header=BB6_4897 Depth=2
	v_cmp_lt_i64_e32 vcc_lo, -1, v[36:37]
	v_cndmask_b32_e32 v0, 0xff800000, v105, vcc_lo
	v_cmp_eq_u32_e32 vcc_lo, 0, v3
	s_delay_alu instid0(VALU_DEP_2)
	v_cndmask_b32_e32 v1, 0x7f800001, v0, vcc_lo
; %bb.5195:                             ;   in Loop: Header=BB6_4897 Depth=2
	s_or_b32 exec_lo, exec_lo, s25
.LBB6_5196:                             ;   in Loop: Header=BB6_4897 Depth=2
	s_delay_alu instid0(SALU_CYCLE_1)
	s_or_b32 exec_lo, exec_lo, s24
.LBB6_5197:                             ;   in Loop: Header=BB6_4897 Depth=2
	s_delay_alu instid0(SALU_CYCLE_1) | instskip(NEXT) | instid1(VALU_DEP_1)
	s_or_b32 exec_lo, exec_lo, s7
	v_dual_mul_f32 v0, v2, v1 :: v_dual_mov_b32 v3, v5
                                        ; implicit-def: $vgpr36
	s_mov_b32 s7, exec_lo
	s_delay_alu instid0(VALU_DEP_1) | instskip(SKIP_2) | instid1(VALU_DEP_3)
	v_and_b32_e32 v2, 0x7f800000, v0
	v_and_b32_e32 v4, 0x7fffff, v0
	v_lshrrev_b32_e32 v1, 24, v0
	v_cmpx_ne_u64_e32 0x7f800000, v[2:3]
	s_xor_b32 s24, exec_lo, s7
	s_cbranch_execz .LBB6_5211
; %bb.5198:                             ;   in Loop: Header=BB6_4897 Depth=2
	v_and_b32_e32 v2, 0x7fffffff, v0
	v_mov_b32_e32 v3, v5
	v_and_b32_e32 v37, 0x80, v1
                                        ; implicit-def: $vgpr36
	s_mov_b32 s7, exec_lo
	s_delay_alu instid0(VALU_DEP_2)
	v_cmpx_gt_u64_e32 0x47600001, v[2:3]
	s_xor_b32 s25, exec_lo, s7
	s_cbranch_execz .LBB6_5208
; %bb.5199:                             ;   in Loop: Header=BB6_4897 Depth=2
	v_mov_b32_e32 v36, 0
	s_mov_b32 s26, exec_lo
	v_cmpx_ne_u32_e32 0, v0
	s_cbranch_execz .LBB6_5207
; %bb.5200:                             ;   in Loop: Header=BB6_4897 Depth=2
	v_bfe_u32 v36, v0, 23, 8
	v_or_b32_e32 v2, 0x800000, v4
	s_mov_b32 s27, exec_lo
	s_delay_alu instid0(VALU_DEP_2) | instskip(SKIP_1) | instid1(VALU_DEP_2)
	v_dual_mov_b32 v3, v5 :: v_dual_sub_nc_u32 v0, 0x71, v36
	v_cmp_gt_u32_e32 vcc_lo, 0x72, v36
	v_cndmask_b32_e32 v0, 0, v0, vcc_lo
	v_cmp_eq_u32_e32 vcc_lo, 0, v36
	s_delay_alu instid0(VALU_DEP_2) | instskip(SKIP_1) | instid1(VALU_DEP_2)
	v_cndmask_b32_e64 v48, v0, 0x70, vcc_lo
	v_cndmask_b32_e32 v2, v2, v4, vcc_lo
	v_dual_add_nc_u32 v0, 21, v48 :: v_dual_add_nc_u32 v49, 20, v48
	s_delay_alu instid0(VALU_DEP_1) | instskip(NEXT) | instid1(VALU_DEP_2)
	v_lshlrev_b64_e64 v[0:1], v0, -1
	v_lshlrev_b64_e64 v[54:55], v49, 1
	s_delay_alu instid0(VALU_DEP_2) | instskip(NEXT) | instid1(VALU_DEP_3)
	v_bfi_b32 v65, v1, 0, 0
	v_bfi_b32 v64, v0, 0, v2
	v_lshrrev_b64 v[0:1], v48, v[2:3]
	s_delay_alu instid0(VALU_DEP_1) | instskip(NEXT) | instid1(VALU_DEP_3)
	v_mov_b64_e32 v[2:3], v[0:1]
	v_cmpx_eq_u64_e64 v[64:65], v[54:55]
; %bb.5201:                             ;   in Loop: Header=BB6_4897 Depth=2
	v_bfe_u32 v2, v0, 21, 1
	v_mov_b32_e32 v3, v5
	s_delay_alu instid0(VALU_DEP_1) | instskip(NEXT) | instid1(VALU_DEP_1)
	v_add_nc_u64_e32 v[2:3], v[0:1], v[2:3]
	v_add_nc_u64_e32 v[2:3], -1, v[2:3]
; %bb.5202:                             ;   in Loop: Header=BB6_4897 Depth=2
	s_or_b32 exec_lo, exec_lo, s27
	v_add_nc_u32_e32 v1, 0xffffff81, v36
	v_lshrrev_b32_e32 v3, 23, v0
	s_mov_b32 s7, exec_lo
	s_delay_alu instid0(VALU_DEP_2) | instskip(NEXT) | instid1(VALU_DEP_1)
	v_cndmask_b32_e64 v1, v1, 0xffffff82, vcc_lo
	v_add3_u32 v3, v48, v1, v3
	v_and_b32_e32 v1, 0x1fffff, v2
                                        ; implicit-def: $vgpr2
	s_delay_alu instid0(VALU_DEP_1) | instskip(NEXT) | instid1(VALU_DEP_1)
	v_dual_add_nc_u32 v36, 14, v3 :: v_dual_add_nc_u32 v4, v1, v0
                                        ; implicit-def: $vgpr0_vgpr1
	v_cmpx_ne_u32_e32 0, v36
	s_xor_b32 s7, exec_lo, s7
; %bb.5203:                             ;   in Loop: Header=BB6_4897 Depth=2
	s_delay_alu instid0(VALU_DEP_2) | instskip(SKIP_1) | instid1(VALU_DEP_1)
	v_cmp_lt_u64_e32 vcc_lo, 0xffffff, v[4:5]
	v_add_nc_u32_e32 v0, 15, v3
	v_cndmask_b32_e32 v2, v36, v0, vcc_lo
	v_cndmask_b32_e64 v0, 0, 1, vcc_lo
	s_delay_alu instid0(VALU_DEP_1)
	v_lshrrev_b64 v[0:1], v0, v[4:5]
; %bb.5204:                             ;   in Loop: Header=BB6_4897 Depth=2
	s_and_not1_saveexec_b32 s7, s7
; %bb.5205:                             ;   in Loop: Header=BB6_4897 Depth=2
	v_mov_b64_e32 v[0:1], v[4:5]
	v_bfe_u32 v2, v4, 23, 1
; %bb.5206:                             ;   in Loop: Header=BB6_4897 Depth=2
	s_or_b32 exec_lo, exec_lo, s7
	s_delay_alu instid0(VALU_DEP_2) | instskip(NEXT) | instid1(VALU_DEP_2)
	v_lshrrev_b64 v[0:1], 21, v[0:1]
	v_cmp_gt_i32_e32 vcc_lo, 32, v2
	v_min_i32_e32 v3, 31, v2
	v_cmp_eq_u32_e64 s7, 0, v2
	s_delay_alu instid0(VALU_DEP_2) | instskip(SKIP_1) | instid1(VALU_DEP_2)
	v_dual_cndmask_b32 v1, 0, v1, vcc_lo :: v_dual_lshlrev_b32 v3, 2, v3
	v_cndmask_b32_e32 v0, 3, v0, vcc_lo
	v_and_b32_e32 v3, 0xfc, v3
	s_delay_alu instid0(VALU_DEP_2) | instskip(NEXT) | instid1(VALU_DEP_2)
	v_cmp_eq_u64_e32 vcc_lo, 0, v[0:1]
	v_and_or_b32 v0, v0, 3, v3
	s_and_b32 s7, s7, vcc_lo
	s_delay_alu instid0(VALU_DEP_1) | instid1(SALU_CYCLE_1)
	v_cndmask_b32_e64 v0, v0, 0, s7
	s_delay_alu instid0(VALU_DEP_1)
	v_or_b32_e32 v36, v0, v37
.LBB6_5207:                             ;   in Loop: Header=BB6_4897 Depth=2
	s_or_b32 exec_lo, exec_lo, s26
                                        ; implicit-def: $vgpr37
.LBB6_5208:                             ;   in Loop: Header=BB6_4897 Depth=2
	s_and_not1_saveexec_b32 s7, s25
; %bb.5209:                             ;   in Loop: Header=BB6_4897 Depth=2
	v_or_b32_e32 v36, 0x7b, v37
; %bb.5210:                             ;   in Loop: Header=BB6_4897 Depth=2
	s_or_b32 exec_lo, exec_lo, s7
                                        ; implicit-def: $vgpr0
                                        ; implicit-def: $vgpr1
.LBB6_5211:                             ;   in Loop: Header=BB6_4897 Depth=2
	s_and_not1_saveexec_b32 s7, s24
	s_cbranch_execz .LBB6_5217
; %bb.5212:                             ;   in Loop: Header=BB6_4897 Depth=2
	s_mov_b32 s24, exec_lo
                                        ; implicit-def: $vgpr36
	v_cmpx_ne_u64_e32 0, v[4:5]
	s_xor_b32 s24, exec_lo, s24
; %bb.5213:                             ;   in Loop: Header=BB6_4897 Depth=2
	v_or_b32_e32 v36, 0x7f, v1
                                        ; implicit-def: $vgpr0
; %bb.5214:                             ;   in Loop: Header=BB6_4897 Depth=2
	s_and_not1_saveexec_b32 s24, s24
; %bb.5215:                             ;   in Loop: Header=BB6_4897 Depth=2
	v_cmp_lt_i32_e32 vcc_lo, -1, v0
	v_cndmask_b32_e32 v36, 0xfc, v104, vcc_lo
; %bb.5216:                             ;   in Loop: Header=BB6_4897 Depth=2
	s_or_b32 exec_lo, exec_lo, s24
.LBB6_5217:                             ;   in Loop: Header=BB6_4897 Depth=2
	s_delay_alu instid0(SALU_CYCLE_1) | instskip(SKIP_2) | instid1(VALU_DEP_2)
	s_or_b32 exec_lo, exec_lo, s7
	v_and_b32_e32 v1, 0xff, v50
	v_mov_b32_e32 v0, 0
	v_cmp_ne_u16_e32 vcc_lo, 0, v1
	v_mov_b32_e32 v1, 0
	s_and_saveexec_b32 s7, vcc_lo
	s_cbranch_execz .LBB6_5227
; %bb.5218:                             ;   in Loop: Header=BB6_4897 Depth=2
	v_bfe_i32 v3, v50, 0, 8
	v_bfrev_b32_e32 v1, 1
	s_mov_b32 s24, exec_lo
	s_delay_alu instid0(VALU_DEP_2)
	v_cmpx_ne_u16_e32 0xff80, v3
	s_cbranch_execz .LBB6_5226
; %bb.5219:                             ;   in Loop: Header=BB6_4897 Depth=2
	v_and_b32_e32 v1, 0x7c, v50
	v_and_b32_e32 v2, 3, v50
	s_delay_alu instid0(VALU_DEP_2) | instskip(SKIP_1) | instid1(SALU_CYCLE_1)
	v_cmp_ne_u32_e32 vcc_lo, 0x7c, v1
                                        ; implicit-def: $vgpr1
	s_and_saveexec_b32 s25, vcc_lo
	s_xor_b32 s25, exec_lo, s25
	s_cbranch_execz .LBB6_5223
; %bb.5220:                             ;   in Loop: Header=BB6_4897 Depth=2
	v_bfe_u32 v1, v50, 2, 5
	s_mov_b32 s26, exec_lo
	s_delay_alu instid0(VALU_DEP_1)
	v_cmpx_eq_u32_e32 0, v1
; %bb.5221:                             ;   in Loop: Header=BB6_4897 Depth=2
	v_clz_i32_u32_e32 v1, v2
	s_delay_alu instid0(VALU_DEP_1) | instskip(NEXT) | instid1(VALU_DEP_1)
	v_min_u32_e32 v1, 32, v1
	v_subrev_nc_u32_e32 v2, 29, v1
	s_delay_alu instid0(VALU_DEP_1) | instskip(NEXT) | instid1(VALU_DEP_1)
	v_lshlrev_b64_e32 v[2:3], v2, v[50:51]
	v_dual_sub_nc_u32 v1, 30, v1 :: v_dual_bitop2_b32 v2, 3, v2 bitop3:0x40
; %bb.5222:                             ;   in Loop: Header=BB6_4897 Depth=2
	s_or_b32 exec_lo, exec_lo, s26
	v_lshlrev_b32_e32 v3, 24, v50
	s_delay_alu instid0(VALU_DEP_1) | instskip(NEXT) | instid1(VALU_DEP_1)
	v_and_b32_e32 v3, 0x80000000, v3
	v_lshl_add_u32 v1, v1, 23, v3
                                        ; implicit-def: $vgpr3
	s_delay_alu instid0(VALU_DEP_1) | instskip(NEXT) | instid1(VALU_DEP_1)
	v_lshl_or_b32 v1, v2, 21, v1
                                        ; implicit-def: $vgpr2
	v_add_nc_u32_e32 v1, 0x38000000, v1
.LBB6_5223:                             ;   in Loop: Header=BB6_4897 Depth=2
	s_and_not1_saveexec_b32 s25, s25
; %bb.5224:                             ;   in Loop: Header=BB6_4897 Depth=2
	v_cmp_lt_i16_e32 vcc_lo, -1, v3
	v_cndmask_b32_e32 v1, 0xff800000, v105, vcc_lo
	v_cmp_eq_u32_e32 vcc_lo, 0, v2
	s_delay_alu instid0(VALU_DEP_2)
	v_cndmask_b32_e32 v1, 0x7f800001, v1, vcc_lo
; %bb.5225:                             ;   in Loop: Header=BB6_4897 Depth=2
	s_or_b32 exec_lo, exec_lo, s25
.LBB6_5226:                             ;   in Loop: Header=BB6_4897 Depth=2
	s_delay_alu instid0(SALU_CYCLE_1)
	s_or_b32 exec_lo, exec_lo, s24
.LBB6_5227:                             ;   in Loop: Header=BB6_4897 Depth=2
	s_delay_alu instid0(SALU_CYCLE_1) | instskip(SKIP_2) | instid1(VALU_DEP_1)
	s_or_b32 exec_lo, exec_lo, s7
	v_and_b32_e32 v2, 0xff, v38
	s_mov_b32 s7, exec_lo
	v_cmpx_ne_u16_e32 0, v2
	s_cbranch_execz .LBB6_5237
; %bb.5228:                             ;   in Loop: Header=BB6_4897 Depth=2
	v_bfe_i32 v3, v38, 0, 8
	v_bfrev_b32_e32 v0, 1
	s_mov_b32 s24, exec_lo
	s_delay_alu instid0(VALU_DEP_2)
	v_cmpx_ne_u16_e32 0xff80, v3
	s_cbranch_execz .LBB6_5236
; %bb.5229:                             ;   in Loop: Header=BB6_4897 Depth=2
	v_and_b32_e32 v0, 0x7c, v38
	v_and_b32_e32 v2, 3, v38
	s_delay_alu instid0(VALU_DEP_2) | instskip(SKIP_1) | instid1(SALU_CYCLE_1)
	v_cmp_ne_u32_e32 vcc_lo, 0x7c, v0
                                        ; implicit-def: $vgpr0
	s_and_saveexec_b32 s25, vcc_lo
	s_xor_b32 s25, exec_lo, s25
	s_cbranch_execz .LBB6_5233
; %bb.5230:                             ;   in Loop: Header=BB6_4897 Depth=2
	v_bfe_u32 v0, v38, 2, 5
	s_mov_b32 s26, exec_lo
	s_delay_alu instid0(VALU_DEP_1)
	v_cmpx_eq_u32_e32 0, v0
; %bb.5231:                             ;   in Loop: Header=BB6_4897 Depth=2
	v_clz_i32_u32_e32 v0, v2
	s_delay_alu instid0(VALU_DEP_1) | instskip(NEXT) | instid1(VALU_DEP_1)
	v_min_u32_e32 v0, 32, v0
	v_subrev_nc_u32_e32 v2, 29, v0
	s_delay_alu instid0(VALU_DEP_1) | instskip(NEXT) | instid1(VALU_DEP_1)
	v_lshlrev_b64_e32 v[2:3], v2, v[38:39]
	v_dual_sub_nc_u32 v0, 30, v0 :: v_dual_bitop2_b32 v2, 3, v2 bitop3:0x40
; %bb.5232:                             ;   in Loop: Header=BB6_4897 Depth=2
	s_or_b32 exec_lo, exec_lo, s26
	v_lshlrev_b32_e32 v3, 24, v38
	s_delay_alu instid0(VALU_DEP_1) | instskip(NEXT) | instid1(VALU_DEP_1)
	v_and_b32_e32 v3, 0x80000000, v3
	v_lshl_add_u32 v0, v0, 23, v3
                                        ; implicit-def: $vgpr3
	s_delay_alu instid0(VALU_DEP_1) | instskip(NEXT) | instid1(VALU_DEP_1)
	v_lshl_or_b32 v0, v2, 21, v0
                                        ; implicit-def: $vgpr2
	v_add_nc_u32_e32 v0, 0x38000000, v0
.LBB6_5233:                             ;   in Loop: Header=BB6_4897 Depth=2
	s_and_not1_saveexec_b32 s25, s25
; %bb.5234:                             ;   in Loop: Header=BB6_4897 Depth=2
	v_cmp_lt_i16_e32 vcc_lo, -1, v3
	v_cndmask_b32_e32 v0, 0xff800000, v105, vcc_lo
	v_cmp_eq_u32_e32 vcc_lo, 0, v2
	s_delay_alu instid0(VALU_DEP_2)
	v_cndmask_b32_e32 v0, 0x7f800001, v0, vcc_lo
; %bb.5235:                             ;   in Loop: Header=BB6_4897 Depth=2
	s_or_b32 exec_lo, exec_lo, s25
.LBB6_5236:                             ;   in Loop: Header=BB6_4897 Depth=2
	s_delay_alu instid0(SALU_CYCLE_1)
	s_or_b32 exec_lo, exec_lo, s24
.LBB6_5237:                             ;   in Loop: Header=BB6_4897 Depth=2
	s_delay_alu instid0(SALU_CYCLE_1) | instskip(NEXT) | instid1(VALU_DEP_1)
	s_or_b32 exec_lo, exec_lo, s7
	v_mul_f32_e32 v0, v1, v0
	v_mov_b32_e32 v3, v5
                                        ; implicit-def: $vgpr37
	s_mov_b32 s7, exec_lo
	s_delay_alu instid0(VALU_DEP_2) | instskip(SKIP_2) | instid1(VALU_DEP_3)
	v_and_b32_e32 v2, 0x7f800000, v0
	v_and_b32_e32 v4, 0x7fffff, v0
	v_lshrrev_b32_e32 v1, 24, v0
	v_cmpx_ne_u64_e32 0x7f800000, v[2:3]
	s_xor_b32 s24, exec_lo, s7
	s_cbranch_execz .LBB6_5251
; %bb.5238:                             ;   in Loop: Header=BB6_4897 Depth=2
	v_and_b32_e32 v2, 0x7fffffff, v0
	v_mov_b32_e32 v3, v5
	v_and_b32_e32 v48, 0x80, v1
                                        ; implicit-def: $vgpr37
	s_mov_b32 s7, exec_lo
	s_delay_alu instid0(VALU_DEP_2)
	v_cmpx_gt_u64_e32 0x47600001, v[2:3]
	s_xor_b32 s25, exec_lo, s7
	s_cbranch_execz .LBB6_5248
; %bb.5239:                             ;   in Loop: Header=BB6_4897 Depth=2
	v_mov_b32_e32 v37, 0
	s_mov_b32 s26, exec_lo
	v_cmpx_ne_u32_e32 0, v0
	s_cbranch_execz .LBB6_5247
; %bb.5240:                             ;   in Loop: Header=BB6_4897 Depth=2
	v_bfe_u32 v37, v0, 23, 8
	v_or_b32_e32 v2, 0x800000, v4
	s_mov_b32 s27, exec_lo
	s_delay_alu instid0(VALU_DEP_2) | instskip(SKIP_1) | instid1(VALU_DEP_2)
	v_dual_mov_b32 v3, v5 :: v_dual_sub_nc_u32 v0, 0x71, v37
	v_cmp_gt_u32_e32 vcc_lo, 0x72, v37
	v_cndmask_b32_e32 v0, 0, v0, vcc_lo
	v_cmp_eq_u32_e32 vcc_lo, 0, v37
	s_delay_alu instid0(VALU_DEP_2) | instskip(NEXT) | instid1(VALU_DEP_1)
	v_cndmask_b32_e64 v49, v0, 0x70, vcc_lo
	v_dual_cndmask_b32 v2, v2, v4, vcc_lo :: v_dual_add_nc_u32 v0, 21, v49
	v_add_nc_u32_e32 v54, 20, v49
	s_delay_alu instid0(VALU_DEP_2) | instskip(NEXT) | instid1(VALU_DEP_2)
	v_lshlrev_b64_e64 v[0:1], v0, -1
	v_lshlrev_b64_e64 v[54:55], v54, 1
	s_delay_alu instid0(VALU_DEP_2) | instskip(NEXT) | instid1(VALU_DEP_3)
	v_bfi_b32 v65, v1, 0, 0
	v_bfi_b32 v64, v0, 0, v2
	v_lshrrev_b64 v[0:1], v49, v[2:3]
	s_delay_alu instid0(VALU_DEP_1) | instskip(NEXT) | instid1(VALU_DEP_3)
	v_mov_b64_e32 v[2:3], v[0:1]
	v_cmpx_eq_u64_e64 v[64:65], v[54:55]
; %bb.5241:                             ;   in Loop: Header=BB6_4897 Depth=2
	v_bfe_u32 v2, v0, 21, 1
	v_mov_b32_e32 v3, v5
	s_delay_alu instid0(VALU_DEP_1) | instskip(NEXT) | instid1(VALU_DEP_1)
	v_add_nc_u64_e32 v[2:3], v[0:1], v[2:3]
	v_add_nc_u64_e32 v[2:3], -1, v[2:3]
; %bb.5242:                             ;   in Loop: Header=BB6_4897 Depth=2
	s_or_b32 exec_lo, exec_lo, s27
	v_add_nc_u32_e32 v1, 0xffffff81, v37
	v_lshrrev_b32_e32 v3, 23, v0
	s_mov_b32 s7, exec_lo
	s_delay_alu instid0(VALU_DEP_2) | instskip(NEXT) | instid1(VALU_DEP_1)
	v_cndmask_b32_e64 v1, v1, 0xffffff82, vcc_lo
	v_add3_u32 v3, v49, v1, v3
	v_and_b32_e32 v1, 0x1fffff, v2
                                        ; implicit-def: $vgpr2
	s_delay_alu instid0(VALU_DEP_1) | instskip(NEXT) | instid1(VALU_DEP_1)
	v_dual_add_nc_u32 v37, 14, v3 :: v_dual_add_nc_u32 v4, v1, v0
                                        ; implicit-def: $vgpr0_vgpr1
	v_cmpx_ne_u32_e32 0, v37
	s_xor_b32 s7, exec_lo, s7
; %bb.5243:                             ;   in Loop: Header=BB6_4897 Depth=2
	s_delay_alu instid0(VALU_DEP_2) | instskip(SKIP_1) | instid1(VALU_DEP_1)
	v_cmp_lt_u64_e32 vcc_lo, 0xffffff, v[4:5]
	v_add_nc_u32_e32 v0, 15, v3
	v_cndmask_b32_e32 v2, v37, v0, vcc_lo
	v_cndmask_b32_e64 v0, 0, 1, vcc_lo
	s_delay_alu instid0(VALU_DEP_1)
	v_lshrrev_b64 v[0:1], v0, v[4:5]
; %bb.5244:                             ;   in Loop: Header=BB6_4897 Depth=2
	s_and_not1_saveexec_b32 s7, s7
; %bb.5245:                             ;   in Loop: Header=BB6_4897 Depth=2
	v_mov_b64_e32 v[0:1], v[4:5]
	v_bfe_u32 v2, v4, 23, 1
; %bb.5246:                             ;   in Loop: Header=BB6_4897 Depth=2
	s_or_b32 exec_lo, exec_lo, s7
	s_delay_alu instid0(VALU_DEP_2) | instskip(NEXT) | instid1(VALU_DEP_2)
	v_lshrrev_b64 v[0:1], 21, v[0:1]
	v_cmp_gt_i32_e32 vcc_lo, 32, v2
	v_min_i32_e32 v3, 31, v2
	v_cmp_eq_u32_e64 s7, 0, v2
	s_delay_alu instid0(VALU_DEP_2) | instskip(SKIP_1) | instid1(VALU_DEP_2)
	v_dual_cndmask_b32 v1, 0, v1, vcc_lo :: v_dual_lshlrev_b32 v3, 2, v3
	v_cndmask_b32_e32 v0, 3, v0, vcc_lo
	v_and_b32_e32 v3, 0xfc, v3
	s_delay_alu instid0(VALU_DEP_2) | instskip(NEXT) | instid1(VALU_DEP_2)
	v_cmp_eq_u64_e32 vcc_lo, 0, v[0:1]
	v_and_or_b32 v0, v0, 3, v3
	s_and_b32 s7, s7, vcc_lo
	s_delay_alu instid0(VALU_DEP_1) | instid1(SALU_CYCLE_1)
	v_cndmask_b32_e64 v0, v0, 0, s7
	s_delay_alu instid0(VALU_DEP_1)
	v_or_b32_e32 v37, v0, v48
.LBB6_5247:                             ;   in Loop: Header=BB6_4897 Depth=2
	s_or_b32 exec_lo, exec_lo, s26
                                        ; implicit-def: $vgpr48
.LBB6_5248:                             ;   in Loop: Header=BB6_4897 Depth=2
	s_and_not1_saveexec_b32 s7, s25
; %bb.5249:                             ;   in Loop: Header=BB6_4897 Depth=2
	v_or_b32_e32 v37, 0x7b, v48
; %bb.5250:                             ;   in Loop: Header=BB6_4897 Depth=2
	s_or_b32 exec_lo, exec_lo, s7
                                        ; implicit-def: $vgpr0
                                        ; implicit-def: $vgpr1
.LBB6_5251:                             ;   in Loop: Header=BB6_4897 Depth=2
	s_and_not1_saveexec_b32 s7, s24
	s_cbranch_execz .LBB6_5257
; %bb.5252:                             ;   in Loop: Header=BB6_4897 Depth=2
	s_mov_b32 s24, exec_lo
                                        ; implicit-def: $vgpr37
	v_cmpx_ne_u64_e32 0, v[4:5]
	s_xor_b32 s24, exec_lo, s24
; %bb.5253:                             ;   in Loop: Header=BB6_4897 Depth=2
	v_or_b32_e32 v37, 0x7f, v1
                                        ; implicit-def: $vgpr0
; %bb.5254:                             ;   in Loop: Header=BB6_4897 Depth=2
	s_and_not1_saveexec_b32 s24, s24
; %bb.5255:                             ;   in Loop: Header=BB6_4897 Depth=2
	v_cmp_lt_i32_e32 vcc_lo, -1, v0
	v_cndmask_b32_e32 v37, 0xfc, v104, vcc_lo
; %bb.5256:                             ;   in Loop: Header=BB6_4897 Depth=2
	s_or_b32 exec_lo, exec_lo, s24
.LBB6_5257:                             ;   in Loop: Header=BB6_4897 Depth=2
	s_delay_alu instid0(SALU_CYCLE_1) | instskip(SKIP_3) | instid1(VALU_DEP_2)
	s_or_b32 exec_lo, exec_lo, s7
	v_lshrrev_b16 v0, 8, v50
	v_dual_mov_b32 v2, 0 :: v_dual_mov_b32 v3, 0
	s_mov_b32 s7, exec_lo
	v_cmpx_ne_u16_e32 0, v0
	s_cbranch_execz .LBB6_5267
; %bb.5258:                             ;   in Loop: Header=BB6_4897 Depth=2
	v_bfrev_b32_e32 v3, 1
	s_mov_b32 s24, exec_lo
	v_cmpx_ne_u16_e32 0x80, v0
	s_cbranch_execz .LBB6_5266
; %bb.5259:                             ;   in Loop: Header=BB6_4897 Depth=2
	v_and_b32_e32 v4, 0xffff, v0
	s_delay_alu instid0(VALU_DEP_1) | instskip(SKIP_1) | instid1(VALU_DEP_2)
	v_and_b32_e32 v3, 0x7c, v4
	v_and_b32_e32 v1, 3, v4
	v_cmp_ne_u32_e32 vcc_lo, 0x7c, v3
                                        ; implicit-def: $vgpr3
	s_and_saveexec_b32 s25, vcc_lo
	s_delay_alu instid0(SALU_CYCLE_1)
	s_xor_b32 s25, exec_lo, s25
	s_cbranch_execz .LBB6_5263
; %bb.5260:                             ;   in Loop: Header=BB6_4897 Depth=2
	v_bfe_u32 v3, v4, 2, 5
	s_mov_b32 s26, exec_lo
	s_delay_alu instid0(VALU_DEP_1)
	v_cmpx_eq_u32_e32 0, v3
	s_cbranch_execz .LBB6_5262
; %bb.5261:                             ;   in Loop: Header=BB6_4897 Depth=2
	v_clz_i32_u32_e32 v1, v1
	s_delay_alu instid0(VALU_DEP_1) | instskip(SKIP_1) | instid1(VALU_DEP_2)
	v_min_u32_e32 v3, 32, v1
	v_mov_b32_e32 v1, v5
	v_subrev_nc_u32_e32 v4, 29, v3
	v_sub_nc_u32_e32 v3, 30, v3
	s_delay_alu instid0(VALU_DEP_2) | instskip(NEXT) | instid1(VALU_DEP_1)
	v_lshlrev_b64_e32 v[0:1], v4, v[0:1]
	v_and_b32_e32 v1, 3, v0
.LBB6_5262:                             ;   in Loop: Header=BB6_4897 Depth=2
	s_or_b32 exec_lo, exec_lo, s26
	v_lshlrev_b32_e32 v0, 16, v50
	s_delay_alu instid0(VALU_DEP_1) | instskip(NEXT) | instid1(VALU_DEP_1)
	v_and_b32_e32 v0, 0x80000000, v0
	v_lshl_add_u32 v0, v3, 23, v0
	s_delay_alu instid0(VALU_DEP_1) | instskip(NEXT) | instid1(VALU_DEP_1)
	v_lshl_or_b32 v0, v1, 21, v0
                                        ; implicit-def: $vgpr1
	v_add_nc_u32_e32 v3, 0x38000000, v0
.LBB6_5263:                             ;   in Loop: Header=BB6_4897 Depth=2
	s_and_not1_saveexec_b32 s25, s25
; %bb.5264:                             ;   in Loop: Header=BB6_4897 Depth=2
	v_cmp_lt_i16_e32 vcc_lo, -1, v50
	v_cndmask_b32_e32 v0, 0xff800000, v105, vcc_lo
	v_cmp_eq_u32_e32 vcc_lo, 0, v1
	s_delay_alu instid0(VALU_DEP_2)
	v_cndmask_b32_e32 v3, 0x7f800001, v0, vcc_lo
; %bb.5265:                             ;   in Loop: Header=BB6_4897 Depth=2
	s_or_b32 exec_lo, exec_lo, s25
.LBB6_5266:                             ;   in Loop: Header=BB6_4897 Depth=2
	s_delay_alu instid0(SALU_CYCLE_1)
	s_or_b32 exec_lo, exec_lo, s24
.LBB6_5267:                             ;   in Loop: Header=BB6_4897 Depth=2
	s_delay_alu instid0(SALU_CYCLE_1) | instskip(SKIP_2) | instid1(VALU_DEP_1)
	s_or_b32 exec_lo, exec_lo, s7
	v_lshrrev_b16 v0, 8, v38
	s_mov_b32 s7, exec_lo
	v_cmpx_ne_u16_e32 0, v0
	s_cbranch_execz .LBB6_5277
; %bb.5268:                             ;   in Loop: Header=BB6_4897 Depth=2
	v_bfrev_b32_e32 v2, 1
	s_mov_b32 s24, exec_lo
	v_cmpx_ne_u16_e32 0x80, v0
	s_cbranch_execz .LBB6_5276
; %bb.5269:                             ;   in Loop: Header=BB6_4897 Depth=2
	v_and_b32_e32 v4, 0xffff, v0
	s_delay_alu instid0(VALU_DEP_1) | instskip(SKIP_1) | instid1(VALU_DEP_2)
	v_and_b32_e32 v2, 0x7c, v4
	v_and_b32_e32 v1, 3, v4
	v_cmp_ne_u32_e32 vcc_lo, 0x7c, v2
                                        ; implicit-def: $vgpr2
	s_and_saveexec_b32 s25, vcc_lo
	s_delay_alu instid0(SALU_CYCLE_1)
	s_xor_b32 s25, exec_lo, s25
	s_cbranch_execz .LBB6_5273
; %bb.5270:                             ;   in Loop: Header=BB6_4897 Depth=2
	v_bfe_u32 v2, v4, 2, 5
	s_mov_b32 s26, exec_lo
	s_delay_alu instid0(VALU_DEP_1)
	v_cmpx_eq_u32_e32 0, v2
	s_cbranch_execz .LBB6_5272
; %bb.5271:                             ;   in Loop: Header=BB6_4897 Depth=2
	v_clz_i32_u32_e32 v1, v1
	s_delay_alu instid0(VALU_DEP_1) | instskip(SKIP_1) | instid1(VALU_DEP_2)
	v_min_u32_e32 v2, 32, v1
	v_mov_b32_e32 v1, v5
	v_subrev_nc_u32_e32 v4, 29, v2
	v_sub_nc_u32_e32 v2, 30, v2
	s_delay_alu instid0(VALU_DEP_2) | instskip(NEXT) | instid1(VALU_DEP_1)
	v_lshlrev_b64_e32 v[0:1], v4, v[0:1]
	v_and_b32_e32 v1, 3, v0
.LBB6_5272:                             ;   in Loop: Header=BB6_4897 Depth=2
	s_or_b32 exec_lo, exec_lo, s26
	v_lshlrev_b32_e32 v0, 16, v38
	s_delay_alu instid0(VALU_DEP_1) | instskip(NEXT) | instid1(VALU_DEP_1)
	v_and_b32_e32 v0, 0x80000000, v0
	v_lshl_add_u32 v0, v2, 23, v0
	s_delay_alu instid0(VALU_DEP_1) | instskip(NEXT) | instid1(VALU_DEP_1)
	v_lshl_or_b32 v0, v1, 21, v0
                                        ; implicit-def: $vgpr1
	v_add_nc_u32_e32 v2, 0x38000000, v0
.LBB6_5273:                             ;   in Loop: Header=BB6_4897 Depth=2
	s_and_not1_saveexec_b32 s25, s25
; %bb.5274:                             ;   in Loop: Header=BB6_4897 Depth=2
	v_cmp_lt_i16_e32 vcc_lo, -1, v38
	v_cndmask_b32_e32 v0, 0xff800000, v105, vcc_lo
	v_cmp_eq_u32_e32 vcc_lo, 0, v1
	s_delay_alu instid0(VALU_DEP_2)
	v_cndmask_b32_e32 v2, 0x7f800001, v0, vcc_lo
; %bb.5275:                             ;   in Loop: Header=BB6_4897 Depth=2
	s_or_b32 exec_lo, exec_lo, s25
.LBB6_5276:                             ;   in Loop: Header=BB6_4897 Depth=2
	s_delay_alu instid0(SALU_CYCLE_1)
	s_or_b32 exec_lo, exec_lo, s24
.LBB6_5277:                             ;   in Loop: Header=BB6_4897 Depth=2
	s_delay_alu instid0(SALU_CYCLE_1) | instskip(NEXT) | instid1(VALU_DEP_1)
	s_or_b32 exec_lo, exec_lo, s7
	v_dual_mul_f32 v0, v3, v2 :: v_dual_mov_b32 v3, v5
                                        ; implicit-def: $vgpr48
	s_mov_b32 s7, exec_lo
	s_delay_alu instid0(VALU_DEP_1) | instskip(SKIP_2) | instid1(VALU_DEP_3)
	v_and_b32_e32 v2, 0x7f800000, v0
	v_and_b32_e32 v4, 0x7fffff, v0
	v_lshrrev_b32_e32 v1, 24, v0
	v_cmpx_ne_u64_e32 0x7f800000, v[2:3]
	s_xor_b32 s24, exec_lo, s7
	s_cbranch_execz .LBB6_5291
; %bb.5278:                             ;   in Loop: Header=BB6_4897 Depth=2
	v_and_b32_e32 v2, 0x7fffffff, v0
	v_mov_b32_e32 v3, v5
	v_and_b32_e32 v49, 0x80, v1
                                        ; implicit-def: $vgpr48
	s_mov_b32 s7, exec_lo
	s_delay_alu instid0(VALU_DEP_2)
	v_cmpx_gt_u64_e32 0x47600001, v[2:3]
	s_xor_b32 s25, exec_lo, s7
	s_cbranch_execz .LBB6_5288
; %bb.5279:                             ;   in Loop: Header=BB6_4897 Depth=2
	v_mov_b32_e32 v48, 0
	s_mov_b32 s26, exec_lo
	v_cmpx_ne_u32_e32 0, v0
	s_cbranch_execz .LBB6_5287
; %bb.5280:                             ;   in Loop: Header=BB6_4897 Depth=2
	v_bfe_u32 v48, v0, 23, 8
	v_or_b32_e32 v2, 0x800000, v4
	s_mov_b32 s27, exec_lo
	s_delay_alu instid0(VALU_DEP_2) | instskip(SKIP_1) | instid1(VALU_DEP_2)
	v_dual_mov_b32 v3, v5 :: v_dual_sub_nc_u32 v0, 0x71, v48
	v_cmp_gt_u32_e32 vcc_lo, 0x72, v48
	v_cndmask_b32_e32 v0, 0, v0, vcc_lo
	v_cmp_eq_u32_e32 vcc_lo, 0, v48
	s_delay_alu instid0(VALU_DEP_2) | instskip(NEXT) | instid1(VALU_DEP_1)
	v_cndmask_b32_e64 v54, v0, 0x70, vcc_lo
	v_dual_cndmask_b32 v2, v2, v4, vcc_lo :: v_dual_add_nc_u32 v0, 21, v54
	v_add_nc_u32_e32 v55, 20, v54
	s_delay_alu instid0(VALU_DEP_2) | instskip(NEXT) | instid1(VALU_DEP_2)
	v_lshlrev_b64_e64 v[0:1], v0, -1
	v_lshlrev_b64_e64 v[64:65], v55, 1
	s_delay_alu instid0(VALU_DEP_2) | instskip(NEXT) | instid1(VALU_DEP_3)
	v_bfi_b32 v67, v1, 0, 0
	v_bfi_b32 v66, v0, 0, v2
	v_lshrrev_b64 v[0:1], v54, v[2:3]
	s_delay_alu instid0(VALU_DEP_1) | instskip(NEXT) | instid1(VALU_DEP_3)
	v_mov_b64_e32 v[2:3], v[0:1]
	v_cmpx_eq_u64_e64 v[66:67], v[64:65]
; %bb.5281:                             ;   in Loop: Header=BB6_4897 Depth=2
	v_bfe_u32 v2, v0, 21, 1
	v_mov_b32_e32 v3, v5
	s_delay_alu instid0(VALU_DEP_1) | instskip(NEXT) | instid1(VALU_DEP_1)
	v_add_nc_u64_e32 v[2:3], v[0:1], v[2:3]
	v_add_nc_u64_e32 v[2:3], -1, v[2:3]
; %bb.5282:                             ;   in Loop: Header=BB6_4897 Depth=2
	s_or_b32 exec_lo, exec_lo, s27
	v_add_nc_u32_e32 v1, 0xffffff81, v48
	v_lshrrev_b32_e32 v3, 23, v0
	s_mov_b32 s7, exec_lo
	s_delay_alu instid0(VALU_DEP_2) | instskip(NEXT) | instid1(VALU_DEP_1)
	v_cndmask_b32_e64 v1, v1, 0xffffff82, vcc_lo
	v_add3_u32 v3, v54, v1, v3
	v_and_b32_e32 v1, 0x1fffff, v2
                                        ; implicit-def: $vgpr2
	s_delay_alu instid0(VALU_DEP_1) | instskip(NEXT) | instid1(VALU_DEP_1)
	v_dual_add_nc_u32 v48, 14, v3 :: v_dual_add_nc_u32 v4, v1, v0
                                        ; implicit-def: $vgpr0_vgpr1
	v_cmpx_ne_u32_e32 0, v48
	s_xor_b32 s7, exec_lo, s7
; %bb.5283:                             ;   in Loop: Header=BB6_4897 Depth=2
	s_delay_alu instid0(VALU_DEP_2) | instskip(SKIP_1) | instid1(VALU_DEP_1)
	v_cmp_lt_u64_e32 vcc_lo, 0xffffff, v[4:5]
	v_add_nc_u32_e32 v0, 15, v3
	v_cndmask_b32_e32 v2, v48, v0, vcc_lo
	v_cndmask_b32_e64 v0, 0, 1, vcc_lo
	s_delay_alu instid0(VALU_DEP_1)
	v_lshrrev_b64 v[0:1], v0, v[4:5]
; %bb.5284:                             ;   in Loop: Header=BB6_4897 Depth=2
	s_and_not1_saveexec_b32 s7, s7
; %bb.5285:                             ;   in Loop: Header=BB6_4897 Depth=2
	v_mov_b64_e32 v[0:1], v[4:5]
	v_bfe_u32 v2, v4, 23, 1
; %bb.5286:                             ;   in Loop: Header=BB6_4897 Depth=2
	s_or_b32 exec_lo, exec_lo, s7
	s_delay_alu instid0(VALU_DEP_2) | instskip(NEXT) | instid1(VALU_DEP_2)
	v_lshrrev_b64 v[0:1], 21, v[0:1]
	v_cmp_gt_i32_e32 vcc_lo, 32, v2
	v_min_i32_e32 v3, 31, v2
	v_cmp_eq_u32_e64 s7, 0, v2
	s_delay_alu instid0(VALU_DEP_2) | instskip(SKIP_1) | instid1(VALU_DEP_2)
	v_dual_cndmask_b32 v1, 0, v1, vcc_lo :: v_dual_lshlrev_b32 v3, 2, v3
	v_cndmask_b32_e32 v0, 3, v0, vcc_lo
	v_and_b32_e32 v3, 0xfc, v3
	s_delay_alu instid0(VALU_DEP_2) | instskip(NEXT) | instid1(VALU_DEP_2)
	v_cmp_eq_u64_e32 vcc_lo, 0, v[0:1]
	v_and_or_b32 v0, v0, 3, v3
	s_and_b32 s7, s7, vcc_lo
	s_delay_alu instid0(VALU_DEP_1) | instid1(SALU_CYCLE_1)
	v_cndmask_b32_e64 v0, v0, 0, s7
	s_delay_alu instid0(VALU_DEP_1)
	v_or_b32_e32 v48, v0, v49
.LBB6_5287:                             ;   in Loop: Header=BB6_4897 Depth=2
	s_or_b32 exec_lo, exec_lo, s26
                                        ; implicit-def: $vgpr49
.LBB6_5288:                             ;   in Loop: Header=BB6_4897 Depth=2
	s_and_not1_saveexec_b32 s7, s25
; %bb.5289:                             ;   in Loop: Header=BB6_4897 Depth=2
	v_or_b32_e32 v48, 0x7b, v49
; %bb.5290:                             ;   in Loop: Header=BB6_4897 Depth=2
	s_or_b32 exec_lo, exec_lo, s7
                                        ; implicit-def: $vgpr0
                                        ; implicit-def: $vgpr1
.LBB6_5291:                             ;   in Loop: Header=BB6_4897 Depth=2
	s_and_not1_saveexec_b32 s7, s24
	s_cbranch_execz .LBB6_5297
; %bb.5292:                             ;   in Loop: Header=BB6_4897 Depth=2
	s_mov_b32 s24, exec_lo
                                        ; implicit-def: $vgpr48
	v_cmpx_ne_u64_e32 0, v[4:5]
	s_xor_b32 s24, exec_lo, s24
; %bb.5293:                             ;   in Loop: Header=BB6_4897 Depth=2
	v_or_b32_e32 v48, 0x7f, v1
                                        ; implicit-def: $vgpr0
; %bb.5294:                             ;   in Loop: Header=BB6_4897 Depth=2
	s_and_not1_saveexec_b32 s24, s24
; %bb.5295:                             ;   in Loop: Header=BB6_4897 Depth=2
	v_cmp_lt_i32_e32 vcc_lo, -1, v0
	v_cndmask_b32_e32 v48, 0xfc, v104, vcc_lo
; %bb.5296:                             ;   in Loop: Header=BB6_4897 Depth=2
	s_or_b32 exec_lo, exec_lo, s24
.LBB6_5297:                             ;   in Loop: Header=BB6_4897 Depth=2
	s_delay_alu instid0(SALU_CYCLE_1) | instskip(SKIP_3) | instid1(VALU_DEP_2)
	s_or_b32 exec_lo, exec_lo, s7
	v_dual_mov_b32 v1, 0 :: v_dual_lshrrev_b32 v0, 16, v50
	v_mov_b32_e32 v2, 0
	s_mov_b32 s7, exec_lo
	v_and_b32_e32 v3, 0xff, v0
	s_delay_alu instid0(VALU_DEP_1)
	v_cmpx_ne_u16_e32 0, v3
	s_cbranch_execz .LBB6_5307
; %bb.5298:                             ;   in Loop: Header=BB6_4897 Depth=2
	v_bfrev_b32_e32 v2, 1
	s_mov_b32 s24, exec_lo
	v_cmpx_ne_u16_e32 0x80, v3
	s_cbranch_execz .LBB6_5306
; %bb.5299:                             ;   in Loop: Header=BB6_4897 Depth=2
	v_and_b32_e32 v2, 0x7c0000, v50
	v_bfe_u32 v3, v50, 16, 2
	s_delay_alu instid0(VALU_DEP_2) | instskip(SKIP_1) | instid1(SALU_CYCLE_1)
	v_cmp_ne_u32_e32 vcc_lo, 0x7c0000, v2
                                        ; implicit-def: $vgpr2
	s_and_saveexec_b32 s25, vcc_lo
	s_xor_b32 s25, exec_lo, s25
	s_cbranch_execz .LBB6_5303
; %bb.5300:                             ;   in Loop: Header=BB6_4897 Depth=2
	v_bfe_u32 v2, v50, 18, 5
	s_mov_b32 s26, exec_lo
	s_delay_alu instid0(VALU_DEP_1)
	v_cmpx_eq_u32_e32 0, v2
; %bb.5301:                             ;   in Loop: Header=BB6_4897 Depth=2
	v_clz_i32_u32_e32 v2, v3
	s_delay_alu instid0(VALU_DEP_1) | instskip(NEXT) | instid1(VALU_DEP_1)
	v_min_u32_e32 v2, 32, v2
	v_subrev_nc_u32_e32 v3, 29, v2
	v_sub_nc_u32_e32 v2, 30, v2
	s_delay_alu instid0(VALU_DEP_2) | instskip(NEXT) | instid1(VALU_DEP_1)
	v_lshlrev_b64_e32 v[54:55], v3, v[0:1]
	v_and_b32_e32 v3, 3, v54
; %bb.5302:                             ;   in Loop: Header=BB6_4897 Depth=2
	s_or_b32 exec_lo, exec_lo, s26
	v_lshlrev_b32_e32 v0, 24, v0
	s_delay_alu instid0(VALU_DEP_1) | instskip(NEXT) | instid1(VALU_DEP_1)
	v_and_b32_e32 v0, 0x80000000, v0
	v_lshl_add_u32 v0, v2, 23, v0
	s_delay_alu instid0(VALU_DEP_1) | instskip(NEXT) | instid1(VALU_DEP_1)
	v_lshl_or_b32 v0, v3, 21, v0
                                        ; implicit-def: $vgpr3
	v_add_nc_u32_e32 v2, 0x38000000, v0
                                        ; implicit-def: $vgpr0
.LBB6_5303:                             ;   in Loop: Header=BB6_4897 Depth=2
	s_and_not1_saveexec_b32 s25, s25
; %bb.5304:                             ;   in Loop: Header=BB6_4897 Depth=2
	v_bfe_i32 v0, v0, 0, 8
	s_delay_alu instid0(VALU_DEP_1) | instskip(SKIP_2) | instid1(VALU_DEP_2)
	v_cmp_lt_i16_e32 vcc_lo, -1, v0
	v_cndmask_b32_e32 v0, 0xff800000, v105, vcc_lo
	v_cmp_eq_u32_e32 vcc_lo, 0, v3
	v_cndmask_b32_e32 v2, 0x7f800001, v0, vcc_lo
; %bb.5305:                             ;   in Loop: Header=BB6_4897 Depth=2
	s_or_b32 exec_lo, exec_lo, s25
.LBB6_5306:                             ;   in Loop: Header=BB6_4897 Depth=2
	s_delay_alu instid0(SALU_CYCLE_1)
	s_or_b32 exec_lo, exec_lo, s24
.LBB6_5307:                             ;   in Loop: Header=BB6_4897 Depth=2
	s_delay_alu instid0(SALU_CYCLE_1) | instskip(SKIP_2) | instid1(VALU_DEP_1)
	s_or_b32 exec_lo, exec_lo, s7
	v_lshrrev_b32_e32 v0, 16, v38
	s_mov_b32 s7, exec_lo
	v_and_b32_e32 v3, 0xff, v0
	s_delay_alu instid0(VALU_DEP_1)
	v_cmpx_ne_u16_e32 0, v3
	s_cbranch_execz .LBB6_5317
; %bb.5308:                             ;   in Loop: Header=BB6_4897 Depth=2
	v_bfrev_b32_e32 v1, 1
	s_mov_b32 s24, exec_lo
	v_cmpx_ne_u16_e32 0x80, v3
	s_cbranch_execz .LBB6_5316
; %bb.5309:                             ;   in Loop: Header=BB6_4897 Depth=2
	v_and_b32_e32 v1, 0x7c0000, v38
	v_bfe_u32 v3, v38, 16, 2
	s_delay_alu instid0(VALU_DEP_2) | instskip(SKIP_1) | instid1(SALU_CYCLE_1)
	v_cmp_ne_u32_e32 vcc_lo, 0x7c0000, v1
                                        ; implicit-def: $vgpr1
	s_and_saveexec_b32 s25, vcc_lo
	s_xor_b32 s25, exec_lo, s25
	s_cbranch_execz .LBB6_5313
; %bb.5310:                             ;   in Loop: Header=BB6_4897 Depth=2
	v_bfe_u32 v1, v38, 18, 5
	s_mov_b32 s26, exec_lo
	s_delay_alu instid0(VALU_DEP_1)
	v_cmpx_eq_u32_e32 0, v1
; %bb.5311:                             ;   in Loop: Header=BB6_4897 Depth=2
	v_clz_i32_u32_e32 v1, v3
	s_delay_alu instid0(VALU_DEP_1) | instskip(NEXT) | instid1(VALU_DEP_1)
	v_min_u32_e32 v1, 32, v1
	v_subrev_nc_u32_e32 v3, 29, v1
	s_delay_alu instid0(VALU_DEP_1) | instskip(NEXT) | instid1(VALU_DEP_1)
	v_lshlrev_b64_e32 v[54:55], v3, v[0:1]
	v_dual_sub_nc_u32 v1, 30, v1 :: v_dual_bitop2_b32 v3, 3, v54 bitop3:0x40
; %bb.5312:                             ;   in Loop: Header=BB6_4897 Depth=2
	s_or_b32 exec_lo, exec_lo, s26
	v_lshlrev_b32_e32 v0, 24, v0
	s_delay_alu instid0(VALU_DEP_1) | instskip(NEXT) | instid1(VALU_DEP_1)
	v_and_b32_e32 v0, 0x80000000, v0
	v_lshl_add_u32 v0, v1, 23, v0
	s_delay_alu instid0(VALU_DEP_1) | instskip(NEXT) | instid1(VALU_DEP_1)
	v_lshl_or_b32 v0, v3, 21, v0
                                        ; implicit-def: $vgpr3
	v_add_nc_u32_e32 v1, 0x38000000, v0
                                        ; implicit-def: $vgpr0
.LBB6_5313:                             ;   in Loop: Header=BB6_4897 Depth=2
	s_and_not1_saveexec_b32 s25, s25
; %bb.5314:                             ;   in Loop: Header=BB6_4897 Depth=2
	v_bfe_i32 v0, v0, 0, 8
	s_delay_alu instid0(VALU_DEP_1) | instskip(SKIP_2) | instid1(VALU_DEP_2)
	v_cmp_lt_i16_e32 vcc_lo, -1, v0
	v_cndmask_b32_e32 v0, 0xff800000, v105, vcc_lo
	v_cmp_eq_u32_e32 vcc_lo, 0, v3
	v_cndmask_b32_e32 v1, 0x7f800001, v0, vcc_lo
; %bb.5315:                             ;   in Loop: Header=BB6_4897 Depth=2
	s_or_b32 exec_lo, exec_lo, s25
.LBB6_5316:                             ;   in Loop: Header=BB6_4897 Depth=2
	s_delay_alu instid0(SALU_CYCLE_1)
	s_or_b32 exec_lo, exec_lo, s24
.LBB6_5317:                             ;   in Loop: Header=BB6_4897 Depth=2
	s_delay_alu instid0(SALU_CYCLE_1) | instskip(NEXT) | instid1(VALU_DEP_1)
	s_or_b32 exec_lo, exec_lo, s7
	v_dual_mul_f32 v0, v2, v1 :: v_dual_mov_b32 v3, v5
                                        ; implicit-def: $vgpr49
	s_mov_b32 s7, exec_lo
	s_delay_alu instid0(VALU_DEP_1) | instskip(SKIP_2) | instid1(VALU_DEP_3)
	v_and_b32_e32 v2, 0x7f800000, v0
	v_and_b32_e32 v4, 0x7fffff, v0
	v_lshrrev_b32_e32 v1, 24, v0
	v_cmpx_ne_u64_e32 0x7f800000, v[2:3]
	s_xor_b32 s24, exec_lo, s7
	s_cbranch_execz .LBB6_5331
; %bb.5318:                             ;   in Loop: Header=BB6_4897 Depth=2
	v_and_b32_e32 v2, 0x7fffffff, v0
	v_mov_b32_e32 v3, v5
	v_and_b32_e32 v54, 0x80, v1
                                        ; implicit-def: $vgpr49
	s_mov_b32 s7, exec_lo
	s_delay_alu instid0(VALU_DEP_2)
	v_cmpx_gt_u64_e32 0x47600001, v[2:3]
	s_xor_b32 s25, exec_lo, s7
	s_cbranch_execz .LBB6_5328
; %bb.5319:                             ;   in Loop: Header=BB6_4897 Depth=2
	v_mov_b32_e32 v49, 0
	s_mov_b32 s26, exec_lo
	v_cmpx_ne_u32_e32 0, v0
	s_cbranch_execz .LBB6_5327
; %bb.5320:                             ;   in Loop: Header=BB6_4897 Depth=2
	v_bfe_u32 v49, v0, 23, 8
	v_or_b32_e32 v2, 0x800000, v4
	s_mov_b32 s27, exec_lo
	s_delay_alu instid0(VALU_DEP_2) | instskip(SKIP_1) | instid1(VALU_DEP_2)
	v_dual_mov_b32 v3, v5 :: v_dual_sub_nc_u32 v0, 0x71, v49
	v_cmp_gt_u32_e32 vcc_lo, 0x72, v49
	v_cndmask_b32_e32 v0, 0, v0, vcc_lo
	v_cmp_eq_u32_e32 vcc_lo, 0, v49
	s_delay_alu instid0(VALU_DEP_2) | instskip(NEXT) | instid1(VALU_DEP_1)
	v_cndmask_b32_e64 v55, v0, 0x70, vcc_lo
	v_dual_cndmask_b32 v2, v2, v4, vcc_lo :: v_dual_add_nc_u32 v0, 21, v55
	v_add_nc_u32_e32 v64, 20, v55
	s_delay_alu instid0(VALU_DEP_2) | instskip(NEXT) | instid1(VALU_DEP_2)
	v_lshlrev_b64_e64 v[0:1], v0, -1
	v_lshlrev_b64_e64 v[64:65], v64, 1
	s_delay_alu instid0(VALU_DEP_2) | instskip(NEXT) | instid1(VALU_DEP_3)
	v_bfi_b32 v67, v1, 0, 0
	v_bfi_b32 v66, v0, 0, v2
	v_lshrrev_b64 v[0:1], v55, v[2:3]
	s_delay_alu instid0(VALU_DEP_1) | instskip(NEXT) | instid1(VALU_DEP_3)
	v_mov_b64_e32 v[2:3], v[0:1]
	v_cmpx_eq_u64_e64 v[66:67], v[64:65]
; %bb.5321:                             ;   in Loop: Header=BB6_4897 Depth=2
	v_bfe_u32 v2, v0, 21, 1
	v_mov_b32_e32 v3, v5
	s_delay_alu instid0(VALU_DEP_1) | instskip(NEXT) | instid1(VALU_DEP_1)
	v_add_nc_u64_e32 v[2:3], v[0:1], v[2:3]
	v_add_nc_u64_e32 v[2:3], -1, v[2:3]
; %bb.5322:                             ;   in Loop: Header=BB6_4897 Depth=2
	s_or_b32 exec_lo, exec_lo, s27
	v_add_nc_u32_e32 v1, 0xffffff81, v49
	v_lshrrev_b32_e32 v3, 23, v0
	s_mov_b32 s7, exec_lo
	s_delay_alu instid0(VALU_DEP_2) | instskip(NEXT) | instid1(VALU_DEP_1)
	v_cndmask_b32_e64 v1, v1, 0xffffff82, vcc_lo
	v_add3_u32 v3, v55, v1, v3
	v_and_b32_e32 v1, 0x1fffff, v2
                                        ; implicit-def: $vgpr2
	s_delay_alu instid0(VALU_DEP_1) | instskip(NEXT) | instid1(VALU_DEP_1)
	v_dual_add_nc_u32 v49, 14, v3 :: v_dual_add_nc_u32 v4, v1, v0
                                        ; implicit-def: $vgpr0_vgpr1
	v_cmpx_ne_u32_e32 0, v49
	s_xor_b32 s7, exec_lo, s7
; %bb.5323:                             ;   in Loop: Header=BB6_4897 Depth=2
	s_delay_alu instid0(VALU_DEP_2) | instskip(SKIP_1) | instid1(VALU_DEP_1)
	v_cmp_lt_u64_e32 vcc_lo, 0xffffff, v[4:5]
	v_add_nc_u32_e32 v0, 15, v3
	v_cndmask_b32_e32 v2, v49, v0, vcc_lo
	v_cndmask_b32_e64 v0, 0, 1, vcc_lo
	s_delay_alu instid0(VALU_DEP_1)
	v_lshrrev_b64 v[0:1], v0, v[4:5]
; %bb.5324:                             ;   in Loop: Header=BB6_4897 Depth=2
	s_and_not1_saveexec_b32 s7, s7
; %bb.5325:                             ;   in Loop: Header=BB6_4897 Depth=2
	v_mov_b64_e32 v[0:1], v[4:5]
	v_bfe_u32 v2, v4, 23, 1
; %bb.5326:                             ;   in Loop: Header=BB6_4897 Depth=2
	s_or_b32 exec_lo, exec_lo, s7
	s_delay_alu instid0(VALU_DEP_2) | instskip(NEXT) | instid1(VALU_DEP_2)
	v_lshrrev_b64 v[0:1], 21, v[0:1]
	v_cmp_gt_i32_e32 vcc_lo, 32, v2
	v_min_i32_e32 v3, 31, v2
	v_cmp_eq_u32_e64 s7, 0, v2
	s_delay_alu instid0(VALU_DEP_2) | instskip(SKIP_1) | instid1(VALU_DEP_2)
	v_dual_cndmask_b32 v1, 0, v1, vcc_lo :: v_dual_lshlrev_b32 v3, 2, v3
	v_cndmask_b32_e32 v0, 3, v0, vcc_lo
	v_and_b32_e32 v3, 0xfc, v3
	s_delay_alu instid0(VALU_DEP_2) | instskip(NEXT) | instid1(VALU_DEP_2)
	v_cmp_eq_u64_e32 vcc_lo, 0, v[0:1]
	v_and_or_b32 v0, v0, 3, v3
	s_and_b32 s7, s7, vcc_lo
	s_delay_alu instid0(VALU_DEP_1) | instid1(SALU_CYCLE_1)
	v_cndmask_b32_e64 v0, v0, 0, s7
	s_delay_alu instid0(VALU_DEP_1)
	v_or_b32_e32 v49, v0, v54
.LBB6_5327:                             ;   in Loop: Header=BB6_4897 Depth=2
	s_or_b32 exec_lo, exec_lo, s26
                                        ; implicit-def: $vgpr54
.LBB6_5328:                             ;   in Loop: Header=BB6_4897 Depth=2
	s_and_not1_saveexec_b32 s7, s25
; %bb.5329:                             ;   in Loop: Header=BB6_4897 Depth=2
	v_or_b32_e32 v49, 0x7b, v54
; %bb.5330:                             ;   in Loop: Header=BB6_4897 Depth=2
	s_or_b32 exec_lo, exec_lo, s7
                                        ; implicit-def: $vgpr0
                                        ; implicit-def: $vgpr1
.LBB6_5331:                             ;   in Loop: Header=BB6_4897 Depth=2
	s_and_not1_saveexec_b32 s7, s24
	s_cbranch_execz .LBB6_5337
; %bb.5332:                             ;   in Loop: Header=BB6_4897 Depth=2
	s_mov_b32 s24, exec_lo
                                        ; implicit-def: $vgpr49
	v_cmpx_ne_u64_e32 0, v[4:5]
	s_xor_b32 s24, exec_lo, s24
; %bb.5333:                             ;   in Loop: Header=BB6_4897 Depth=2
	v_or_b32_e32 v49, 0x7f, v1
                                        ; implicit-def: $vgpr0
; %bb.5334:                             ;   in Loop: Header=BB6_4897 Depth=2
	s_and_not1_saveexec_b32 s24, s24
; %bb.5335:                             ;   in Loop: Header=BB6_4897 Depth=2
	v_cmp_lt_i32_e32 vcc_lo, -1, v0
	v_cndmask_b32_e32 v49, 0xfc, v104, vcc_lo
; %bb.5336:                             ;   in Loop: Header=BB6_4897 Depth=2
	s_or_b32 exec_lo, exec_lo, s24
.LBB6_5337:                             ;   in Loop: Header=BB6_4897 Depth=2
	s_delay_alu instid0(SALU_CYCLE_1)
	s_or_b32 exec_lo, exec_lo, s7
	v_dual_mov_b32 v1, 0 :: v_dual_mov_b32 v2, 0
	s_mov_b32 s7, exec_lo
	v_cmpx_lt_u32_e32 0xffffff, v50
	s_cbranch_execz .LBB6_5347
; %bb.5338:                             ;   in Loop: Header=BB6_4897 Depth=2
	v_lshrrev_b32_e32 v0, 24, v50
	v_bfrev_b32_e32 v2, 1
	s_mov_b32 s24, exec_lo
	s_delay_alu instid0(VALU_DEP_2)
	v_cmpx_ne_u32_e32 0x80, v0
	s_cbranch_execz .LBB6_5346
; %bb.5339:                             ;   in Loop: Header=BB6_4897 Depth=2
	v_and_b32_e32 v2, 0x7c000000, v50
	v_bfe_u32 v3, v50, 24, 2
	s_delay_alu instid0(VALU_DEP_2) | instskip(SKIP_1) | instid1(SALU_CYCLE_1)
	v_cmp_ne_u32_e32 vcc_lo, 0x7c000000, v2
                                        ; implicit-def: $vgpr2
	s_and_saveexec_b32 s25, vcc_lo
	s_xor_b32 s25, exec_lo, s25
	s_cbranch_execz .LBB6_5343
; %bb.5340:                             ;   in Loop: Header=BB6_4897 Depth=2
	v_bfe_u32 v2, v50, 26, 5
	s_mov_b32 s26, exec_lo
	s_delay_alu instid0(VALU_DEP_1)
	v_cmpx_eq_u32_e32 0, v2
; %bb.5341:                             ;   in Loop: Header=BB6_4897 Depth=2
	v_clz_i32_u32_e32 v2, v3
	s_delay_alu instid0(VALU_DEP_1) | instskip(NEXT) | instid1(VALU_DEP_1)
	v_min_u32_e32 v2, 32, v2
	v_subrev_nc_u32_e32 v3, 29, v2
	v_sub_nc_u32_e32 v2, 30, v2
	s_delay_alu instid0(VALU_DEP_2) | instskip(NEXT) | instid1(VALU_DEP_1)
	v_lshlrev_b64_e32 v[54:55], v3, v[0:1]
	v_and_b32_e32 v3, 3, v54
; %bb.5342:                             ;   in Loop: Header=BB6_4897 Depth=2
	s_or_b32 exec_lo, exec_lo, s26
	v_and_b32_e32 v0, 0x80000000, v50
	s_delay_alu instid0(VALU_DEP_1) | instskip(NEXT) | instid1(VALU_DEP_1)
	v_lshl_add_u32 v0, v2, 23, v0
	v_lshl_or_b32 v0, v3, 21, v0
                                        ; implicit-def: $vgpr3
	s_delay_alu instid0(VALU_DEP_1)
	v_add_nc_u32_e32 v2, 0x38000000, v0
.LBB6_5343:                             ;   in Loop: Header=BB6_4897 Depth=2
	s_and_not1_saveexec_b32 s25, s25
; %bb.5344:                             ;   in Loop: Header=BB6_4897 Depth=2
	v_cmp_lt_i32_e32 vcc_lo, -1, v50
	v_cndmask_b32_e32 v0, 0xff800000, v105, vcc_lo
	v_cmp_eq_u32_e32 vcc_lo, 0, v3
	s_delay_alu instid0(VALU_DEP_2)
	v_cndmask_b32_e32 v2, 0x7f800001, v0, vcc_lo
; %bb.5345:                             ;   in Loop: Header=BB6_4897 Depth=2
	s_or_b32 exec_lo, exec_lo, s25
.LBB6_5346:                             ;   in Loop: Header=BB6_4897 Depth=2
	s_delay_alu instid0(SALU_CYCLE_1)
	s_or_b32 exec_lo, exec_lo, s24
.LBB6_5347:                             ;   in Loop: Header=BB6_4897 Depth=2
	s_delay_alu instid0(SALU_CYCLE_1) | instskip(NEXT) | instid1(SALU_CYCLE_1)
	s_or_b32 exec_lo, exec_lo, s7
	s_mov_b32 s7, exec_lo
	v_cmpx_lt_u32_e32 0xffffff, v38
	s_cbranch_execz .LBB6_5357
; %bb.5348:                             ;   in Loop: Header=BB6_4897 Depth=2
	v_lshrrev_b32_e32 v0, 24, v38
	v_bfrev_b32_e32 v1, 1
	s_mov_b32 s24, exec_lo
	s_delay_alu instid0(VALU_DEP_2)
	v_cmpx_ne_u32_e32 0x80, v0
	s_cbranch_execz .LBB6_5356
; %bb.5349:                             ;   in Loop: Header=BB6_4897 Depth=2
	v_and_b32_e32 v1, 0x7c000000, v38
	v_bfe_u32 v3, v38, 24, 2
	s_delay_alu instid0(VALU_DEP_2) | instskip(SKIP_1) | instid1(SALU_CYCLE_1)
	v_cmp_ne_u32_e32 vcc_lo, 0x7c000000, v1
                                        ; implicit-def: $vgpr1
	s_and_saveexec_b32 s25, vcc_lo
	s_xor_b32 s25, exec_lo, s25
	s_cbranch_execz .LBB6_5353
; %bb.5350:                             ;   in Loop: Header=BB6_4897 Depth=2
	v_bfe_u32 v1, v38, 26, 5
	s_mov_b32 s26, exec_lo
	s_delay_alu instid0(VALU_DEP_1)
	v_cmpx_eq_u32_e32 0, v1
; %bb.5351:                             ;   in Loop: Header=BB6_4897 Depth=2
	v_clz_i32_u32_e32 v1, v3
	s_delay_alu instid0(VALU_DEP_1) | instskip(NEXT) | instid1(VALU_DEP_1)
	v_min_u32_e32 v3, 32, v1
	v_subrev_nc_u32_e32 v1, 29, v3
	s_delay_alu instid0(VALU_DEP_1) | instskip(NEXT) | instid1(VALU_DEP_1)
	v_lshlrev_b64_e32 v[0:1], v1, v[0:1]
	v_dual_sub_nc_u32 v1, 30, v3 :: v_dual_bitop2_b32 v3, 3, v0 bitop3:0x40
; %bb.5352:                             ;   in Loop: Header=BB6_4897 Depth=2
	s_or_b32 exec_lo, exec_lo, s26
	v_and_b32_e32 v0, 0x80000000, v38
	s_delay_alu instid0(VALU_DEP_1) | instskip(NEXT) | instid1(VALU_DEP_1)
	v_lshl_add_u32 v0, v1, 23, v0
	v_lshl_or_b32 v0, v3, 21, v0
                                        ; implicit-def: $vgpr3
	s_delay_alu instid0(VALU_DEP_1)
	v_add_nc_u32_e32 v1, 0x38000000, v0
.LBB6_5353:                             ;   in Loop: Header=BB6_4897 Depth=2
	s_and_not1_saveexec_b32 s25, s25
; %bb.5354:                             ;   in Loop: Header=BB6_4897 Depth=2
	v_cmp_lt_i32_e32 vcc_lo, -1, v38
	v_cndmask_b32_e32 v0, 0xff800000, v105, vcc_lo
	v_cmp_eq_u32_e32 vcc_lo, 0, v3
	s_delay_alu instid0(VALU_DEP_2)
	v_cndmask_b32_e32 v1, 0x7f800001, v0, vcc_lo
; %bb.5355:                             ;   in Loop: Header=BB6_4897 Depth=2
	s_or_b32 exec_lo, exec_lo, s25
.LBB6_5356:                             ;   in Loop: Header=BB6_4897 Depth=2
	s_delay_alu instid0(SALU_CYCLE_1)
	s_or_b32 exec_lo, exec_lo, s24
.LBB6_5357:                             ;   in Loop: Header=BB6_4897 Depth=2
	s_delay_alu instid0(SALU_CYCLE_1) | instskip(NEXT) | instid1(VALU_DEP_1)
	s_or_b32 exec_lo, exec_lo, s7
	v_dual_mul_f32 v0, v2, v1 :: v_dual_mov_b32 v3, v5
                                        ; implicit-def: $vgpr54
	s_mov_b32 s7, exec_lo
	s_delay_alu instid0(VALU_DEP_1) | instskip(SKIP_2) | instid1(VALU_DEP_3)
	v_and_b32_e32 v2, 0x7f800000, v0
	v_and_b32_e32 v4, 0x7fffff, v0
	v_lshrrev_b32_e32 v1, 24, v0
	v_cmpx_ne_u64_e32 0x7f800000, v[2:3]
	s_xor_b32 s24, exec_lo, s7
	s_cbranch_execz .LBB6_5371
; %bb.5358:                             ;   in Loop: Header=BB6_4897 Depth=2
	v_and_b32_e32 v2, 0x7fffffff, v0
	v_mov_b32_e32 v3, v5
	v_and_b32_e32 v55, 0x80, v1
                                        ; implicit-def: $vgpr54
	s_mov_b32 s7, exec_lo
	s_delay_alu instid0(VALU_DEP_2)
	v_cmpx_gt_u64_e32 0x47600001, v[2:3]
	s_xor_b32 s25, exec_lo, s7
	s_cbranch_execz .LBB6_5368
; %bb.5359:                             ;   in Loop: Header=BB6_4897 Depth=2
	v_mov_b32_e32 v54, 0
	s_mov_b32 s26, exec_lo
	v_cmpx_ne_u32_e32 0, v0
	s_cbranch_execz .LBB6_5367
; %bb.5360:                             ;   in Loop: Header=BB6_4897 Depth=2
	v_bfe_u32 v54, v0, 23, 8
	v_or_b32_e32 v2, 0x800000, v4
	s_mov_b32 s27, exec_lo
	s_delay_alu instid0(VALU_DEP_2) | instskip(SKIP_1) | instid1(VALU_DEP_2)
	v_dual_mov_b32 v3, v5 :: v_dual_sub_nc_u32 v0, 0x71, v54
	v_cmp_gt_u32_e32 vcc_lo, 0x72, v54
	v_cndmask_b32_e32 v0, 0, v0, vcc_lo
	v_cmp_eq_u32_e32 vcc_lo, 0, v54
	s_delay_alu instid0(VALU_DEP_2) | instskip(SKIP_1) | instid1(VALU_DEP_2)
	v_cndmask_b32_e64 v64, v0, 0x70, vcc_lo
	v_cndmask_b32_e32 v2, v2, v4, vcc_lo
	v_dual_add_nc_u32 v0, 21, v64 :: v_dual_add_nc_u32 v65, 20, v64
	s_delay_alu instid0(VALU_DEP_1) | instskip(NEXT) | instid1(VALU_DEP_2)
	v_lshlrev_b64_e64 v[0:1], v0, -1
	v_lshlrev_b64_e64 v[66:67], v65, 1
	s_delay_alu instid0(VALU_DEP_2) | instskip(NEXT) | instid1(VALU_DEP_3)
	v_bfi_b32 v69, v1, 0, 0
	v_bfi_b32 v68, v0, 0, v2
	v_lshrrev_b64 v[0:1], v64, v[2:3]
	s_delay_alu instid0(VALU_DEP_1) | instskip(NEXT) | instid1(VALU_DEP_3)
	v_mov_b64_e32 v[2:3], v[0:1]
	v_cmpx_eq_u64_e64 v[68:69], v[66:67]
; %bb.5361:                             ;   in Loop: Header=BB6_4897 Depth=2
	v_bfe_u32 v2, v0, 21, 1
	v_mov_b32_e32 v3, v5
	s_delay_alu instid0(VALU_DEP_1) | instskip(NEXT) | instid1(VALU_DEP_1)
	v_add_nc_u64_e32 v[2:3], v[0:1], v[2:3]
	v_add_nc_u64_e32 v[2:3], -1, v[2:3]
; %bb.5362:                             ;   in Loop: Header=BB6_4897 Depth=2
	s_or_b32 exec_lo, exec_lo, s27
	v_add_nc_u32_e32 v1, 0xffffff81, v54
	v_lshrrev_b32_e32 v3, 23, v0
	s_mov_b32 s7, exec_lo
	s_delay_alu instid0(VALU_DEP_2) | instskip(NEXT) | instid1(VALU_DEP_1)
	v_cndmask_b32_e64 v1, v1, 0xffffff82, vcc_lo
	v_add3_u32 v3, v64, v1, v3
	v_and_b32_e32 v1, 0x1fffff, v2
                                        ; implicit-def: $vgpr2
	s_delay_alu instid0(VALU_DEP_1) | instskip(NEXT) | instid1(VALU_DEP_1)
	v_dual_add_nc_u32 v54, 14, v3 :: v_dual_add_nc_u32 v4, v1, v0
                                        ; implicit-def: $vgpr0_vgpr1
	v_cmpx_ne_u32_e32 0, v54
	s_xor_b32 s7, exec_lo, s7
; %bb.5363:                             ;   in Loop: Header=BB6_4897 Depth=2
	s_delay_alu instid0(VALU_DEP_2) | instskip(SKIP_1) | instid1(VALU_DEP_1)
	v_cmp_lt_u64_e32 vcc_lo, 0xffffff, v[4:5]
	v_add_nc_u32_e32 v0, 15, v3
	v_cndmask_b32_e32 v2, v54, v0, vcc_lo
	v_cndmask_b32_e64 v0, 0, 1, vcc_lo
	s_delay_alu instid0(VALU_DEP_1)
	v_lshrrev_b64 v[0:1], v0, v[4:5]
; %bb.5364:                             ;   in Loop: Header=BB6_4897 Depth=2
	s_and_not1_saveexec_b32 s7, s7
; %bb.5365:                             ;   in Loop: Header=BB6_4897 Depth=2
	v_mov_b64_e32 v[0:1], v[4:5]
	v_bfe_u32 v2, v4, 23, 1
; %bb.5366:                             ;   in Loop: Header=BB6_4897 Depth=2
	s_or_b32 exec_lo, exec_lo, s7
	s_delay_alu instid0(VALU_DEP_2) | instskip(NEXT) | instid1(VALU_DEP_2)
	v_lshrrev_b64 v[0:1], 21, v[0:1]
	v_cmp_gt_i32_e32 vcc_lo, 32, v2
	v_min_i32_e32 v3, 31, v2
	v_cmp_eq_u32_e64 s7, 0, v2
	s_delay_alu instid0(VALU_DEP_2) | instskip(SKIP_1) | instid1(VALU_DEP_2)
	v_dual_cndmask_b32 v1, 0, v1, vcc_lo :: v_dual_lshlrev_b32 v3, 2, v3
	v_cndmask_b32_e32 v0, 3, v0, vcc_lo
	v_and_b32_e32 v3, 0xfc, v3
	s_delay_alu instid0(VALU_DEP_2) | instskip(NEXT) | instid1(VALU_DEP_2)
	v_cmp_eq_u64_e32 vcc_lo, 0, v[0:1]
	v_and_or_b32 v0, v0, 3, v3
	s_and_b32 s7, s7, vcc_lo
	s_delay_alu instid0(VALU_DEP_1) | instid1(SALU_CYCLE_1)
	v_cndmask_b32_e64 v0, v0, 0, s7
	s_delay_alu instid0(VALU_DEP_1)
	v_or_b32_e32 v54, v0, v55
.LBB6_5367:                             ;   in Loop: Header=BB6_4897 Depth=2
	s_or_b32 exec_lo, exec_lo, s26
                                        ; implicit-def: $vgpr55
.LBB6_5368:                             ;   in Loop: Header=BB6_4897 Depth=2
	s_and_not1_saveexec_b32 s7, s25
; %bb.5369:                             ;   in Loop: Header=BB6_4897 Depth=2
	v_or_b32_e32 v54, 0x7b, v55
; %bb.5370:                             ;   in Loop: Header=BB6_4897 Depth=2
	s_or_b32 exec_lo, exec_lo, s7
                                        ; implicit-def: $vgpr0
                                        ; implicit-def: $vgpr1
.LBB6_5371:                             ;   in Loop: Header=BB6_4897 Depth=2
	s_and_not1_saveexec_b32 s7, s24
	s_cbranch_execz .LBB6_5377
; %bb.5372:                             ;   in Loop: Header=BB6_4897 Depth=2
	s_mov_b32 s24, exec_lo
                                        ; implicit-def: $vgpr54
	v_cmpx_ne_u64_e32 0, v[4:5]
	s_xor_b32 s24, exec_lo, s24
; %bb.5373:                             ;   in Loop: Header=BB6_4897 Depth=2
	v_or_b32_e32 v54, 0x7f, v1
                                        ; implicit-def: $vgpr0
; %bb.5374:                             ;   in Loop: Header=BB6_4897 Depth=2
	s_and_not1_saveexec_b32 s24, s24
; %bb.5375:                             ;   in Loop: Header=BB6_4897 Depth=2
	v_cmp_lt_i32_e32 vcc_lo, -1, v0
	v_cndmask_b32_e32 v54, 0xfc, v104, vcc_lo
; %bb.5376:                             ;   in Loop: Header=BB6_4897 Depth=2
	s_or_b32 exec_lo, exec_lo, s24
.LBB6_5377:                             ;   in Loop: Header=BB6_4897 Depth=2
	s_delay_alu instid0(SALU_CYCLE_1) | instskip(SKIP_4) | instid1(VALU_DEP_3)
	s_or_b32 exec_lo, exec_lo, s7
	v_and_b32_e32 v2, 0xff, v51
	v_dual_mov_b32 v4, v51 :: v_dual_mov_b32 v1, 0
	v_mov_b32_e32 v0, 0
	s_mov_b32 s7, exec_lo
	v_cmpx_ne_u16_e32 0, v2
	s_cbranch_execz .LBB6_5387
; %bb.5378:                             ;   in Loop: Header=BB6_4897 Depth=2
	v_bfrev_b32_e32 v0, 1
	s_mov_b32 s24, exec_lo
	v_cmpx_ne_u16_e32 0x80, v2
	s_cbranch_execz .LBB6_5386
; %bb.5379:                             ;   in Loop: Header=BB6_4897 Depth=2
	v_and_b32_e32 v0, 0x7c, v51
	v_and_b32_e32 v2, 3, v51
	s_delay_alu instid0(VALU_DEP_2) | instskip(SKIP_1) | instid1(SALU_CYCLE_1)
	v_cmp_ne_u32_e32 vcc_lo, 0x7c, v0
                                        ; implicit-def: $vgpr0
	s_and_saveexec_b32 s25, vcc_lo
	s_xor_b32 s25, exec_lo, s25
	s_cbranch_execz .LBB6_5383
; %bb.5380:                             ;   in Loop: Header=BB6_4897 Depth=2
	v_bfe_u32 v0, v51, 2, 5
	s_mov_b32 s26, exec_lo
	s_delay_alu instid0(VALU_DEP_1)
	v_cmpx_eq_u32_e32 0, v0
; %bb.5381:                             ;   in Loop: Header=BB6_4897 Depth=2
	v_clz_i32_u32_e32 v0, v2
	s_delay_alu instid0(VALU_DEP_1) | instskip(NEXT) | instid1(VALU_DEP_1)
	v_min_u32_e32 v0, 32, v0
	v_subrev_nc_u32_e32 v2, 29, v0
	s_delay_alu instid0(VALU_DEP_1) | instskip(NEXT) | instid1(VALU_DEP_1)
	v_lshlrev_b64_e32 v[2:3], v2, v[4:5]
	v_dual_sub_nc_u32 v0, 30, v0 :: v_dual_bitop2_b32 v2, 3, v2 bitop3:0x40
; %bb.5382:                             ;   in Loop: Header=BB6_4897 Depth=2
	s_or_b32 exec_lo, exec_lo, s26
	v_lshlrev_b32_e32 v3, 24, v51
	s_delay_alu instid0(VALU_DEP_1) | instskip(NEXT) | instid1(VALU_DEP_1)
	v_and_b32_e32 v3, 0x80000000, v3
	v_lshl_add_u32 v0, v0, 23, v3
	s_delay_alu instid0(VALU_DEP_1) | instskip(NEXT) | instid1(VALU_DEP_1)
	v_lshl_or_b32 v0, v2, 21, v0
                                        ; implicit-def: $vgpr2
	v_add_nc_u32_e32 v0, 0x38000000, v0
.LBB6_5383:                             ;   in Loop: Header=BB6_4897 Depth=2
	s_and_not1_saveexec_b32 s25, s25
; %bb.5384:                             ;   in Loop: Header=BB6_4897 Depth=2
	v_bfe_i32 v0, v51, 0, 8
	s_delay_alu instid0(VALU_DEP_1) | instskip(SKIP_2) | instid1(VALU_DEP_2)
	v_cmp_lt_i16_e32 vcc_lo, -1, v0
	v_cndmask_b32_e32 v0, 0xff800000, v105, vcc_lo
	v_cmp_eq_u32_e32 vcc_lo, 0, v2
	v_cndmask_b32_e32 v0, 0x7f800001, v0, vcc_lo
; %bb.5385:                             ;   in Loop: Header=BB6_4897 Depth=2
	s_or_b32 exec_lo, exec_lo, s25
.LBB6_5386:                             ;   in Loop: Header=BB6_4897 Depth=2
	s_delay_alu instid0(SALU_CYCLE_1)
	s_or_b32 exec_lo, exec_lo, s24
.LBB6_5387:                             ;   in Loop: Header=BB6_4897 Depth=2
	s_delay_alu instid0(SALU_CYCLE_1) | instskip(SKIP_2) | instid1(VALU_DEP_1)
	s_or_b32 exec_lo, exec_lo, s7
	v_and_b32_e32 v2, 0xff, v39
	s_mov_b32 s7, exec_lo
	v_cmpx_ne_u16_e32 0, v2
	s_cbranch_execz .LBB6_5397
; %bb.5388:                             ;   in Loop: Header=BB6_4897 Depth=2
	v_bfrev_b32_e32 v1, 1
	s_mov_b32 s24, exec_lo
	v_cmpx_ne_u16_e32 0x80, v2
	s_cbranch_execz .LBB6_5396
; %bb.5389:                             ;   in Loop: Header=BB6_4897 Depth=2
	v_and_b32_e32 v1, 0x7c, v39
	v_and_b32_e32 v2, 3, v39
	s_delay_alu instid0(VALU_DEP_2) | instskip(SKIP_1) | instid1(SALU_CYCLE_1)
	v_cmp_ne_u32_e32 vcc_lo, 0x7c, v1
                                        ; implicit-def: $vgpr1
	s_and_saveexec_b32 s25, vcc_lo
	s_xor_b32 s25, exec_lo, s25
	s_cbranch_execz .LBB6_5393
; %bb.5390:                             ;   in Loop: Header=BB6_4897 Depth=2
	v_bfe_u32 v1, v39, 2, 5
	s_mov_b32 s26, exec_lo
	s_delay_alu instid0(VALU_DEP_1)
	v_cmpx_eq_u32_e32 0, v1
; %bb.5391:                             ;   in Loop: Header=BB6_4897 Depth=2
	v_clz_i32_u32_e32 v1, v2
	v_dual_mov_b32 v2, v39 :: v_dual_mov_b32 v3, v5
	s_delay_alu instid0(VALU_DEP_2) | instskip(NEXT) | instid1(VALU_DEP_1)
	v_min_u32_e32 v1, 32, v1
	v_subrev_nc_u32_e32 v55, 29, v1
	s_delay_alu instid0(VALU_DEP_1) | instskip(NEXT) | instid1(VALU_DEP_1)
	v_lshlrev_b64_e32 v[2:3], v55, v[2:3]
	v_dual_sub_nc_u32 v1, 30, v1 :: v_dual_bitop2_b32 v2, 3, v2 bitop3:0x40
; %bb.5392:                             ;   in Loop: Header=BB6_4897 Depth=2
	s_or_b32 exec_lo, exec_lo, s26
	v_lshlrev_b32_e32 v3, 24, v39
	s_delay_alu instid0(VALU_DEP_1) | instskip(NEXT) | instid1(VALU_DEP_1)
	v_and_b32_e32 v3, 0x80000000, v3
	v_lshl_add_u32 v1, v1, 23, v3
	s_delay_alu instid0(VALU_DEP_1) | instskip(NEXT) | instid1(VALU_DEP_1)
	v_lshl_or_b32 v1, v2, 21, v1
                                        ; implicit-def: $vgpr2
	v_add_nc_u32_e32 v1, 0x38000000, v1
.LBB6_5393:                             ;   in Loop: Header=BB6_4897 Depth=2
	s_and_not1_saveexec_b32 s25, s25
; %bb.5394:                             ;   in Loop: Header=BB6_4897 Depth=2
	v_bfe_i32 v1, v39, 0, 8
	s_delay_alu instid0(VALU_DEP_1) | instskip(SKIP_2) | instid1(VALU_DEP_2)
	v_cmp_lt_i16_e32 vcc_lo, -1, v1
	v_cndmask_b32_e32 v1, 0xff800000, v105, vcc_lo
	v_cmp_eq_u32_e32 vcc_lo, 0, v2
	v_cndmask_b32_e32 v1, 0x7f800001, v1, vcc_lo
; %bb.5395:                             ;   in Loop: Header=BB6_4897 Depth=2
	s_or_b32 exec_lo, exec_lo, s25
.LBB6_5396:                             ;   in Loop: Header=BB6_4897 Depth=2
	s_delay_alu instid0(SALU_CYCLE_1)
	s_or_b32 exec_lo, exec_lo, s24
.LBB6_5397:                             ;   in Loop: Header=BB6_4897 Depth=2
	s_delay_alu instid0(SALU_CYCLE_1) | instskip(NEXT) | instid1(VALU_DEP_1)
	s_or_b32 exec_lo, exec_lo, s7
	v_dual_mul_f32 v2, v0, v1 :: v_dual_mov_b32 v65, v5
	v_mov_b32_e32 v1, v5
                                        ; implicit-def: $vgpr55
	s_mov_b32 s7, exec_lo
	s_delay_alu instid0(VALU_DEP_2) | instskip(SKIP_2) | instid1(VALU_DEP_3)
	v_and_b32_e32 v64, 0x7f800000, v2
	v_and_b32_e32 v0, 0x7fffff, v2
	v_lshrrev_b32_e32 v3, 24, v2
	v_cmpx_ne_u64_e32 0x7f800000, v[64:65]
	s_xor_b32 s24, exec_lo, s7
	s_cbranch_execz .LBB6_5411
; %bb.5398:                             ;   in Loop: Header=BB6_4897 Depth=2
	v_and_b32_e32 v64, 0x7fffffff, v2
	v_mov_b32_e32 v65, v5
                                        ; implicit-def: $vgpr55
	s_delay_alu instid0(VALU_DEP_1) | instskip(SKIP_2) | instid1(SALU_CYCLE_1)
	v_cmp_gt_u64_e32 vcc_lo, 0x47600001, v[64:65]
	v_and_b32_e32 v64, 0x80, v3
	s_and_saveexec_b32 s7, vcc_lo
	s_xor_b32 s25, exec_lo, s7
	s_cbranch_execz .LBB6_5408
; %bb.5399:                             ;   in Loop: Header=BB6_4897 Depth=2
	v_mov_b32_e32 v55, 0
	s_mov_b32 s26, exec_lo
	v_cmpx_ne_u32_e32 0, v2
	s_cbranch_execz .LBB6_5407
; %bb.5400:                             ;   in Loop: Header=BB6_4897 Depth=2
	v_bfe_u32 v55, v2, 23, 8
	v_or_b32_e32 v66, 0x800000, v0
	s_delay_alu instid0(VALU_DEP_2) | instskip(SKIP_1) | instid1(VALU_DEP_2)
	v_sub_nc_u32_e32 v2, 0x71, v55
	v_cmp_gt_u32_e32 vcc_lo, 0x72, v55
	v_cndmask_b32_e32 v2, 0, v2, vcc_lo
	v_cmp_eq_u32_e32 vcc_lo, 0, v55
	s_delay_alu instid0(VALU_DEP_2) | instskip(NEXT) | instid1(VALU_DEP_1)
	v_cndmask_b32_e64 v65, v2, 0x70, vcc_lo
	v_dual_cndmask_b32 v0, v66, v0, vcc_lo :: v_dual_add_nc_u32 v2, 21, v65
	v_add_nc_u32_e32 v67, 20, v65
	s_delay_alu instid0(VALU_DEP_2) | instskip(NEXT) | instid1(VALU_DEP_2)
	v_lshlrev_b64_e64 v[2:3], v2, -1
	v_lshlrev_b64_e64 v[66:67], v67, 1
	s_delay_alu instid0(VALU_DEP_2) | instskip(SKIP_1) | instid1(VALU_DEP_4)
	v_bfi_b32 v2, v2, 0, v0
	v_lshrrev_b64 v[0:1], v65, v[0:1]
	v_bfi_b32 v3, v3, 0, 0
	s_delay_alu instid0(VALU_DEP_1) | instskip(NEXT) | instid1(VALU_DEP_3)
	v_cmp_eq_u64_e64 s7, v[2:3], v[66:67]
	v_mov_b64_e32 v[2:3], v[0:1]
	s_and_saveexec_b32 s27, s7
; %bb.5401:                             ;   in Loop: Header=BB6_4897 Depth=2
	v_bfe_u32 v2, v0, 21, 1
	v_mov_b32_e32 v3, v5
	s_delay_alu instid0(VALU_DEP_1) | instskip(NEXT) | instid1(VALU_DEP_1)
	v_add_nc_u64_e32 v[2:3], v[0:1], v[2:3]
	v_add_nc_u64_e32 v[2:3], -1, v[2:3]
; %bb.5402:                             ;   in Loop: Header=BB6_4897 Depth=2
	s_or_b32 exec_lo, exec_lo, s27
	v_add_nc_u32_e32 v1, 0xffffff81, v55
	v_lshrrev_b32_e32 v3, 23, v0
	s_mov_b32 s7, exec_lo
	s_delay_alu instid0(VALU_DEP_2) | instskip(NEXT) | instid1(VALU_DEP_1)
	v_cndmask_b32_e64 v1, v1, 0xffffff82, vcc_lo
	v_add3_u32 v3, v65, v1, v3
	v_and_b32_e32 v1, 0x1fffff, v2
                                        ; implicit-def: $vgpr2
	s_delay_alu instid0(VALU_DEP_1) | instskip(SKIP_1) | instid1(VALU_DEP_2)
	v_dual_add_nc_u32 v55, 14, v3 :: v_dual_add_nc_u32 v0, v1, v0
	v_mov_b32_e32 v1, v5
	v_cmpx_ne_u32_e32 0, v55
	s_xor_b32 s7, exec_lo, s7
; %bb.5403:                             ;   in Loop: Header=BB6_4897 Depth=2
	s_delay_alu instid0(VALU_DEP_2) | instskip(SKIP_2) | instid1(VALU_DEP_2)
	v_cmp_lt_u64_e32 vcc_lo, 0xffffff, v[0:1]
	v_add_nc_u32_e32 v2, 15, v3
	v_cndmask_b32_e64 v3, 0, 1, vcc_lo
	v_cndmask_b32_e32 v2, v55, v2, vcc_lo
	s_delay_alu instid0(VALU_DEP_2)
	v_lshrrev_b64 v[0:1], v3, v[0:1]
; %bb.5404:                             ;   in Loop: Header=BB6_4897 Depth=2
	s_and_not1_saveexec_b32 s7, s7
; %bb.5405:                             ;   in Loop: Header=BB6_4897 Depth=2
	s_delay_alu instid0(VALU_DEP_1)
	v_bfe_u32 v2, v0, 23, 1
; %bb.5406:                             ;   in Loop: Header=BB6_4897 Depth=2
	s_or_b32 exec_lo, exec_lo, s7
	s_delay_alu instid0(VALU_DEP_2) | instskip(NEXT) | instid1(VALU_DEP_2)
	v_lshrrev_b64 v[0:1], 21, v[0:1]
	v_cmp_gt_i32_e32 vcc_lo, 32, v2
	v_min_i32_e32 v3, 31, v2
	v_cmp_eq_u32_e64 s7, 0, v2
	s_delay_alu instid0(VALU_DEP_2) | instskip(SKIP_1) | instid1(VALU_DEP_2)
	v_dual_cndmask_b32 v1, 0, v1, vcc_lo :: v_dual_lshlrev_b32 v3, 2, v3
	v_cndmask_b32_e32 v0, 3, v0, vcc_lo
	v_and_b32_e32 v3, 0xfc, v3
	s_delay_alu instid0(VALU_DEP_2) | instskip(NEXT) | instid1(VALU_DEP_2)
	v_cmp_eq_u64_e32 vcc_lo, 0, v[0:1]
	v_and_or_b32 v0, v0, 3, v3
	s_and_b32 s7, s7, vcc_lo
	s_delay_alu instid0(VALU_DEP_1) | instid1(SALU_CYCLE_1)
	v_cndmask_b32_e64 v0, v0, 0, s7
	s_delay_alu instid0(VALU_DEP_1)
	v_or_b32_e32 v55, v0, v64
.LBB6_5407:                             ;   in Loop: Header=BB6_4897 Depth=2
	s_or_b32 exec_lo, exec_lo, s26
                                        ; implicit-def: $vgpr64
.LBB6_5408:                             ;   in Loop: Header=BB6_4897 Depth=2
	s_and_not1_saveexec_b32 s7, s25
; %bb.5409:                             ;   in Loop: Header=BB6_4897 Depth=2
	v_or_b32_e32 v55, 0x7b, v64
; %bb.5410:                             ;   in Loop: Header=BB6_4897 Depth=2
	s_or_b32 exec_lo, exec_lo, s7
                                        ; implicit-def: $vgpr2
                                        ; implicit-def: $vgpr0_vgpr1
                                        ; implicit-def: $vgpr3
.LBB6_5411:                             ;   in Loop: Header=BB6_4897 Depth=2
	s_and_not1_saveexec_b32 s7, s24
	s_cbranch_execz .LBB6_5417
; %bb.5412:                             ;   in Loop: Header=BB6_4897 Depth=2
	s_mov_b32 s24, exec_lo
                                        ; implicit-def: $vgpr55
	v_cmpx_ne_u64_e32 0, v[0:1]
	s_xor_b32 s24, exec_lo, s24
; %bb.5413:                             ;   in Loop: Header=BB6_4897 Depth=2
	v_or_b32_e32 v55, 0x7f, v3
                                        ; implicit-def: $vgpr2
; %bb.5414:                             ;   in Loop: Header=BB6_4897 Depth=2
	s_and_not1_saveexec_b32 s24, s24
; %bb.5415:                             ;   in Loop: Header=BB6_4897 Depth=2
	v_cmp_lt_i32_e32 vcc_lo, -1, v2
	v_cndmask_b32_e32 v55, 0xfc, v104, vcc_lo
; %bb.5416:                             ;   in Loop: Header=BB6_4897 Depth=2
	s_or_b32 exec_lo, exec_lo, s24
.LBB6_5417:                             ;   in Loop: Header=BB6_4897 Depth=2
	s_delay_alu instid0(SALU_CYCLE_1) | instskip(SKIP_3) | instid1(VALU_DEP_2)
	s_or_b32 exec_lo, exec_lo, s7
	v_lshrrev_b16 v0, 8, v4
	v_dual_mov_b32 v2, 0 :: v_dual_mov_b32 v3, 0
	s_mov_b32 s7, exec_lo
	v_cmpx_ne_u16_e32 0, v0
	s_cbranch_execz .LBB6_5427
; %bb.5418:                             ;   in Loop: Header=BB6_4897 Depth=2
	v_bfrev_b32_e32 v3, 1
	s_mov_b32 s24, exec_lo
	v_cmpx_ne_u16_e32 0x80, v0
	s_cbranch_execz .LBB6_5426
; %bb.5419:                             ;   in Loop: Header=BB6_4897 Depth=2
	v_and_b32_e32 v64, 0xffff, v0
	s_delay_alu instid0(VALU_DEP_1) | instskip(SKIP_1) | instid1(VALU_DEP_2)
	v_and_b32_e32 v3, 0x7c, v64
	v_and_b32_e32 v1, 3, v64
	v_cmp_ne_u32_e32 vcc_lo, 0x7c, v3
                                        ; implicit-def: $vgpr3
	s_and_saveexec_b32 s25, vcc_lo
	s_delay_alu instid0(SALU_CYCLE_1)
	s_xor_b32 s25, exec_lo, s25
	s_cbranch_execz .LBB6_5423
; %bb.5420:                             ;   in Loop: Header=BB6_4897 Depth=2
	v_bfe_u32 v3, v64, 2, 5
	s_mov_b32 s26, exec_lo
	s_delay_alu instid0(VALU_DEP_1)
	v_cmpx_eq_u32_e32 0, v3
	s_cbranch_execz .LBB6_5422
; %bb.5421:                             ;   in Loop: Header=BB6_4897 Depth=2
	v_clz_i32_u32_e32 v1, v1
	s_delay_alu instid0(VALU_DEP_1) | instskip(SKIP_1) | instid1(VALU_DEP_2)
	v_min_u32_e32 v3, 32, v1
	v_mov_b32_e32 v1, v5
	v_subrev_nc_u32_e32 v64, 29, v3
	v_sub_nc_u32_e32 v3, 30, v3
	s_delay_alu instid0(VALU_DEP_2) | instskip(NEXT) | instid1(VALU_DEP_1)
	v_lshlrev_b64_e32 v[0:1], v64, v[0:1]
	v_and_b32_e32 v1, 3, v0
.LBB6_5422:                             ;   in Loop: Header=BB6_4897 Depth=2
	s_or_b32 exec_lo, exec_lo, s26
	v_lshlrev_b32_e32 v0, 16, v4
	s_delay_alu instid0(VALU_DEP_1) | instskip(NEXT) | instid1(VALU_DEP_1)
	v_and_b32_e32 v0, 0x80000000, v0
	v_lshl_add_u32 v0, v3, 23, v0
	s_delay_alu instid0(VALU_DEP_1) | instskip(NEXT) | instid1(VALU_DEP_1)
	v_lshl_or_b32 v0, v1, 21, v0
                                        ; implicit-def: $vgpr1
	v_add_nc_u32_e32 v3, 0x38000000, v0
.LBB6_5423:                             ;   in Loop: Header=BB6_4897 Depth=2
	s_and_not1_saveexec_b32 s25, s25
; %bb.5424:                             ;   in Loop: Header=BB6_4897 Depth=2
	v_cmp_lt_i16_e32 vcc_lo, -1, v4
	v_cndmask_b32_e32 v0, 0xff800000, v105, vcc_lo
	v_cmp_eq_u32_e32 vcc_lo, 0, v1
	s_delay_alu instid0(VALU_DEP_2)
	v_cndmask_b32_e32 v3, 0x7f800001, v0, vcc_lo
; %bb.5425:                             ;   in Loop: Header=BB6_4897 Depth=2
	s_or_b32 exec_lo, exec_lo, s25
.LBB6_5426:                             ;   in Loop: Header=BB6_4897 Depth=2
	s_delay_alu instid0(SALU_CYCLE_1)
	s_or_b32 exec_lo, exec_lo, s24
.LBB6_5427:                             ;   in Loop: Header=BB6_4897 Depth=2
	s_delay_alu instid0(SALU_CYCLE_1) | instskip(SKIP_2) | instid1(VALU_DEP_1)
	s_or_b32 exec_lo, exec_lo, s7
	v_lshrrev_b16 v0, 8, v39
	s_mov_b32 s7, exec_lo
	v_cmpx_ne_u16_e32 0, v0
	s_cbranch_execz .LBB6_5437
; %bb.5428:                             ;   in Loop: Header=BB6_4897 Depth=2
	v_bfrev_b32_e32 v2, 1
	s_mov_b32 s24, exec_lo
	v_cmpx_ne_u16_e32 0x80, v0
	s_cbranch_execz .LBB6_5436
; %bb.5429:                             ;   in Loop: Header=BB6_4897 Depth=2
	v_and_b32_e32 v4, 0xffff, v0
	s_delay_alu instid0(VALU_DEP_1) | instskip(SKIP_1) | instid1(VALU_DEP_2)
	v_and_b32_e32 v2, 0x7c, v4
	v_and_b32_e32 v1, 3, v4
	v_cmp_ne_u32_e32 vcc_lo, 0x7c, v2
                                        ; implicit-def: $vgpr2
	s_and_saveexec_b32 s25, vcc_lo
	s_delay_alu instid0(SALU_CYCLE_1)
	s_xor_b32 s25, exec_lo, s25
	s_cbranch_execz .LBB6_5433
; %bb.5430:                             ;   in Loop: Header=BB6_4897 Depth=2
	v_bfe_u32 v2, v4, 2, 5
	s_mov_b32 s26, exec_lo
	s_delay_alu instid0(VALU_DEP_1)
	v_cmpx_eq_u32_e32 0, v2
	s_cbranch_execz .LBB6_5432
; %bb.5431:                             ;   in Loop: Header=BB6_4897 Depth=2
	v_clz_i32_u32_e32 v1, v1
	s_delay_alu instid0(VALU_DEP_1) | instskip(SKIP_1) | instid1(VALU_DEP_2)
	v_min_u32_e32 v2, 32, v1
	v_mov_b32_e32 v1, v5
	v_subrev_nc_u32_e32 v4, 29, v2
	v_sub_nc_u32_e32 v2, 30, v2
	s_delay_alu instid0(VALU_DEP_2) | instskip(NEXT) | instid1(VALU_DEP_1)
	v_lshlrev_b64_e32 v[0:1], v4, v[0:1]
	v_and_b32_e32 v1, 3, v0
.LBB6_5432:                             ;   in Loop: Header=BB6_4897 Depth=2
	s_or_b32 exec_lo, exec_lo, s26
	v_lshlrev_b32_e32 v0, 16, v39
	s_delay_alu instid0(VALU_DEP_1) | instskip(NEXT) | instid1(VALU_DEP_1)
	v_and_b32_e32 v0, 0x80000000, v0
	v_lshl_add_u32 v0, v2, 23, v0
	s_delay_alu instid0(VALU_DEP_1) | instskip(NEXT) | instid1(VALU_DEP_1)
	v_lshl_or_b32 v0, v1, 21, v0
                                        ; implicit-def: $vgpr1
	v_add_nc_u32_e32 v2, 0x38000000, v0
.LBB6_5433:                             ;   in Loop: Header=BB6_4897 Depth=2
	s_and_not1_saveexec_b32 s25, s25
; %bb.5434:                             ;   in Loop: Header=BB6_4897 Depth=2
	v_cmp_lt_i16_e32 vcc_lo, -1, v39
	v_cndmask_b32_e32 v0, 0xff800000, v105, vcc_lo
	v_cmp_eq_u32_e32 vcc_lo, 0, v1
	s_delay_alu instid0(VALU_DEP_2)
	v_cndmask_b32_e32 v2, 0x7f800001, v0, vcc_lo
; %bb.5435:                             ;   in Loop: Header=BB6_4897 Depth=2
	s_or_b32 exec_lo, exec_lo, s25
.LBB6_5436:                             ;   in Loop: Header=BB6_4897 Depth=2
	s_delay_alu instid0(SALU_CYCLE_1)
	s_or_b32 exec_lo, exec_lo, s24
.LBB6_5437:                             ;   in Loop: Header=BB6_4897 Depth=2
	s_delay_alu instid0(SALU_CYCLE_1) | instskip(NEXT) | instid1(VALU_DEP_1)
	s_or_b32 exec_lo, exec_lo, s7
	v_dual_mul_f32 v0, v3, v2 :: v_dual_mov_b32 v3, v5
                                        ; implicit-def: $vgpr64
	s_mov_b32 s7, exec_lo
	s_delay_alu instid0(VALU_DEP_1) | instskip(SKIP_2) | instid1(VALU_DEP_3)
	v_and_b32_e32 v2, 0x7f800000, v0
	v_and_b32_e32 v4, 0x7fffff, v0
	v_lshrrev_b32_e32 v1, 24, v0
	v_cmpx_ne_u64_e32 0x7f800000, v[2:3]
	s_xor_b32 s24, exec_lo, s7
	s_cbranch_execz .LBB6_5451
; %bb.5438:                             ;   in Loop: Header=BB6_4897 Depth=2
	v_and_b32_e32 v2, 0x7fffffff, v0
	v_mov_b32_e32 v3, v5
	v_and_b32_e32 v65, 0x80, v1
                                        ; implicit-def: $vgpr64
	s_mov_b32 s7, exec_lo
	s_delay_alu instid0(VALU_DEP_2)
	v_cmpx_gt_u64_e32 0x47600001, v[2:3]
	s_xor_b32 s25, exec_lo, s7
	s_cbranch_execz .LBB6_5448
; %bb.5439:                             ;   in Loop: Header=BB6_4897 Depth=2
	v_mov_b32_e32 v64, 0
	s_mov_b32 s26, exec_lo
	v_cmpx_ne_u32_e32 0, v0
	s_cbranch_execz .LBB6_5447
; %bb.5440:                             ;   in Loop: Header=BB6_4897 Depth=2
	v_bfe_u32 v64, v0, 23, 8
	v_or_b32_e32 v2, 0x800000, v4
	s_mov_b32 s27, exec_lo
	s_delay_alu instid0(VALU_DEP_2) | instskip(SKIP_1) | instid1(VALU_DEP_2)
	v_dual_mov_b32 v3, v5 :: v_dual_sub_nc_u32 v0, 0x71, v64
	v_cmp_gt_u32_e32 vcc_lo, 0x72, v64
	v_cndmask_b32_e32 v0, 0, v0, vcc_lo
	v_cmp_eq_u32_e32 vcc_lo, 0, v64
	s_delay_alu instid0(VALU_DEP_2) | instskip(NEXT) | instid1(VALU_DEP_1)
	v_cndmask_b32_e64 v66, v0, 0x70, vcc_lo
	v_dual_cndmask_b32 v2, v2, v4, vcc_lo :: v_dual_add_nc_u32 v0, 21, v66
	v_add_nc_u32_e32 v67, 20, v66
	s_delay_alu instid0(VALU_DEP_2) | instskip(NEXT) | instid1(VALU_DEP_2)
	v_lshlrev_b64_e64 v[0:1], v0, -1
	v_lshlrev_b64_e64 v[68:69], v67, 1
	s_delay_alu instid0(VALU_DEP_2) | instskip(NEXT) | instid1(VALU_DEP_3)
	v_bfi_b32 v71, v1, 0, 0
	v_bfi_b32 v70, v0, 0, v2
	v_lshrrev_b64 v[0:1], v66, v[2:3]
	s_delay_alu instid0(VALU_DEP_1) | instskip(NEXT) | instid1(VALU_DEP_3)
	v_mov_b64_e32 v[2:3], v[0:1]
	v_cmpx_eq_u64_e64 v[70:71], v[68:69]
; %bb.5441:                             ;   in Loop: Header=BB6_4897 Depth=2
	v_bfe_u32 v2, v0, 21, 1
	v_mov_b32_e32 v3, v5
	s_delay_alu instid0(VALU_DEP_1) | instskip(NEXT) | instid1(VALU_DEP_1)
	v_add_nc_u64_e32 v[2:3], v[0:1], v[2:3]
	v_add_nc_u64_e32 v[2:3], -1, v[2:3]
; %bb.5442:                             ;   in Loop: Header=BB6_4897 Depth=2
	s_or_b32 exec_lo, exec_lo, s27
	v_add_nc_u32_e32 v1, 0xffffff81, v64
	v_lshrrev_b32_e32 v3, 23, v0
	s_mov_b32 s7, exec_lo
	s_delay_alu instid0(VALU_DEP_2) | instskip(NEXT) | instid1(VALU_DEP_1)
	v_cndmask_b32_e64 v1, v1, 0xffffff82, vcc_lo
	v_add3_u32 v3, v66, v1, v3
	v_and_b32_e32 v1, 0x1fffff, v2
                                        ; implicit-def: $vgpr2
	s_delay_alu instid0(VALU_DEP_1) | instskip(NEXT) | instid1(VALU_DEP_1)
	v_dual_add_nc_u32 v64, 14, v3 :: v_dual_add_nc_u32 v4, v1, v0
                                        ; implicit-def: $vgpr0_vgpr1
	v_cmpx_ne_u32_e32 0, v64
	s_xor_b32 s7, exec_lo, s7
; %bb.5443:                             ;   in Loop: Header=BB6_4897 Depth=2
	s_delay_alu instid0(VALU_DEP_2) | instskip(SKIP_1) | instid1(VALU_DEP_1)
	v_cmp_lt_u64_e32 vcc_lo, 0xffffff, v[4:5]
	v_add_nc_u32_e32 v0, 15, v3
	v_cndmask_b32_e32 v2, v64, v0, vcc_lo
	v_cndmask_b32_e64 v0, 0, 1, vcc_lo
	s_delay_alu instid0(VALU_DEP_1)
	v_lshrrev_b64 v[0:1], v0, v[4:5]
; %bb.5444:                             ;   in Loop: Header=BB6_4897 Depth=2
	s_and_not1_saveexec_b32 s7, s7
; %bb.5445:                             ;   in Loop: Header=BB6_4897 Depth=2
	v_mov_b64_e32 v[0:1], v[4:5]
	v_bfe_u32 v2, v4, 23, 1
; %bb.5446:                             ;   in Loop: Header=BB6_4897 Depth=2
	s_or_b32 exec_lo, exec_lo, s7
	s_delay_alu instid0(VALU_DEP_2) | instskip(NEXT) | instid1(VALU_DEP_2)
	v_lshrrev_b64 v[0:1], 21, v[0:1]
	v_cmp_gt_i32_e32 vcc_lo, 32, v2
	v_min_i32_e32 v3, 31, v2
	v_cmp_eq_u32_e64 s7, 0, v2
	s_delay_alu instid0(VALU_DEP_2) | instskip(SKIP_1) | instid1(VALU_DEP_2)
	v_dual_cndmask_b32 v1, 0, v1, vcc_lo :: v_dual_lshlrev_b32 v3, 2, v3
	v_cndmask_b32_e32 v0, 3, v0, vcc_lo
	v_and_b32_e32 v3, 0xfc, v3
	s_delay_alu instid0(VALU_DEP_2) | instskip(NEXT) | instid1(VALU_DEP_2)
	v_cmp_eq_u64_e32 vcc_lo, 0, v[0:1]
	v_and_or_b32 v0, v0, 3, v3
	s_and_b32 s7, s7, vcc_lo
	s_delay_alu instid0(VALU_DEP_1) | instid1(SALU_CYCLE_1)
	v_cndmask_b32_e64 v0, v0, 0, s7
	s_delay_alu instid0(VALU_DEP_1)
	v_or_b32_e32 v64, v0, v65
.LBB6_5447:                             ;   in Loop: Header=BB6_4897 Depth=2
	s_or_b32 exec_lo, exec_lo, s26
                                        ; implicit-def: $vgpr65
.LBB6_5448:                             ;   in Loop: Header=BB6_4897 Depth=2
	s_and_not1_saveexec_b32 s7, s25
; %bb.5449:                             ;   in Loop: Header=BB6_4897 Depth=2
	v_or_b32_e32 v64, 0x7b, v65
; %bb.5450:                             ;   in Loop: Header=BB6_4897 Depth=2
	s_or_b32 exec_lo, exec_lo, s7
                                        ; implicit-def: $vgpr0
                                        ; implicit-def: $vgpr1
.LBB6_5451:                             ;   in Loop: Header=BB6_4897 Depth=2
	s_and_not1_saveexec_b32 s7, s24
	s_cbranch_execz .LBB6_5457
; %bb.5452:                             ;   in Loop: Header=BB6_4897 Depth=2
	s_mov_b32 s24, exec_lo
                                        ; implicit-def: $vgpr64
	v_cmpx_ne_u64_e32 0, v[4:5]
	s_xor_b32 s24, exec_lo, s24
; %bb.5453:                             ;   in Loop: Header=BB6_4897 Depth=2
	v_or_b32_e32 v64, 0x7f, v1
                                        ; implicit-def: $vgpr0
; %bb.5454:                             ;   in Loop: Header=BB6_4897 Depth=2
	s_and_not1_saveexec_b32 s24, s24
; %bb.5455:                             ;   in Loop: Header=BB6_4897 Depth=2
	v_cmp_lt_i32_e32 vcc_lo, -1, v0
	v_cndmask_b32_e32 v64, 0xfc, v104, vcc_lo
; %bb.5456:                             ;   in Loop: Header=BB6_4897 Depth=2
	s_or_b32 exec_lo, exec_lo, s24
.LBB6_5457:                             ;   in Loop: Header=BB6_4897 Depth=2
	s_delay_alu instid0(SALU_CYCLE_1) | instskip(SKIP_3) | instid1(VALU_DEP_2)
	s_or_b32 exec_lo, exec_lo, s7
	v_dual_mov_b32 v1, 0 :: v_dual_lshrrev_b32 v0, 16, v51
	v_mov_b32_e32 v2, 0
	s_mov_b32 s7, exec_lo
	v_and_b32_e32 v3, 0xff, v0
	s_delay_alu instid0(VALU_DEP_1)
	v_cmpx_ne_u16_e32 0, v3
	s_cbranch_execz .LBB6_5467
; %bb.5458:                             ;   in Loop: Header=BB6_4897 Depth=2
	v_bfrev_b32_e32 v2, 1
	s_mov_b32 s24, exec_lo
	v_cmpx_ne_u16_e32 0x80, v3
	s_cbranch_execz .LBB6_5466
; %bb.5459:                             ;   in Loop: Header=BB6_4897 Depth=2
	v_and_b32_e32 v2, 0x7c0000, v51
	v_bfe_u32 v3, v51, 16, 2
	s_delay_alu instid0(VALU_DEP_2) | instskip(SKIP_1) | instid1(SALU_CYCLE_1)
	v_cmp_ne_u32_e32 vcc_lo, 0x7c0000, v2
                                        ; implicit-def: $vgpr2
	s_and_saveexec_b32 s25, vcc_lo
	s_xor_b32 s25, exec_lo, s25
	s_cbranch_execz .LBB6_5463
; %bb.5460:                             ;   in Loop: Header=BB6_4897 Depth=2
	v_bfe_u32 v2, v51, 18, 5
	s_mov_b32 s26, exec_lo
	s_delay_alu instid0(VALU_DEP_1)
	v_cmpx_eq_u32_e32 0, v2
; %bb.5461:                             ;   in Loop: Header=BB6_4897 Depth=2
	v_clz_i32_u32_e32 v2, v3
	s_delay_alu instid0(VALU_DEP_1) | instskip(NEXT) | instid1(VALU_DEP_1)
	v_min_u32_e32 v2, 32, v2
	v_subrev_nc_u32_e32 v3, 29, v2
	v_sub_nc_u32_e32 v2, 30, v2
	s_delay_alu instid0(VALU_DEP_2) | instskip(NEXT) | instid1(VALU_DEP_1)
	v_lshlrev_b64_e32 v[66:67], v3, v[0:1]
	v_and_b32_e32 v3, 3, v66
; %bb.5462:                             ;   in Loop: Header=BB6_4897 Depth=2
	s_or_b32 exec_lo, exec_lo, s26
	v_lshlrev_b32_e32 v0, 24, v0
	s_delay_alu instid0(VALU_DEP_1) | instskip(NEXT) | instid1(VALU_DEP_1)
	v_and_b32_e32 v0, 0x80000000, v0
	v_lshl_add_u32 v0, v2, 23, v0
	s_delay_alu instid0(VALU_DEP_1) | instskip(NEXT) | instid1(VALU_DEP_1)
	v_lshl_or_b32 v0, v3, 21, v0
                                        ; implicit-def: $vgpr3
	v_add_nc_u32_e32 v2, 0x38000000, v0
                                        ; implicit-def: $vgpr0
.LBB6_5463:                             ;   in Loop: Header=BB6_4897 Depth=2
	s_and_not1_saveexec_b32 s25, s25
; %bb.5464:                             ;   in Loop: Header=BB6_4897 Depth=2
	v_bfe_i32 v0, v0, 0, 8
	s_delay_alu instid0(VALU_DEP_1) | instskip(SKIP_2) | instid1(VALU_DEP_2)
	v_cmp_lt_i16_e32 vcc_lo, -1, v0
	v_cndmask_b32_e32 v0, 0xff800000, v105, vcc_lo
	v_cmp_eq_u32_e32 vcc_lo, 0, v3
	v_cndmask_b32_e32 v2, 0x7f800001, v0, vcc_lo
; %bb.5465:                             ;   in Loop: Header=BB6_4897 Depth=2
	s_or_b32 exec_lo, exec_lo, s25
.LBB6_5466:                             ;   in Loop: Header=BB6_4897 Depth=2
	s_delay_alu instid0(SALU_CYCLE_1)
	s_or_b32 exec_lo, exec_lo, s24
.LBB6_5467:                             ;   in Loop: Header=BB6_4897 Depth=2
	s_delay_alu instid0(SALU_CYCLE_1) | instskip(SKIP_2) | instid1(VALU_DEP_1)
	s_or_b32 exec_lo, exec_lo, s7
	v_lshrrev_b32_e32 v0, 16, v39
	s_mov_b32 s7, exec_lo
	v_and_b32_e32 v3, 0xff, v0
	s_delay_alu instid0(VALU_DEP_1)
	v_cmpx_ne_u16_e32 0, v3
	s_cbranch_execz .LBB6_5477
; %bb.5468:                             ;   in Loop: Header=BB6_4897 Depth=2
	v_bfrev_b32_e32 v1, 1
	s_mov_b32 s24, exec_lo
	v_cmpx_ne_u16_e32 0x80, v3
	s_cbranch_execz .LBB6_5476
; %bb.5469:                             ;   in Loop: Header=BB6_4897 Depth=2
	v_and_b32_e32 v1, 0x7c0000, v39
	v_bfe_u32 v3, v39, 16, 2
	s_delay_alu instid0(VALU_DEP_2) | instskip(SKIP_1) | instid1(SALU_CYCLE_1)
	v_cmp_ne_u32_e32 vcc_lo, 0x7c0000, v1
                                        ; implicit-def: $vgpr1
	s_and_saveexec_b32 s25, vcc_lo
	s_xor_b32 s25, exec_lo, s25
	s_cbranch_execz .LBB6_5473
; %bb.5470:                             ;   in Loop: Header=BB6_4897 Depth=2
	v_bfe_u32 v1, v39, 18, 5
	s_mov_b32 s26, exec_lo
	s_delay_alu instid0(VALU_DEP_1)
	v_cmpx_eq_u32_e32 0, v1
; %bb.5471:                             ;   in Loop: Header=BB6_4897 Depth=2
	v_clz_i32_u32_e32 v1, v3
	s_delay_alu instid0(VALU_DEP_1) | instskip(NEXT) | instid1(VALU_DEP_1)
	v_min_u32_e32 v1, 32, v1
	v_subrev_nc_u32_e32 v3, 29, v1
	s_delay_alu instid0(VALU_DEP_1) | instskip(NEXT) | instid1(VALU_DEP_1)
	v_lshlrev_b64_e32 v[66:67], v3, v[0:1]
	v_dual_sub_nc_u32 v1, 30, v1 :: v_dual_bitop2_b32 v3, 3, v66 bitop3:0x40
; %bb.5472:                             ;   in Loop: Header=BB6_4897 Depth=2
	s_or_b32 exec_lo, exec_lo, s26
	v_lshlrev_b32_e32 v0, 24, v0
	s_delay_alu instid0(VALU_DEP_1) | instskip(NEXT) | instid1(VALU_DEP_1)
	v_and_b32_e32 v0, 0x80000000, v0
	v_lshl_add_u32 v0, v1, 23, v0
	s_delay_alu instid0(VALU_DEP_1) | instskip(NEXT) | instid1(VALU_DEP_1)
	v_lshl_or_b32 v0, v3, 21, v0
                                        ; implicit-def: $vgpr3
	v_add_nc_u32_e32 v1, 0x38000000, v0
                                        ; implicit-def: $vgpr0
.LBB6_5473:                             ;   in Loop: Header=BB6_4897 Depth=2
	s_and_not1_saveexec_b32 s25, s25
; %bb.5474:                             ;   in Loop: Header=BB6_4897 Depth=2
	v_bfe_i32 v0, v0, 0, 8
	s_delay_alu instid0(VALU_DEP_1) | instskip(SKIP_2) | instid1(VALU_DEP_2)
	v_cmp_lt_i16_e32 vcc_lo, -1, v0
	v_cndmask_b32_e32 v0, 0xff800000, v105, vcc_lo
	v_cmp_eq_u32_e32 vcc_lo, 0, v3
	v_cndmask_b32_e32 v1, 0x7f800001, v0, vcc_lo
; %bb.5475:                             ;   in Loop: Header=BB6_4897 Depth=2
	s_or_b32 exec_lo, exec_lo, s25
.LBB6_5476:                             ;   in Loop: Header=BB6_4897 Depth=2
	s_delay_alu instid0(SALU_CYCLE_1)
	s_or_b32 exec_lo, exec_lo, s24
.LBB6_5477:                             ;   in Loop: Header=BB6_4897 Depth=2
	s_delay_alu instid0(SALU_CYCLE_1) | instskip(NEXT) | instid1(VALU_DEP_1)
	s_or_b32 exec_lo, exec_lo, s7
	v_dual_mul_f32 v0, v2, v1 :: v_dual_mov_b32 v3, v5
                                        ; implicit-def: $vgpr65
	s_mov_b32 s7, exec_lo
	s_delay_alu instid0(VALU_DEP_1) | instskip(SKIP_2) | instid1(VALU_DEP_3)
	v_and_b32_e32 v2, 0x7f800000, v0
	v_and_b32_e32 v4, 0x7fffff, v0
	v_lshrrev_b32_e32 v1, 24, v0
	v_cmpx_ne_u64_e32 0x7f800000, v[2:3]
	s_xor_b32 s24, exec_lo, s7
	s_cbranch_execz .LBB6_5491
; %bb.5478:                             ;   in Loop: Header=BB6_4897 Depth=2
	v_and_b32_e32 v2, 0x7fffffff, v0
	v_mov_b32_e32 v3, v5
	v_and_b32_e32 v66, 0x80, v1
                                        ; implicit-def: $vgpr65
	s_mov_b32 s7, exec_lo
	s_delay_alu instid0(VALU_DEP_2)
	v_cmpx_gt_u64_e32 0x47600001, v[2:3]
	s_xor_b32 s25, exec_lo, s7
	s_cbranch_execz .LBB6_5488
; %bb.5479:                             ;   in Loop: Header=BB6_4897 Depth=2
	v_mov_b32_e32 v65, 0
	s_mov_b32 s26, exec_lo
	v_cmpx_ne_u32_e32 0, v0
	s_cbranch_execz .LBB6_5487
; %bb.5480:                             ;   in Loop: Header=BB6_4897 Depth=2
	v_bfe_u32 v65, v0, 23, 8
	v_or_b32_e32 v2, 0x800000, v4
	s_mov_b32 s27, exec_lo
	s_delay_alu instid0(VALU_DEP_2) | instskip(SKIP_1) | instid1(VALU_DEP_2)
	v_dual_mov_b32 v3, v5 :: v_dual_sub_nc_u32 v0, 0x71, v65
	v_cmp_gt_u32_e32 vcc_lo, 0x72, v65
	v_cndmask_b32_e32 v0, 0, v0, vcc_lo
	v_cmp_eq_u32_e32 vcc_lo, 0, v65
	s_delay_alu instid0(VALU_DEP_2) | instskip(NEXT) | instid1(VALU_DEP_1)
	v_cndmask_b32_e64 v67, v0, 0x70, vcc_lo
	v_dual_cndmask_b32 v2, v2, v4, vcc_lo :: v_dual_add_nc_u32 v0, 21, v67
	v_add_nc_u32_e32 v68, 20, v67
	s_delay_alu instid0(VALU_DEP_2) | instskip(NEXT) | instid1(VALU_DEP_2)
	v_lshlrev_b64_e64 v[0:1], v0, -1
	v_lshlrev_b64_e64 v[68:69], v68, 1
	s_delay_alu instid0(VALU_DEP_2) | instskip(NEXT) | instid1(VALU_DEP_3)
	v_bfi_b32 v71, v1, 0, 0
	v_bfi_b32 v70, v0, 0, v2
	v_lshrrev_b64 v[0:1], v67, v[2:3]
	s_delay_alu instid0(VALU_DEP_1) | instskip(NEXT) | instid1(VALU_DEP_3)
	v_mov_b64_e32 v[2:3], v[0:1]
	v_cmpx_eq_u64_e64 v[70:71], v[68:69]
; %bb.5481:                             ;   in Loop: Header=BB6_4897 Depth=2
	v_bfe_u32 v2, v0, 21, 1
	v_mov_b32_e32 v3, v5
	s_delay_alu instid0(VALU_DEP_1) | instskip(NEXT) | instid1(VALU_DEP_1)
	v_add_nc_u64_e32 v[2:3], v[0:1], v[2:3]
	v_add_nc_u64_e32 v[2:3], -1, v[2:3]
; %bb.5482:                             ;   in Loop: Header=BB6_4897 Depth=2
	s_or_b32 exec_lo, exec_lo, s27
	v_add_nc_u32_e32 v1, 0xffffff81, v65
	v_lshrrev_b32_e32 v3, 23, v0
	s_mov_b32 s7, exec_lo
	s_delay_alu instid0(VALU_DEP_2) | instskip(NEXT) | instid1(VALU_DEP_1)
	v_cndmask_b32_e64 v1, v1, 0xffffff82, vcc_lo
	v_add3_u32 v3, v67, v1, v3
	v_and_b32_e32 v1, 0x1fffff, v2
                                        ; implicit-def: $vgpr2
	s_delay_alu instid0(VALU_DEP_1) | instskip(NEXT) | instid1(VALU_DEP_1)
	v_dual_add_nc_u32 v65, 14, v3 :: v_dual_add_nc_u32 v4, v1, v0
                                        ; implicit-def: $vgpr0_vgpr1
	v_cmpx_ne_u32_e32 0, v65
	s_xor_b32 s7, exec_lo, s7
; %bb.5483:                             ;   in Loop: Header=BB6_4897 Depth=2
	s_delay_alu instid0(VALU_DEP_2) | instskip(SKIP_1) | instid1(VALU_DEP_1)
	v_cmp_lt_u64_e32 vcc_lo, 0xffffff, v[4:5]
	v_add_nc_u32_e32 v0, 15, v3
	v_cndmask_b32_e32 v2, v65, v0, vcc_lo
	v_cndmask_b32_e64 v0, 0, 1, vcc_lo
	s_delay_alu instid0(VALU_DEP_1)
	v_lshrrev_b64 v[0:1], v0, v[4:5]
; %bb.5484:                             ;   in Loop: Header=BB6_4897 Depth=2
	s_and_not1_saveexec_b32 s7, s7
; %bb.5485:                             ;   in Loop: Header=BB6_4897 Depth=2
	v_mov_b64_e32 v[0:1], v[4:5]
	v_bfe_u32 v2, v4, 23, 1
; %bb.5486:                             ;   in Loop: Header=BB6_4897 Depth=2
	s_or_b32 exec_lo, exec_lo, s7
	s_delay_alu instid0(VALU_DEP_2) | instskip(NEXT) | instid1(VALU_DEP_2)
	v_lshrrev_b64 v[0:1], 21, v[0:1]
	v_cmp_gt_i32_e32 vcc_lo, 32, v2
	v_min_i32_e32 v3, 31, v2
	v_cmp_eq_u32_e64 s7, 0, v2
	s_delay_alu instid0(VALU_DEP_2) | instskip(SKIP_1) | instid1(VALU_DEP_2)
	v_dual_cndmask_b32 v1, 0, v1, vcc_lo :: v_dual_lshlrev_b32 v3, 2, v3
	v_cndmask_b32_e32 v0, 3, v0, vcc_lo
	v_and_b32_e32 v3, 0xfc, v3
	s_delay_alu instid0(VALU_DEP_2) | instskip(NEXT) | instid1(VALU_DEP_2)
	v_cmp_eq_u64_e32 vcc_lo, 0, v[0:1]
	v_and_or_b32 v0, v0, 3, v3
	s_and_b32 s7, s7, vcc_lo
	s_delay_alu instid0(VALU_DEP_1) | instid1(SALU_CYCLE_1)
	v_cndmask_b32_e64 v0, v0, 0, s7
	s_delay_alu instid0(VALU_DEP_1)
	v_or_b32_e32 v65, v0, v66
.LBB6_5487:                             ;   in Loop: Header=BB6_4897 Depth=2
	s_or_b32 exec_lo, exec_lo, s26
                                        ; implicit-def: $vgpr66
.LBB6_5488:                             ;   in Loop: Header=BB6_4897 Depth=2
	s_and_not1_saveexec_b32 s7, s25
; %bb.5489:                             ;   in Loop: Header=BB6_4897 Depth=2
	v_or_b32_e32 v65, 0x7b, v66
; %bb.5490:                             ;   in Loop: Header=BB6_4897 Depth=2
	s_or_b32 exec_lo, exec_lo, s7
                                        ; implicit-def: $vgpr0
                                        ; implicit-def: $vgpr1
.LBB6_5491:                             ;   in Loop: Header=BB6_4897 Depth=2
	s_and_not1_saveexec_b32 s7, s24
	s_cbranch_execz .LBB6_5497
; %bb.5492:                             ;   in Loop: Header=BB6_4897 Depth=2
	s_mov_b32 s24, exec_lo
                                        ; implicit-def: $vgpr65
	v_cmpx_ne_u64_e32 0, v[4:5]
	s_xor_b32 s24, exec_lo, s24
; %bb.5493:                             ;   in Loop: Header=BB6_4897 Depth=2
	v_or_b32_e32 v65, 0x7f, v1
                                        ; implicit-def: $vgpr0
; %bb.5494:                             ;   in Loop: Header=BB6_4897 Depth=2
	s_and_not1_saveexec_b32 s24, s24
; %bb.5495:                             ;   in Loop: Header=BB6_4897 Depth=2
	v_cmp_lt_i32_e32 vcc_lo, -1, v0
	v_cndmask_b32_e32 v65, 0xfc, v104, vcc_lo
; %bb.5496:                             ;   in Loop: Header=BB6_4897 Depth=2
	s_or_b32 exec_lo, exec_lo, s24
.LBB6_5497:                             ;   in Loop: Header=BB6_4897 Depth=2
	s_delay_alu instid0(SALU_CYCLE_1)
	s_or_b32 exec_lo, exec_lo, s7
	v_dual_mov_b32 v1, 0 :: v_dual_mov_b32 v2, 0
	s_mov_b32 s7, exec_lo
	v_cmpx_lt_u64_e64 s[12:13], v[50:51]
	s_cbranch_execz .LBB6_5507
; %bb.5498:                             ;   in Loop: Header=BB6_4897 Depth=2
	v_lshrrev_b32_e32 v0, 24, v51
	v_bfrev_b32_e32 v2, 1
	s_mov_b32 s24, exec_lo
	s_delay_alu instid0(VALU_DEP_2)
	v_cmpx_ne_u32_e32 0x80, v0
	s_cbranch_execz .LBB6_5506
; %bb.5499:                             ;   in Loop: Header=BB6_4897 Depth=2
	v_and_b32_e32 v2, 0x7c000000, v51
	v_bfe_u32 v3, v51, 24, 2
	s_delay_alu instid0(VALU_DEP_2) | instskip(SKIP_1) | instid1(SALU_CYCLE_1)
	v_cmp_ne_u32_e32 vcc_lo, 0x7c000000, v2
                                        ; implicit-def: $vgpr2
	s_and_saveexec_b32 s25, vcc_lo
	s_xor_b32 s25, exec_lo, s25
	s_cbranch_execz .LBB6_5503
; %bb.5500:                             ;   in Loop: Header=BB6_4897 Depth=2
	v_bfe_u32 v2, v51, 26, 5
	s_mov_b32 s26, exec_lo
	s_delay_alu instid0(VALU_DEP_1)
	v_cmpx_eq_u32_e32 0, v2
; %bb.5501:                             ;   in Loop: Header=BB6_4897 Depth=2
	v_clz_i32_u32_e32 v2, v3
	s_delay_alu instid0(VALU_DEP_1) | instskip(NEXT) | instid1(VALU_DEP_1)
	v_min_u32_e32 v2, 32, v2
	v_subrev_nc_u32_e32 v3, 29, v2
	v_sub_nc_u32_e32 v2, 30, v2
	s_delay_alu instid0(VALU_DEP_2) | instskip(NEXT) | instid1(VALU_DEP_1)
	v_lshlrev_b64_e32 v[66:67], v3, v[0:1]
	v_and_b32_e32 v3, 3, v66
; %bb.5502:                             ;   in Loop: Header=BB6_4897 Depth=2
	s_or_b32 exec_lo, exec_lo, s26
	v_and_b32_e32 v0, 0x80000000, v51
                                        ; implicit-def: $vgpr50_vgpr51
	s_delay_alu instid0(VALU_DEP_1) | instskip(NEXT) | instid1(VALU_DEP_1)
	v_lshl_add_u32 v0, v2, 23, v0
	v_lshl_or_b32 v0, v3, 21, v0
                                        ; implicit-def: $vgpr3
	s_delay_alu instid0(VALU_DEP_1)
	v_add_nc_u32_e32 v2, 0x38000000, v0
.LBB6_5503:                             ;   in Loop: Header=BB6_4897 Depth=2
	s_and_not1_saveexec_b32 s25, s25
; %bb.5504:                             ;   in Loop: Header=BB6_4897 Depth=2
	v_cmp_lt_i64_e32 vcc_lo, -1, v[50:51]
	v_cndmask_b32_e32 v0, 0xff800000, v105, vcc_lo
	v_cmp_eq_u32_e32 vcc_lo, 0, v3
	s_delay_alu instid0(VALU_DEP_2)
	v_cndmask_b32_e32 v2, 0x7f800001, v0, vcc_lo
; %bb.5505:                             ;   in Loop: Header=BB6_4897 Depth=2
	s_or_b32 exec_lo, exec_lo, s25
.LBB6_5506:                             ;   in Loop: Header=BB6_4897 Depth=2
	s_delay_alu instid0(SALU_CYCLE_1)
	s_or_b32 exec_lo, exec_lo, s24
.LBB6_5507:                             ;   in Loop: Header=BB6_4897 Depth=2
	s_delay_alu instid0(SALU_CYCLE_1) | instskip(NEXT) | instid1(SALU_CYCLE_1)
	s_or_b32 exec_lo, exec_lo, s7
	s_mov_b32 s7, exec_lo
	v_cmpx_lt_u64_e64 s[12:13], v[38:39]
	s_cbranch_execz .LBB6_5517
; %bb.5508:                             ;   in Loop: Header=BB6_4897 Depth=2
	v_lshrrev_b32_e32 v0, 24, v39
	v_bfrev_b32_e32 v1, 1
	s_mov_b32 s24, exec_lo
	s_delay_alu instid0(VALU_DEP_2)
	v_cmpx_ne_u32_e32 0x80, v0
	s_cbranch_execz .LBB6_5516
; %bb.5509:                             ;   in Loop: Header=BB6_4897 Depth=2
	v_and_b32_e32 v1, 0x7c000000, v39
	v_bfe_u32 v3, v39, 24, 2
	s_delay_alu instid0(VALU_DEP_2) | instskip(SKIP_1) | instid1(SALU_CYCLE_1)
	v_cmp_ne_u32_e32 vcc_lo, 0x7c000000, v1
                                        ; implicit-def: $vgpr1
	s_and_saveexec_b32 s25, vcc_lo
	s_xor_b32 s25, exec_lo, s25
	s_cbranch_execz .LBB6_5513
; %bb.5510:                             ;   in Loop: Header=BB6_4897 Depth=2
	v_bfe_u32 v1, v39, 26, 5
	s_mov_b32 s26, exec_lo
	s_delay_alu instid0(VALU_DEP_1)
	v_cmpx_eq_u32_e32 0, v1
; %bb.5511:                             ;   in Loop: Header=BB6_4897 Depth=2
	v_clz_i32_u32_e32 v1, v3
	s_delay_alu instid0(VALU_DEP_1) | instskip(NEXT) | instid1(VALU_DEP_1)
	v_min_u32_e32 v3, 32, v1
	v_subrev_nc_u32_e32 v1, 29, v3
	s_delay_alu instid0(VALU_DEP_1) | instskip(NEXT) | instid1(VALU_DEP_1)
	v_lshlrev_b64_e32 v[0:1], v1, v[0:1]
	v_dual_sub_nc_u32 v1, 30, v3 :: v_dual_bitop2_b32 v3, 3, v0 bitop3:0x40
; %bb.5512:                             ;   in Loop: Header=BB6_4897 Depth=2
	s_or_b32 exec_lo, exec_lo, s26
	v_and_b32_e32 v0, 0x80000000, v39
                                        ; implicit-def: $vgpr38_vgpr39
	s_delay_alu instid0(VALU_DEP_1) | instskip(NEXT) | instid1(VALU_DEP_1)
	v_lshl_add_u32 v0, v1, 23, v0
	v_lshl_or_b32 v0, v3, 21, v0
                                        ; implicit-def: $vgpr3
	s_delay_alu instid0(VALU_DEP_1)
	v_add_nc_u32_e32 v1, 0x38000000, v0
.LBB6_5513:                             ;   in Loop: Header=BB6_4897 Depth=2
	s_and_not1_saveexec_b32 s25, s25
; %bb.5514:                             ;   in Loop: Header=BB6_4897 Depth=2
	v_cmp_lt_i64_e32 vcc_lo, -1, v[38:39]
	v_cndmask_b32_e32 v0, 0xff800000, v105, vcc_lo
	v_cmp_eq_u32_e32 vcc_lo, 0, v3
	s_delay_alu instid0(VALU_DEP_2)
	v_cndmask_b32_e32 v1, 0x7f800001, v0, vcc_lo
; %bb.5515:                             ;   in Loop: Header=BB6_4897 Depth=2
	s_or_b32 exec_lo, exec_lo, s25
.LBB6_5516:                             ;   in Loop: Header=BB6_4897 Depth=2
	s_delay_alu instid0(SALU_CYCLE_1)
	s_or_b32 exec_lo, exec_lo, s24
.LBB6_5517:                             ;   in Loop: Header=BB6_4897 Depth=2
	s_delay_alu instid0(SALU_CYCLE_1) | instskip(NEXT) | instid1(VALU_DEP_1)
	s_or_b32 exec_lo, exec_lo, s7
	v_dual_mul_f32 v0, v2, v1 :: v_dual_mov_b32 v3, v5
                                        ; implicit-def: $vgpr38
	s_mov_b32 s7, exec_lo
	s_delay_alu instid0(VALU_DEP_1) | instskip(SKIP_2) | instid1(VALU_DEP_3)
	v_and_b32_e32 v2, 0x7f800000, v0
	v_and_b32_e32 v4, 0x7fffff, v0
	v_lshrrev_b32_e32 v1, 24, v0
	v_cmpx_ne_u64_e32 0x7f800000, v[2:3]
	s_xor_b32 s24, exec_lo, s7
	s_cbranch_execz .LBB6_5531
; %bb.5518:                             ;   in Loop: Header=BB6_4897 Depth=2
	v_and_b32_e32 v2, 0x7fffffff, v0
	v_mov_b32_e32 v3, v5
	v_and_b32_e32 v39, 0x80, v1
                                        ; implicit-def: $vgpr38
	s_mov_b32 s7, exec_lo
	s_delay_alu instid0(VALU_DEP_2)
	v_cmpx_gt_u64_e32 0x47600001, v[2:3]
	s_xor_b32 s25, exec_lo, s7
	s_cbranch_execz .LBB6_5528
; %bb.5519:                             ;   in Loop: Header=BB6_4897 Depth=2
	v_mov_b32_e32 v38, 0
	s_mov_b32 s26, exec_lo
	v_cmpx_ne_u32_e32 0, v0
	s_cbranch_execz .LBB6_5527
; %bb.5520:                             ;   in Loop: Header=BB6_4897 Depth=2
	v_bfe_u32 v38, v0, 23, 8
	v_or_b32_e32 v2, 0x800000, v4
	s_mov_b32 s27, exec_lo
	s_delay_alu instid0(VALU_DEP_2) | instskip(SKIP_1) | instid1(VALU_DEP_2)
	v_dual_mov_b32 v3, v5 :: v_dual_sub_nc_u32 v0, 0x71, v38
	v_cmp_gt_u32_e32 vcc_lo, 0x72, v38
	v_cndmask_b32_e32 v0, 0, v0, vcc_lo
	v_cmp_eq_u32_e32 vcc_lo, 0, v38
	s_delay_alu instid0(VALU_DEP_2) | instskip(NEXT) | instid1(VALU_DEP_1)
	v_cndmask_b32_e64 v50, v0, 0x70, vcc_lo
	v_dual_cndmask_b32 v2, v2, v4, vcc_lo :: v_dual_add_nc_u32 v0, 21, v50
	v_add_nc_u32_e32 v51, 20, v50
	s_delay_alu instid0(VALU_DEP_2) | instskip(NEXT) | instid1(VALU_DEP_2)
	v_lshlrev_b64_e64 v[0:1], v0, -1
	v_lshlrev_b64_e64 v[66:67], v51, 1
	s_delay_alu instid0(VALU_DEP_2) | instskip(NEXT) | instid1(VALU_DEP_3)
	v_bfi_b32 v69, v1, 0, 0
	v_bfi_b32 v68, v0, 0, v2
	v_lshrrev_b64 v[0:1], v50, v[2:3]
	s_delay_alu instid0(VALU_DEP_1) | instskip(NEXT) | instid1(VALU_DEP_3)
	v_mov_b64_e32 v[2:3], v[0:1]
	v_cmpx_eq_u64_e64 v[68:69], v[66:67]
; %bb.5521:                             ;   in Loop: Header=BB6_4897 Depth=2
	v_bfe_u32 v2, v0, 21, 1
	v_mov_b32_e32 v3, v5
	s_delay_alu instid0(VALU_DEP_1) | instskip(NEXT) | instid1(VALU_DEP_1)
	v_add_nc_u64_e32 v[2:3], v[0:1], v[2:3]
	v_add_nc_u64_e32 v[2:3], -1, v[2:3]
; %bb.5522:                             ;   in Loop: Header=BB6_4897 Depth=2
	s_or_b32 exec_lo, exec_lo, s27
	v_add_nc_u32_e32 v1, 0xffffff81, v38
	v_lshrrev_b32_e32 v3, 23, v0
	s_mov_b32 s7, exec_lo
	s_delay_alu instid0(VALU_DEP_2) | instskip(NEXT) | instid1(VALU_DEP_1)
	v_cndmask_b32_e64 v1, v1, 0xffffff82, vcc_lo
	v_add3_u32 v3, v50, v1, v3
	v_and_b32_e32 v1, 0x1fffff, v2
                                        ; implicit-def: $vgpr2
	s_delay_alu instid0(VALU_DEP_1) | instskip(NEXT) | instid1(VALU_DEP_1)
	v_dual_add_nc_u32 v38, 14, v3 :: v_dual_add_nc_u32 v4, v1, v0
                                        ; implicit-def: $vgpr0_vgpr1
	v_cmpx_ne_u32_e32 0, v38
	s_xor_b32 s7, exec_lo, s7
; %bb.5523:                             ;   in Loop: Header=BB6_4897 Depth=2
	s_delay_alu instid0(VALU_DEP_2) | instskip(SKIP_1) | instid1(VALU_DEP_1)
	v_cmp_lt_u64_e32 vcc_lo, 0xffffff, v[4:5]
	v_add_nc_u32_e32 v0, 15, v3
	v_cndmask_b32_e32 v2, v38, v0, vcc_lo
	v_cndmask_b32_e64 v0, 0, 1, vcc_lo
	s_delay_alu instid0(VALU_DEP_1)
	v_lshrrev_b64 v[0:1], v0, v[4:5]
; %bb.5524:                             ;   in Loop: Header=BB6_4897 Depth=2
	s_and_not1_saveexec_b32 s7, s7
; %bb.5525:                             ;   in Loop: Header=BB6_4897 Depth=2
	v_mov_b64_e32 v[0:1], v[4:5]
	v_bfe_u32 v2, v4, 23, 1
; %bb.5526:                             ;   in Loop: Header=BB6_4897 Depth=2
	s_or_b32 exec_lo, exec_lo, s7
	s_delay_alu instid0(VALU_DEP_2) | instskip(NEXT) | instid1(VALU_DEP_2)
	v_lshrrev_b64 v[0:1], 21, v[0:1]
	v_cmp_gt_i32_e32 vcc_lo, 32, v2
	v_min_i32_e32 v3, 31, v2
	v_cmp_eq_u32_e64 s7, 0, v2
	s_delay_alu instid0(VALU_DEP_2) | instskip(SKIP_1) | instid1(VALU_DEP_2)
	v_dual_cndmask_b32 v1, 0, v1, vcc_lo :: v_dual_lshlrev_b32 v3, 2, v3
	v_cndmask_b32_e32 v0, 3, v0, vcc_lo
	v_and_b32_e32 v3, 0xfc, v3
	s_delay_alu instid0(VALU_DEP_2) | instskip(NEXT) | instid1(VALU_DEP_2)
	v_cmp_eq_u64_e32 vcc_lo, 0, v[0:1]
	v_and_or_b32 v0, v0, 3, v3
	s_and_b32 s7, s7, vcc_lo
	s_delay_alu instid0(VALU_DEP_1) | instid1(SALU_CYCLE_1)
	v_cndmask_b32_e64 v0, v0, 0, s7
	s_delay_alu instid0(VALU_DEP_1)
	v_or_b32_e32 v38, v0, v39
.LBB6_5527:                             ;   in Loop: Header=BB6_4897 Depth=2
	s_or_b32 exec_lo, exec_lo, s26
                                        ; implicit-def: $vgpr39
.LBB6_5528:                             ;   in Loop: Header=BB6_4897 Depth=2
	s_and_not1_saveexec_b32 s7, s25
; %bb.5529:                             ;   in Loop: Header=BB6_4897 Depth=2
	v_or_b32_e32 v38, 0x7b, v39
; %bb.5530:                             ;   in Loop: Header=BB6_4897 Depth=2
	s_or_b32 exec_lo, exec_lo, s7
                                        ; implicit-def: $vgpr0
                                        ; implicit-def: $vgpr1
.LBB6_5531:                             ;   in Loop: Header=BB6_4897 Depth=2
	s_and_not1_saveexec_b32 s7, s24
	s_cbranch_execz .LBB6_5537
; %bb.5532:                             ;   in Loop: Header=BB6_4897 Depth=2
	s_mov_b32 s24, exec_lo
                                        ; implicit-def: $vgpr38
	v_cmpx_ne_u64_e32 0, v[4:5]
	s_xor_b32 s24, exec_lo, s24
; %bb.5533:                             ;   in Loop: Header=BB6_4897 Depth=2
	v_or_b32_e32 v38, 0x7f, v1
                                        ; implicit-def: $vgpr0
; %bb.5534:                             ;   in Loop: Header=BB6_4897 Depth=2
	s_and_not1_saveexec_b32 s24, s24
; %bb.5535:                             ;   in Loop: Header=BB6_4897 Depth=2
	v_cmp_lt_i32_e32 vcc_lo, -1, v0
	v_cndmask_b32_e32 v38, 0xfc, v104, vcc_lo
; %bb.5536:                             ;   in Loop: Header=BB6_4897 Depth=2
	s_or_b32 exec_lo, exec_lo, s24
.LBB6_5537:                             ;   in Loop: Header=BB6_4897 Depth=2
	s_delay_alu instid0(SALU_CYCLE_1) | instskip(SKIP_2) | instid1(VALU_DEP_2)
	s_or_b32 exec_lo, exec_lo, s7
	v_and_b32_e32 v1, 0xff, v32
	v_mov_b32_e32 v0, 0
	v_cmp_ne_u16_e32 vcc_lo, 0, v1
	v_mov_b32_e32 v1, 0
	s_and_saveexec_b32 s7, vcc_lo
	s_cbranch_execz .LBB6_5547
; %bb.5538:                             ;   in Loop: Header=BB6_4897 Depth=2
	v_bfe_i32 v3, v32, 0, 8
	v_bfrev_b32_e32 v1, 1
	s_mov_b32 s24, exec_lo
	s_delay_alu instid0(VALU_DEP_2)
	v_cmpx_ne_u16_e32 0xff80, v3
	s_cbranch_execz .LBB6_5546
; %bb.5539:                             ;   in Loop: Header=BB6_4897 Depth=2
	v_and_b32_e32 v1, 0x7c, v32
	v_and_b32_e32 v2, 3, v32
	s_delay_alu instid0(VALU_DEP_2) | instskip(SKIP_1) | instid1(SALU_CYCLE_1)
	v_cmp_ne_u32_e32 vcc_lo, 0x7c, v1
                                        ; implicit-def: $vgpr1
	s_and_saveexec_b32 s25, vcc_lo
	s_xor_b32 s25, exec_lo, s25
	s_cbranch_execz .LBB6_5543
; %bb.5540:                             ;   in Loop: Header=BB6_4897 Depth=2
	v_bfe_u32 v1, v32, 2, 5
	s_mov_b32 s26, exec_lo
	s_delay_alu instid0(VALU_DEP_1)
	v_cmpx_eq_u32_e32 0, v1
; %bb.5541:                             ;   in Loop: Header=BB6_4897 Depth=2
	v_clz_i32_u32_e32 v1, v2
	s_delay_alu instid0(VALU_DEP_1) | instskip(NEXT) | instid1(VALU_DEP_1)
	v_min_u32_e32 v1, 32, v1
	v_subrev_nc_u32_e32 v2, 29, v1
	s_delay_alu instid0(VALU_DEP_1) | instskip(NEXT) | instid1(VALU_DEP_1)
	v_lshlrev_b64_e32 v[2:3], v2, v[32:33]
	v_dual_sub_nc_u32 v1, 30, v1 :: v_dual_bitop2_b32 v2, 3, v2 bitop3:0x40
; %bb.5542:                             ;   in Loop: Header=BB6_4897 Depth=2
	s_or_b32 exec_lo, exec_lo, s26
	v_lshlrev_b32_e32 v3, 24, v32
	s_delay_alu instid0(VALU_DEP_1) | instskip(NEXT) | instid1(VALU_DEP_1)
	v_and_b32_e32 v3, 0x80000000, v3
	v_lshl_add_u32 v1, v1, 23, v3
                                        ; implicit-def: $vgpr3
	s_delay_alu instid0(VALU_DEP_1) | instskip(NEXT) | instid1(VALU_DEP_1)
	v_lshl_or_b32 v1, v2, 21, v1
                                        ; implicit-def: $vgpr2
	v_add_nc_u32_e32 v1, 0x38000000, v1
.LBB6_5543:                             ;   in Loop: Header=BB6_4897 Depth=2
	s_and_not1_saveexec_b32 s25, s25
; %bb.5544:                             ;   in Loop: Header=BB6_4897 Depth=2
	v_cmp_lt_i16_e32 vcc_lo, -1, v3
	v_cndmask_b32_e32 v1, 0xff800000, v105, vcc_lo
	v_cmp_eq_u32_e32 vcc_lo, 0, v2
	s_delay_alu instid0(VALU_DEP_2)
	v_cndmask_b32_e32 v1, 0x7f800001, v1, vcc_lo
; %bb.5545:                             ;   in Loop: Header=BB6_4897 Depth=2
	s_or_b32 exec_lo, exec_lo, s25
.LBB6_5546:                             ;   in Loop: Header=BB6_4897 Depth=2
	s_delay_alu instid0(SALU_CYCLE_1)
	s_or_b32 exec_lo, exec_lo, s24
.LBB6_5547:                             ;   in Loop: Header=BB6_4897 Depth=2
	s_delay_alu instid0(SALU_CYCLE_1) | instskip(SKIP_3) | instid1(VALU_DEP_1)
	s_or_b32 exec_lo, exec_lo, s7
	s_wait_loadcnt 0x2
	v_and_b32_e32 v2, 0xff, v26
	s_mov_b32 s7, exec_lo
	v_cmpx_ne_u16_e32 0, v2
	s_cbranch_execz .LBB6_5557
; %bb.5548:                             ;   in Loop: Header=BB6_4897 Depth=2
	v_bfe_i32 v3, v26, 0, 8
	v_bfrev_b32_e32 v0, 1
	s_mov_b32 s24, exec_lo
	s_delay_alu instid0(VALU_DEP_2)
	v_cmpx_ne_u16_e32 0xff80, v3
	s_cbranch_execz .LBB6_5556
; %bb.5549:                             ;   in Loop: Header=BB6_4897 Depth=2
	v_and_b32_e32 v0, 0x7c, v26
	v_and_b32_e32 v2, 3, v26
	s_delay_alu instid0(VALU_DEP_2) | instskip(SKIP_1) | instid1(SALU_CYCLE_1)
	v_cmp_ne_u32_e32 vcc_lo, 0x7c, v0
                                        ; implicit-def: $vgpr0
	s_and_saveexec_b32 s25, vcc_lo
	s_xor_b32 s25, exec_lo, s25
	s_cbranch_execz .LBB6_5553
; %bb.5550:                             ;   in Loop: Header=BB6_4897 Depth=2
	v_bfe_u32 v0, v26, 2, 5
	s_mov_b32 s26, exec_lo
	s_delay_alu instid0(VALU_DEP_1)
	v_cmpx_eq_u32_e32 0, v0
; %bb.5551:                             ;   in Loop: Header=BB6_4897 Depth=2
	v_clz_i32_u32_e32 v0, v2
	s_delay_alu instid0(VALU_DEP_1) | instskip(NEXT) | instid1(VALU_DEP_1)
	v_min_u32_e32 v0, 32, v0
	v_subrev_nc_u32_e32 v2, 29, v0
	s_delay_alu instid0(VALU_DEP_1) | instskip(NEXT) | instid1(VALU_DEP_1)
	v_lshlrev_b64_e32 v[2:3], v2, v[26:27]
	v_dual_sub_nc_u32 v0, 30, v0 :: v_dual_bitop2_b32 v2, 3, v2 bitop3:0x40
; %bb.5552:                             ;   in Loop: Header=BB6_4897 Depth=2
	s_or_b32 exec_lo, exec_lo, s26
	v_lshlrev_b32_e32 v3, 24, v26
	s_delay_alu instid0(VALU_DEP_1) | instskip(NEXT) | instid1(VALU_DEP_1)
	v_and_b32_e32 v3, 0x80000000, v3
	v_lshl_add_u32 v0, v0, 23, v3
                                        ; implicit-def: $vgpr3
	s_delay_alu instid0(VALU_DEP_1) | instskip(NEXT) | instid1(VALU_DEP_1)
	v_lshl_or_b32 v0, v2, 21, v0
                                        ; implicit-def: $vgpr2
	v_add_nc_u32_e32 v0, 0x38000000, v0
.LBB6_5553:                             ;   in Loop: Header=BB6_4897 Depth=2
	s_and_not1_saveexec_b32 s25, s25
; %bb.5554:                             ;   in Loop: Header=BB6_4897 Depth=2
	v_cmp_lt_i16_e32 vcc_lo, -1, v3
	v_cndmask_b32_e32 v0, 0xff800000, v105, vcc_lo
	v_cmp_eq_u32_e32 vcc_lo, 0, v2
	s_delay_alu instid0(VALU_DEP_2)
	v_cndmask_b32_e32 v0, 0x7f800001, v0, vcc_lo
; %bb.5555:                             ;   in Loop: Header=BB6_4897 Depth=2
	s_or_b32 exec_lo, exec_lo, s25
.LBB6_5556:                             ;   in Loop: Header=BB6_4897 Depth=2
	s_delay_alu instid0(SALU_CYCLE_1)
	s_or_b32 exec_lo, exec_lo, s24
.LBB6_5557:                             ;   in Loop: Header=BB6_4897 Depth=2
	s_delay_alu instid0(SALU_CYCLE_1) | instskip(NEXT) | instid1(VALU_DEP_1)
	s_or_b32 exec_lo, exec_lo, s7
	v_mul_f32_e32 v0, v1, v0
	v_mov_b32_e32 v3, v5
                                        ; implicit-def: $vgpr39
	s_mov_b32 s7, exec_lo
	s_delay_alu instid0(VALU_DEP_2) | instskip(SKIP_2) | instid1(VALU_DEP_3)
	v_and_b32_e32 v2, 0x7f800000, v0
	v_and_b32_e32 v4, 0x7fffff, v0
	v_lshrrev_b32_e32 v1, 24, v0
	v_cmpx_ne_u64_e32 0x7f800000, v[2:3]
	s_xor_b32 s24, exec_lo, s7
	s_cbranch_execz .LBB6_5571
; %bb.5558:                             ;   in Loop: Header=BB6_4897 Depth=2
	v_and_b32_e32 v2, 0x7fffffff, v0
	v_mov_b32_e32 v3, v5
	v_and_b32_e32 v50, 0x80, v1
                                        ; implicit-def: $vgpr39
	s_mov_b32 s7, exec_lo
	s_delay_alu instid0(VALU_DEP_2)
	v_cmpx_gt_u64_e32 0x47600001, v[2:3]
	s_xor_b32 s25, exec_lo, s7
	s_cbranch_execz .LBB6_5568
; %bb.5559:                             ;   in Loop: Header=BB6_4897 Depth=2
	v_mov_b32_e32 v39, 0
	s_mov_b32 s26, exec_lo
	v_cmpx_ne_u32_e32 0, v0
	s_cbranch_execz .LBB6_5567
; %bb.5560:                             ;   in Loop: Header=BB6_4897 Depth=2
	v_bfe_u32 v39, v0, 23, 8
	v_or_b32_e32 v2, 0x800000, v4
	s_mov_b32 s27, exec_lo
	s_delay_alu instid0(VALU_DEP_2) | instskip(SKIP_1) | instid1(VALU_DEP_2)
	v_dual_mov_b32 v3, v5 :: v_dual_sub_nc_u32 v0, 0x71, v39
	v_cmp_gt_u32_e32 vcc_lo, 0x72, v39
	v_cndmask_b32_e32 v0, 0, v0, vcc_lo
	v_cmp_eq_u32_e32 vcc_lo, 0, v39
	s_delay_alu instid0(VALU_DEP_2) | instskip(NEXT) | instid1(VALU_DEP_1)
	v_cndmask_b32_e64 v51, v0, 0x70, vcc_lo
	v_dual_cndmask_b32 v2, v2, v4, vcc_lo :: v_dual_add_nc_u32 v0, 21, v51
	v_add_nc_u32_e32 v66, 20, v51
	s_delay_alu instid0(VALU_DEP_2) | instskip(NEXT) | instid1(VALU_DEP_2)
	v_lshlrev_b64_e64 v[0:1], v0, -1
	v_lshlrev_b64_e64 v[66:67], v66, 1
	s_delay_alu instid0(VALU_DEP_2) | instskip(NEXT) | instid1(VALU_DEP_3)
	v_bfi_b32 v69, v1, 0, 0
	v_bfi_b32 v68, v0, 0, v2
	v_lshrrev_b64 v[0:1], v51, v[2:3]
	s_delay_alu instid0(VALU_DEP_1) | instskip(NEXT) | instid1(VALU_DEP_3)
	v_mov_b64_e32 v[2:3], v[0:1]
	v_cmpx_eq_u64_e64 v[68:69], v[66:67]
; %bb.5561:                             ;   in Loop: Header=BB6_4897 Depth=2
	v_bfe_u32 v2, v0, 21, 1
	v_mov_b32_e32 v3, v5
	s_delay_alu instid0(VALU_DEP_1) | instskip(NEXT) | instid1(VALU_DEP_1)
	v_add_nc_u64_e32 v[2:3], v[0:1], v[2:3]
	v_add_nc_u64_e32 v[2:3], -1, v[2:3]
; %bb.5562:                             ;   in Loop: Header=BB6_4897 Depth=2
	s_or_b32 exec_lo, exec_lo, s27
	v_add_nc_u32_e32 v1, 0xffffff81, v39
	v_lshrrev_b32_e32 v3, 23, v0
	s_mov_b32 s7, exec_lo
	s_delay_alu instid0(VALU_DEP_2) | instskip(NEXT) | instid1(VALU_DEP_1)
	v_cndmask_b32_e64 v1, v1, 0xffffff82, vcc_lo
	v_add3_u32 v3, v51, v1, v3
	v_and_b32_e32 v1, 0x1fffff, v2
                                        ; implicit-def: $vgpr2
	s_delay_alu instid0(VALU_DEP_1) | instskip(NEXT) | instid1(VALU_DEP_1)
	v_dual_add_nc_u32 v39, 14, v3 :: v_dual_add_nc_u32 v4, v1, v0
                                        ; implicit-def: $vgpr0_vgpr1
	v_cmpx_ne_u32_e32 0, v39
	s_xor_b32 s7, exec_lo, s7
; %bb.5563:                             ;   in Loop: Header=BB6_4897 Depth=2
	s_delay_alu instid0(VALU_DEP_2) | instskip(SKIP_1) | instid1(VALU_DEP_1)
	v_cmp_lt_u64_e32 vcc_lo, 0xffffff, v[4:5]
	v_add_nc_u32_e32 v0, 15, v3
	v_cndmask_b32_e32 v2, v39, v0, vcc_lo
	v_cndmask_b32_e64 v0, 0, 1, vcc_lo
	s_delay_alu instid0(VALU_DEP_1)
	v_lshrrev_b64 v[0:1], v0, v[4:5]
; %bb.5564:                             ;   in Loop: Header=BB6_4897 Depth=2
	s_and_not1_saveexec_b32 s7, s7
; %bb.5565:                             ;   in Loop: Header=BB6_4897 Depth=2
	v_mov_b64_e32 v[0:1], v[4:5]
	v_bfe_u32 v2, v4, 23, 1
; %bb.5566:                             ;   in Loop: Header=BB6_4897 Depth=2
	s_or_b32 exec_lo, exec_lo, s7
	s_delay_alu instid0(VALU_DEP_2) | instskip(NEXT) | instid1(VALU_DEP_2)
	v_lshrrev_b64 v[0:1], 21, v[0:1]
	v_cmp_gt_i32_e32 vcc_lo, 32, v2
	v_min_i32_e32 v3, 31, v2
	v_cmp_eq_u32_e64 s7, 0, v2
	s_delay_alu instid0(VALU_DEP_2) | instskip(SKIP_1) | instid1(VALU_DEP_2)
	v_dual_cndmask_b32 v1, 0, v1, vcc_lo :: v_dual_lshlrev_b32 v3, 2, v3
	v_cndmask_b32_e32 v0, 3, v0, vcc_lo
	v_and_b32_e32 v3, 0xfc, v3
	s_delay_alu instid0(VALU_DEP_2) | instskip(NEXT) | instid1(VALU_DEP_2)
	v_cmp_eq_u64_e32 vcc_lo, 0, v[0:1]
	v_and_or_b32 v0, v0, 3, v3
	s_and_b32 s7, s7, vcc_lo
	s_delay_alu instid0(VALU_DEP_1) | instid1(SALU_CYCLE_1)
	v_cndmask_b32_e64 v0, v0, 0, s7
	s_delay_alu instid0(VALU_DEP_1)
	v_or_b32_e32 v39, v0, v50
.LBB6_5567:                             ;   in Loop: Header=BB6_4897 Depth=2
	s_or_b32 exec_lo, exec_lo, s26
                                        ; implicit-def: $vgpr50
.LBB6_5568:                             ;   in Loop: Header=BB6_4897 Depth=2
	s_and_not1_saveexec_b32 s7, s25
; %bb.5569:                             ;   in Loop: Header=BB6_4897 Depth=2
	v_or_b32_e32 v39, 0x7b, v50
; %bb.5570:                             ;   in Loop: Header=BB6_4897 Depth=2
	s_or_b32 exec_lo, exec_lo, s7
                                        ; implicit-def: $vgpr0
                                        ; implicit-def: $vgpr1
.LBB6_5571:                             ;   in Loop: Header=BB6_4897 Depth=2
	s_and_not1_saveexec_b32 s7, s24
	s_cbranch_execz .LBB6_5577
; %bb.5572:                             ;   in Loop: Header=BB6_4897 Depth=2
	s_mov_b32 s24, exec_lo
                                        ; implicit-def: $vgpr39
	v_cmpx_ne_u64_e32 0, v[4:5]
	s_xor_b32 s24, exec_lo, s24
; %bb.5573:                             ;   in Loop: Header=BB6_4897 Depth=2
	v_or_b32_e32 v39, 0x7f, v1
                                        ; implicit-def: $vgpr0
; %bb.5574:                             ;   in Loop: Header=BB6_4897 Depth=2
	s_and_not1_saveexec_b32 s24, s24
; %bb.5575:                             ;   in Loop: Header=BB6_4897 Depth=2
	v_cmp_lt_i32_e32 vcc_lo, -1, v0
	v_cndmask_b32_e32 v39, 0xfc, v104, vcc_lo
; %bb.5576:                             ;   in Loop: Header=BB6_4897 Depth=2
	s_or_b32 exec_lo, exec_lo, s24
.LBB6_5577:                             ;   in Loop: Header=BB6_4897 Depth=2
	s_delay_alu instid0(SALU_CYCLE_1) | instskip(SKIP_3) | instid1(VALU_DEP_2)
	s_or_b32 exec_lo, exec_lo, s7
	v_lshrrev_b16 v0, 8, v32
	v_dual_mov_b32 v2, 0 :: v_dual_mov_b32 v3, 0
	s_mov_b32 s7, exec_lo
	v_cmpx_ne_u16_e32 0, v0
	s_cbranch_execz .LBB6_5587
; %bb.5578:                             ;   in Loop: Header=BB6_4897 Depth=2
	v_bfrev_b32_e32 v3, 1
	s_mov_b32 s24, exec_lo
	v_cmpx_ne_u16_e32 0x80, v0
	s_cbranch_execz .LBB6_5586
; %bb.5579:                             ;   in Loop: Header=BB6_4897 Depth=2
	v_and_b32_e32 v4, 0xffff, v0
	s_delay_alu instid0(VALU_DEP_1) | instskip(SKIP_1) | instid1(VALU_DEP_2)
	v_and_b32_e32 v3, 0x7c, v4
	v_and_b32_e32 v1, 3, v4
	v_cmp_ne_u32_e32 vcc_lo, 0x7c, v3
                                        ; implicit-def: $vgpr3
	s_and_saveexec_b32 s25, vcc_lo
	s_delay_alu instid0(SALU_CYCLE_1)
	s_xor_b32 s25, exec_lo, s25
	s_cbranch_execz .LBB6_5583
; %bb.5580:                             ;   in Loop: Header=BB6_4897 Depth=2
	v_bfe_u32 v3, v4, 2, 5
	s_mov_b32 s26, exec_lo
	s_delay_alu instid0(VALU_DEP_1)
	v_cmpx_eq_u32_e32 0, v3
	s_cbranch_execz .LBB6_5582
; %bb.5581:                             ;   in Loop: Header=BB6_4897 Depth=2
	v_clz_i32_u32_e32 v1, v1
	s_delay_alu instid0(VALU_DEP_1) | instskip(SKIP_1) | instid1(VALU_DEP_2)
	v_min_u32_e32 v3, 32, v1
	v_mov_b32_e32 v1, v5
	v_subrev_nc_u32_e32 v4, 29, v3
	v_sub_nc_u32_e32 v3, 30, v3
	s_delay_alu instid0(VALU_DEP_2) | instskip(NEXT) | instid1(VALU_DEP_1)
	v_lshlrev_b64_e32 v[0:1], v4, v[0:1]
	v_and_b32_e32 v1, 3, v0
.LBB6_5582:                             ;   in Loop: Header=BB6_4897 Depth=2
	s_or_b32 exec_lo, exec_lo, s26
	v_lshlrev_b32_e32 v0, 16, v32
	s_delay_alu instid0(VALU_DEP_1) | instskip(NEXT) | instid1(VALU_DEP_1)
	v_and_b32_e32 v0, 0x80000000, v0
	v_lshl_add_u32 v0, v3, 23, v0
	s_delay_alu instid0(VALU_DEP_1) | instskip(NEXT) | instid1(VALU_DEP_1)
	v_lshl_or_b32 v0, v1, 21, v0
                                        ; implicit-def: $vgpr1
	v_add_nc_u32_e32 v3, 0x38000000, v0
.LBB6_5583:                             ;   in Loop: Header=BB6_4897 Depth=2
	s_and_not1_saveexec_b32 s25, s25
; %bb.5584:                             ;   in Loop: Header=BB6_4897 Depth=2
	v_cmp_lt_i16_e32 vcc_lo, -1, v32
	v_cndmask_b32_e32 v0, 0xff800000, v105, vcc_lo
	v_cmp_eq_u32_e32 vcc_lo, 0, v1
	s_delay_alu instid0(VALU_DEP_2)
	v_cndmask_b32_e32 v3, 0x7f800001, v0, vcc_lo
; %bb.5585:                             ;   in Loop: Header=BB6_4897 Depth=2
	s_or_b32 exec_lo, exec_lo, s25
.LBB6_5586:                             ;   in Loop: Header=BB6_4897 Depth=2
	s_delay_alu instid0(SALU_CYCLE_1)
	s_or_b32 exec_lo, exec_lo, s24
.LBB6_5587:                             ;   in Loop: Header=BB6_4897 Depth=2
	s_delay_alu instid0(SALU_CYCLE_1) | instskip(SKIP_2) | instid1(VALU_DEP_1)
	s_or_b32 exec_lo, exec_lo, s7
	v_lshrrev_b16 v0, 8, v26
	s_mov_b32 s7, exec_lo
	v_cmpx_ne_u16_e32 0, v0
	s_cbranch_execz .LBB6_5597
; %bb.5588:                             ;   in Loop: Header=BB6_4897 Depth=2
	v_bfrev_b32_e32 v2, 1
	s_mov_b32 s24, exec_lo
	v_cmpx_ne_u16_e32 0x80, v0
	s_cbranch_execz .LBB6_5596
; %bb.5589:                             ;   in Loop: Header=BB6_4897 Depth=2
	v_and_b32_e32 v4, 0xffff, v0
	s_delay_alu instid0(VALU_DEP_1) | instskip(SKIP_1) | instid1(VALU_DEP_2)
	v_and_b32_e32 v2, 0x7c, v4
	v_and_b32_e32 v1, 3, v4
	v_cmp_ne_u32_e32 vcc_lo, 0x7c, v2
                                        ; implicit-def: $vgpr2
	s_and_saveexec_b32 s25, vcc_lo
	s_delay_alu instid0(SALU_CYCLE_1)
	s_xor_b32 s25, exec_lo, s25
	s_cbranch_execz .LBB6_5593
; %bb.5590:                             ;   in Loop: Header=BB6_4897 Depth=2
	v_bfe_u32 v2, v4, 2, 5
	s_mov_b32 s26, exec_lo
	s_delay_alu instid0(VALU_DEP_1)
	v_cmpx_eq_u32_e32 0, v2
	s_cbranch_execz .LBB6_5592
; %bb.5591:                             ;   in Loop: Header=BB6_4897 Depth=2
	v_clz_i32_u32_e32 v1, v1
	s_delay_alu instid0(VALU_DEP_1) | instskip(SKIP_1) | instid1(VALU_DEP_2)
	v_min_u32_e32 v2, 32, v1
	v_mov_b32_e32 v1, v5
	v_subrev_nc_u32_e32 v4, 29, v2
	v_sub_nc_u32_e32 v2, 30, v2
	s_delay_alu instid0(VALU_DEP_2) | instskip(NEXT) | instid1(VALU_DEP_1)
	v_lshlrev_b64_e32 v[0:1], v4, v[0:1]
	v_and_b32_e32 v1, 3, v0
.LBB6_5592:                             ;   in Loop: Header=BB6_4897 Depth=2
	s_or_b32 exec_lo, exec_lo, s26
	v_lshlrev_b32_e32 v0, 16, v26
	s_delay_alu instid0(VALU_DEP_1) | instskip(NEXT) | instid1(VALU_DEP_1)
	v_and_b32_e32 v0, 0x80000000, v0
	v_lshl_add_u32 v0, v2, 23, v0
	s_delay_alu instid0(VALU_DEP_1) | instskip(NEXT) | instid1(VALU_DEP_1)
	v_lshl_or_b32 v0, v1, 21, v0
                                        ; implicit-def: $vgpr1
	v_add_nc_u32_e32 v2, 0x38000000, v0
.LBB6_5593:                             ;   in Loop: Header=BB6_4897 Depth=2
	s_and_not1_saveexec_b32 s25, s25
; %bb.5594:                             ;   in Loop: Header=BB6_4897 Depth=2
	v_cmp_lt_i16_e32 vcc_lo, -1, v26
	v_cndmask_b32_e32 v0, 0xff800000, v105, vcc_lo
	v_cmp_eq_u32_e32 vcc_lo, 0, v1
	s_delay_alu instid0(VALU_DEP_2)
	v_cndmask_b32_e32 v2, 0x7f800001, v0, vcc_lo
; %bb.5595:                             ;   in Loop: Header=BB6_4897 Depth=2
	s_or_b32 exec_lo, exec_lo, s25
.LBB6_5596:                             ;   in Loop: Header=BB6_4897 Depth=2
	s_delay_alu instid0(SALU_CYCLE_1)
	s_or_b32 exec_lo, exec_lo, s24
.LBB6_5597:                             ;   in Loop: Header=BB6_4897 Depth=2
	s_delay_alu instid0(SALU_CYCLE_1) | instskip(NEXT) | instid1(VALU_DEP_1)
	s_or_b32 exec_lo, exec_lo, s7
	v_dual_mul_f32 v0, v3, v2 :: v_dual_mov_b32 v3, v5
                                        ; implicit-def: $vgpr50
	s_mov_b32 s7, exec_lo
	s_delay_alu instid0(VALU_DEP_1) | instskip(SKIP_2) | instid1(VALU_DEP_3)
	v_and_b32_e32 v2, 0x7f800000, v0
	v_and_b32_e32 v4, 0x7fffff, v0
	v_lshrrev_b32_e32 v1, 24, v0
	v_cmpx_ne_u64_e32 0x7f800000, v[2:3]
	s_xor_b32 s24, exec_lo, s7
	s_cbranch_execz .LBB6_5611
; %bb.5598:                             ;   in Loop: Header=BB6_4897 Depth=2
	v_and_b32_e32 v2, 0x7fffffff, v0
	v_mov_b32_e32 v3, v5
	v_and_b32_e32 v51, 0x80, v1
                                        ; implicit-def: $vgpr50
	s_mov_b32 s7, exec_lo
	s_delay_alu instid0(VALU_DEP_2)
	v_cmpx_gt_u64_e32 0x47600001, v[2:3]
	s_xor_b32 s25, exec_lo, s7
	s_cbranch_execz .LBB6_5608
; %bb.5599:                             ;   in Loop: Header=BB6_4897 Depth=2
	v_mov_b32_e32 v50, 0
	s_mov_b32 s26, exec_lo
	v_cmpx_ne_u32_e32 0, v0
	s_cbranch_execz .LBB6_5607
; %bb.5600:                             ;   in Loop: Header=BB6_4897 Depth=2
	v_bfe_u32 v50, v0, 23, 8
	v_or_b32_e32 v2, 0x800000, v4
	s_mov_b32 s27, exec_lo
	s_delay_alu instid0(VALU_DEP_2) | instskip(SKIP_1) | instid1(VALU_DEP_2)
	v_dual_mov_b32 v3, v5 :: v_dual_sub_nc_u32 v0, 0x71, v50
	v_cmp_gt_u32_e32 vcc_lo, 0x72, v50
	v_cndmask_b32_e32 v0, 0, v0, vcc_lo
	v_cmp_eq_u32_e32 vcc_lo, 0, v50
	s_delay_alu instid0(VALU_DEP_2) | instskip(NEXT) | instid1(VALU_DEP_1)
	v_cndmask_b32_e64 v66, v0, 0x70, vcc_lo
	v_dual_cndmask_b32 v2, v2, v4, vcc_lo :: v_dual_add_nc_u32 v0, 21, v66
	v_add_nc_u32_e32 v67, 20, v66
	s_delay_alu instid0(VALU_DEP_2) | instskip(NEXT) | instid1(VALU_DEP_2)
	v_lshlrev_b64_e64 v[0:1], v0, -1
	v_lshlrev_b64_e64 v[68:69], v67, 1
	s_delay_alu instid0(VALU_DEP_2) | instskip(NEXT) | instid1(VALU_DEP_3)
	v_bfi_b32 v71, v1, 0, 0
	v_bfi_b32 v70, v0, 0, v2
	v_lshrrev_b64 v[0:1], v66, v[2:3]
	s_delay_alu instid0(VALU_DEP_1) | instskip(NEXT) | instid1(VALU_DEP_3)
	v_mov_b64_e32 v[2:3], v[0:1]
	v_cmpx_eq_u64_e64 v[70:71], v[68:69]
; %bb.5601:                             ;   in Loop: Header=BB6_4897 Depth=2
	v_bfe_u32 v2, v0, 21, 1
	v_mov_b32_e32 v3, v5
	s_delay_alu instid0(VALU_DEP_1) | instskip(NEXT) | instid1(VALU_DEP_1)
	v_add_nc_u64_e32 v[2:3], v[0:1], v[2:3]
	v_add_nc_u64_e32 v[2:3], -1, v[2:3]
; %bb.5602:                             ;   in Loop: Header=BB6_4897 Depth=2
	s_or_b32 exec_lo, exec_lo, s27
	v_add_nc_u32_e32 v1, 0xffffff81, v50
	v_lshrrev_b32_e32 v3, 23, v0
	s_mov_b32 s7, exec_lo
	s_delay_alu instid0(VALU_DEP_2) | instskip(NEXT) | instid1(VALU_DEP_1)
	v_cndmask_b32_e64 v1, v1, 0xffffff82, vcc_lo
	v_add3_u32 v3, v66, v1, v3
	v_and_b32_e32 v1, 0x1fffff, v2
                                        ; implicit-def: $vgpr2
	s_delay_alu instid0(VALU_DEP_1) | instskip(NEXT) | instid1(VALU_DEP_1)
	v_dual_add_nc_u32 v50, 14, v3 :: v_dual_add_nc_u32 v4, v1, v0
                                        ; implicit-def: $vgpr0_vgpr1
	v_cmpx_ne_u32_e32 0, v50
	s_xor_b32 s7, exec_lo, s7
; %bb.5603:                             ;   in Loop: Header=BB6_4897 Depth=2
	s_delay_alu instid0(VALU_DEP_2) | instskip(SKIP_1) | instid1(VALU_DEP_1)
	v_cmp_lt_u64_e32 vcc_lo, 0xffffff, v[4:5]
	v_add_nc_u32_e32 v0, 15, v3
	v_cndmask_b32_e32 v2, v50, v0, vcc_lo
	v_cndmask_b32_e64 v0, 0, 1, vcc_lo
	s_delay_alu instid0(VALU_DEP_1)
	v_lshrrev_b64 v[0:1], v0, v[4:5]
; %bb.5604:                             ;   in Loop: Header=BB6_4897 Depth=2
	s_and_not1_saveexec_b32 s7, s7
; %bb.5605:                             ;   in Loop: Header=BB6_4897 Depth=2
	v_mov_b64_e32 v[0:1], v[4:5]
	v_bfe_u32 v2, v4, 23, 1
; %bb.5606:                             ;   in Loop: Header=BB6_4897 Depth=2
	s_or_b32 exec_lo, exec_lo, s7
	s_delay_alu instid0(VALU_DEP_2) | instskip(NEXT) | instid1(VALU_DEP_2)
	v_lshrrev_b64 v[0:1], 21, v[0:1]
	v_cmp_gt_i32_e32 vcc_lo, 32, v2
	v_min_i32_e32 v3, 31, v2
	v_cmp_eq_u32_e64 s7, 0, v2
	s_delay_alu instid0(VALU_DEP_2) | instskip(SKIP_1) | instid1(VALU_DEP_2)
	v_dual_cndmask_b32 v1, 0, v1, vcc_lo :: v_dual_lshlrev_b32 v3, 2, v3
	v_cndmask_b32_e32 v0, 3, v0, vcc_lo
	v_and_b32_e32 v3, 0xfc, v3
	s_delay_alu instid0(VALU_DEP_2) | instskip(NEXT) | instid1(VALU_DEP_2)
	v_cmp_eq_u64_e32 vcc_lo, 0, v[0:1]
	v_and_or_b32 v0, v0, 3, v3
	s_and_b32 s7, s7, vcc_lo
	s_delay_alu instid0(VALU_DEP_1) | instid1(SALU_CYCLE_1)
	v_cndmask_b32_e64 v0, v0, 0, s7
	s_delay_alu instid0(VALU_DEP_1)
	v_or_b32_e32 v50, v0, v51
.LBB6_5607:                             ;   in Loop: Header=BB6_4897 Depth=2
	s_or_b32 exec_lo, exec_lo, s26
                                        ; implicit-def: $vgpr51
.LBB6_5608:                             ;   in Loop: Header=BB6_4897 Depth=2
	s_and_not1_saveexec_b32 s7, s25
; %bb.5609:                             ;   in Loop: Header=BB6_4897 Depth=2
	v_or_b32_e32 v50, 0x7b, v51
; %bb.5610:                             ;   in Loop: Header=BB6_4897 Depth=2
	s_or_b32 exec_lo, exec_lo, s7
                                        ; implicit-def: $vgpr0
                                        ; implicit-def: $vgpr1
.LBB6_5611:                             ;   in Loop: Header=BB6_4897 Depth=2
	s_and_not1_saveexec_b32 s7, s24
	s_cbranch_execz .LBB6_5617
; %bb.5612:                             ;   in Loop: Header=BB6_4897 Depth=2
	s_mov_b32 s24, exec_lo
                                        ; implicit-def: $vgpr50
	v_cmpx_ne_u64_e32 0, v[4:5]
	s_xor_b32 s24, exec_lo, s24
; %bb.5613:                             ;   in Loop: Header=BB6_4897 Depth=2
	v_or_b32_e32 v50, 0x7f, v1
                                        ; implicit-def: $vgpr0
; %bb.5614:                             ;   in Loop: Header=BB6_4897 Depth=2
	s_and_not1_saveexec_b32 s24, s24
; %bb.5615:                             ;   in Loop: Header=BB6_4897 Depth=2
	v_cmp_lt_i32_e32 vcc_lo, -1, v0
	v_cndmask_b32_e32 v50, 0xfc, v104, vcc_lo
; %bb.5616:                             ;   in Loop: Header=BB6_4897 Depth=2
	s_or_b32 exec_lo, exec_lo, s24
.LBB6_5617:                             ;   in Loop: Header=BB6_4897 Depth=2
	s_delay_alu instid0(SALU_CYCLE_1) | instskip(SKIP_3) | instid1(VALU_DEP_2)
	s_or_b32 exec_lo, exec_lo, s7
	v_dual_mov_b32 v1, 0 :: v_dual_lshrrev_b32 v0, 16, v32
	v_mov_b32_e32 v2, 0
	s_mov_b32 s7, exec_lo
	v_and_b32_e32 v3, 0xff, v0
	s_delay_alu instid0(VALU_DEP_1)
	v_cmpx_ne_u16_e32 0, v3
	s_cbranch_execz .LBB6_5627
; %bb.5618:                             ;   in Loop: Header=BB6_4897 Depth=2
	v_bfrev_b32_e32 v2, 1
	s_mov_b32 s24, exec_lo
	v_cmpx_ne_u16_e32 0x80, v3
	s_cbranch_execz .LBB6_5626
; %bb.5619:                             ;   in Loop: Header=BB6_4897 Depth=2
	v_and_b32_e32 v2, 0x7c0000, v32
	v_bfe_u32 v3, v32, 16, 2
	s_delay_alu instid0(VALU_DEP_2) | instskip(SKIP_1) | instid1(SALU_CYCLE_1)
	v_cmp_ne_u32_e32 vcc_lo, 0x7c0000, v2
                                        ; implicit-def: $vgpr2
	s_and_saveexec_b32 s25, vcc_lo
	s_xor_b32 s25, exec_lo, s25
	s_cbranch_execz .LBB6_5623
; %bb.5620:                             ;   in Loop: Header=BB6_4897 Depth=2
	v_bfe_u32 v2, v32, 18, 5
	s_mov_b32 s26, exec_lo
	s_delay_alu instid0(VALU_DEP_1)
	v_cmpx_eq_u32_e32 0, v2
; %bb.5621:                             ;   in Loop: Header=BB6_4897 Depth=2
	v_clz_i32_u32_e32 v2, v3
	s_delay_alu instid0(VALU_DEP_1) | instskip(NEXT) | instid1(VALU_DEP_1)
	v_min_u32_e32 v2, 32, v2
	v_subrev_nc_u32_e32 v3, 29, v2
	v_sub_nc_u32_e32 v2, 30, v2
	s_delay_alu instid0(VALU_DEP_2) | instskip(NEXT) | instid1(VALU_DEP_1)
	v_lshlrev_b64_e32 v[66:67], v3, v[0:1]
	v_and_b32_e32 v3, 3, v66
; %bb.5622:                             ;   in Loop: Header=BB6_4897 Depth=2
	s_or_b32 exec_lo, exec_lo, s26
	v_lshlrev_b32_e32 v0, 24, v0
	s_delay_alu instid0(VALU_DEP_1) | instskip(NEXT) | instid1(VALU_DEP_1)
	v_and_b32_e32 v0, 0x80000000, v0
	v_lshl_add_u32 v0, v2, 23, v0
	s_delay_alu instid0(VALU_DEP_1) | instskip(NEXT) | instid1(VALU_DEP_1)
	v_lshl_or_b32 v0, v3, 21, v0
                                        ; implicit-def: $vgpr3
	v_add_nc_u32_e32 v2, 0x38000000, v0
                                        ; implicit-def: $vgpr0
.LBB6_5623:                             ;   in Loop: Header=BB6_4897 Depth=2
	s_and_not1_saveexec_b32 s25, s25
; %bb.5624:                             ;   in Loop: Header=BB6_4897 Depth=2
	v_bfe_i32 v0, v0, 0, 8
	s_delay_alu instid0(VALU_DEP_1) | instskip(SKIP_2) | instid1(VALU_DEP_2)
	v_cmp_lt_i16_e32 vcc_lo, -1, v0
	v_cndmask_b32_e32 v0, 0xff800000, v105, vcc_lo
	v_cmp_eq_u32_e32 vcc_lo, 0, v3
	v_cndmask_b32_e32 v2, 0x7f800001, v0, vcc_lo
; %bb.5625:                             ;   in Loop: Header=BB6_4897 Depth=2
	s_or_b32 exec_lo, exec_lo, s25
.LBB6_5626:                             ;   in Loop: Header=BB6_4897 Depth=2
	s_delay_alu instid0(SALU_CYCLE_1)
	s_or_b32 exec_lo, exec_lo, s24
.LBB6_5627:                             ;   in Loop: Header=BB6_4897 Depth=2
	s_delay_alu instid0(SALU_CYCLE_1) | instskip(SKIP_2) | instid1(VALU_DEP_1)
	s_or_b32 exec_lo, exec_lo, s7
	v_lshrrev_b32_e32 v0, 16, v26
	s_mov_b32 s7, exec_lo
	v_and_b32_e32 v3, 0xff, v0
	s_delay_alu instid0(VALU_DEP_1)
	v_cmpx_ne_u16_e32 0, v3
	s_cbranch_execz .LBB6_5637
; %bb.5628:                             ;   in Loop: Header=BB6_4897 Depth=2
	v_bfrev_b32_e32 v1, 1
	s_mov_b32 s24, exec_lo
	v_cmpx_ne_u16_e32 0x80, v3
	s_cbranch_execz .LBB6_5636
; %bb.5629:                             ;   in Loop: Header=BB6_4897 Depth=2
	v_and_b32_e32 v1, 0x7c0000, v26
	v_bfe_u32 v3, v26, 16, 2
	s_delay_alu instid0(VALU_DEP_2) | instskip(SKIP_1) | instid1(SALU_CYCLE_1)
	v_cmp_ne_u32_e32 vcc_lo, 0x7c0000, v1
                                        ; implicit-def: $vgpr1
	s_and_saveexec_b32 s25, vcc_lo
	s_xor_b32 s25, exec_lo, s25
	s_cbranch_execz .LBB6_5633
; %bb.5630:                             ;   in Loop: Header=BB6_4897 Depth=2
	v_bfe_u32 v1, v26, 18, 5
	s_mov_b32 s26, exec_lo
	s_delay_alu instid0(VALU_DEP_1)
	v_cmpx_eq_u32_e32 0, v1
; %bb.5631:                             ;   in Loop: Header=BB6_4897 Depth=2
	v_clz_i32_u32_e32 v1, v3
	s_delay_alu instid0(VALU_DEP_1) | instskip(NEXT) | instid1(VALU_DEP_1)
	v_min_u32_e32 v1, 32, v1
	v_subrev_nc_u32_e32 v3, 29, v1
	s_delay_alu instid0(VALU_DEP_1) | instskip(NEXT) | instid1(VALU_DEP_1)
	v_lshlrev_b64_e32 v[66:67], v3, v[0:1]
	v_dual_sub_nc_u32 v1, 30, v1 :: v_dual_bitop2_b32 v3, 3, v66 bitop3:0x40
; %bb.5632:                             ;   in Loop: Header=BB6_4897 Depth=2
	s_or_b32 exec_lo, exec_lo, s26
	v_lshlrev_b32_e32 v0, 24, v0
	s_delay_alu instid0(VALU_DEP_1) | instskip(NEXT) | instid1(VALU_DEP_1)
	v_and_b32_e32 v0, 0x80000000, v0
	v_lshl_add_u32 v0, v1, 23, v0
	s_delay_alu instid0(VALU_DEP_1) | instskip(NEXT) | instid1(VALU_DEP_1)
	v_lshl_or_b32 v0, v3, 21, v0
                                        ; implicit-def: $vgpr3
	v_add_nc_u32_e32 v1, 0x38000000, v0
                                        ; implicit-def: $vgpr0
.LBB6_5633:                             ;   in Loop: Header=BB6_4897 Depth=2
	s_and_not1_saveexec_b32 s25, s25
; %bb.5634:                             ;   in Loop: Header=BB6_4897 Depth=2
	v_bfe_i32 v0, v0, 0, 8
	s_delay_alu instid0(VALU_DEP_1) | instskip(SKIP_2) | instid1(VALU_DEP_2)
	v_cmp_lt_i16_e32 vcc_lo, -1, v0
	v_cndmask_b32_e32 v0, 0xff800000, v105, vcc_lo
	v_cmp_eq_u32_e32 vcc_lo, 0, v3
	v_cndmask_b32_e32 v1, 0x7f800001, v0, vcc_lo
; %bb.5635:                             ;   in Loop: Header=BB6_4897 Depth=2
	s_or_b32 exec_lo, exec_lo, s25
.LBB6_5636:                             ;   in Loop: Header=BB6_4897 Depth=2
	s_delay_alu instid0(SALU_CYCLE_1)
	s_or_b32 exec_lo, exec_lo, s24
.LBB6_5637:                             ;   in Loop: Header=BB6_4897 Depth=2
	s_delay_alu instid0(SALU_CYCLE_1) | instskip(NEXT) | instid1(VALU_DEP_1)
	s_or_b32 exec_lo, exec_lo, s7
	v_dual_mul_f32 v0, v2, v1 :: v_dual_mov_b32 v3, v5
                                        ; implicit-def: $vgpr51
	s_mov_b32 s7, exec_lo
	s_delay_alu instid0(VALU_DEP_1) | instskip(SKIP_2) | instid1(VALU_DEP_3)
	v_and_b32_e32 v2, 0x7f800000, v0
	v_and_b32_e32 v4, 0x7fffff, v0
	v_lshrrev_b32_e32 v1, 24, v0
	v_cmpx_ne_u64_e32 0x7f800000, v[2:3]
	s_xor_b32 s24, exec_lo, s7
	s_cbranch_execz .LBB6_5651
; %bb.5638:                             ;   in Loop: Header=BB6_4897 Depth=2
	v_and_b32_e32 v2, 0x7fffffff, v0
	v_mov_b32_e32 v3, v5
	v_and_b32_e32 v66, 0x80, v1
                                        ; implicit-def: $vgpr51
	s_mov_b32 s7, exec_lo
	s_delay_alu instid0(VALU_DEP_2)
	v_cmpx_gt_u64_e32 0x47600001, v[2:3]
	s_xor_b32 s25, exec_lo, s7
	s_cbranch_execz .LBB6_5648
; %bb.5639:                             ;   in Loop: Header=BB6_4897 Depth=2
	v_mov_b32_e32 v51, 0
	s_mov_b32 s26, exec_lo
	v_cmpx_ne_u32_e32 0, v0
	s_cbranch_execz .LBB6_5647
; %bb.5640:                             ;   in Loop: Header=BB6_4897 Depth=2
	v_bfe_u32 v51, v0, 23, 8
	v_or_b32_e32 v2, 0x800000, v4
	s_mov_b32 s27, exec_lo
	s_delay_alu instid0(VALU_DEP_2) | instskip(SKIP_1) | instid1(VALU_DEP_2)
	v_dual_mov_b32 v3, v5 :: v_dual_sub_nc_u32 v0, 0x71, v51
	v_cmp_gt_u32_e32 vcc_lo, 0x72, v51
	v_cndmask_b32_e32 v0, 0, v0, vcc_lo
	v_cmp_eq_u32_e32 vcc_lo, 0, v51
	s_delay_alu instid0(VALU_DEP_2) | instskip(NEXT) | instid1(VALU_DEP_1)
	v_cndmask_b32_e64 v67, v0, 0x70, vcc_lo
	v_dual_cndmask_b32 v2, v2, v4, vcc_lo :: v_dual_add_nc_u32 v0, 21, v67
	v_add_nc_u32_e32 v68, 20, v67
	s_delay_alu instid0(VALU_DEP_2) | instskip(NEXT) | instid1(VALU_DEP_2)
	v_lshlrev_b64_e64 v[0:1], v0, -1
	v_lshlrev_b64_e64 v[68:69], v68, 1
	s_delay_alu instid0(VALU_DEP_2) | instskip(NEXT) | instid1(VALU_DEP_3)
	v_bfi_b32 v71, v1, 0, 0
	v_bfi_b32 v70, v0, 0, v2
	v_lshrrev_b64 v[0:1], v67, v[2:3]
	s_delay_alu instid0(VALU_DEP_1) | instskip(NEXT) | instid1(VALU_DEP_3)
	v_mov_b64_e32 v[2:3], v[0:1]
	v_cmpx_eq_u64_e64 v[70:71], v[68:69]
; %bb.5641:                             ;   in Loop: Header=BB6_4897 Depth=2
	v_bfe_u32 v2, v0, 21, 1
	v_mov_b32_e32 v3, v5
	s_delay_alu instid0(VALU_DEP_1) | instskip(NEXT) | instid1(VALU_DEP_1)
	v_add_nc_u64_e32 v[2:3], v[0:1], v[2:3]
	v_add_nc_u64_e32 v[2:3], -1, v[2:3]
; %bb.5642:                             ;   in Loop: Header=BB6_4897 Depth=2
	s_or_b32 exec_lo, exec_lo, s27
	v_add_nc_u32_e32 v1, 0xffffff81, v51
	v_lshrrev_b32_e32 v3, 23, v0
	s_mov_b32 s7, exec_lo
	s_delay_alu instid0(VALU_DEP_2) | instskip(NEXT) | instid1(VALU_DEP_1)
	v_cndmask_b32_e64 v1, v1, 0xffffff82, vcc_lo
	v_add3_u32 v3, v67, v1, v3
	v_and_b32_e32 v1, 0x1fffff, v2
                                        ; implicit-def: $vgpr2
	s_delay_alu instid0(VALU_DEP_1) | instskip(NEXT) | instid1(VALU_DEP_1)
	v_dual_add_nc_u32 v51, 14, v3 :: v_dual_add_nc_u32 v4, v1, v0
                                        ; implicit-def: $vgpr0_vgpr1
	v_cmpx_ne_u32_e32 0, v51
	s_xor_b32 s7, exec_lo, s7
; %bb.5643:                             ;   in Loop: Header=BB6_4897 Depth=2
	s_delay_alu instid0(VALU_DEP_2) | instskip(SKIP_1) | instid1(VALU_DEP_1)
	v_cmp_lt_u64_e32 vcc_lo, 0xffffff, v[4:5]
	v_add_nc_u32_e32 v0, 15, v3
	v_cndmask_b32_e32 v2, v51, v0, vcc_lo
	v_cndmask_b32_e64 v0, 0, 1, vcc_lo
	s_delay_alu instid0(VALU_DEP_1)
	v_lshrrev_b64 v[0:1], v0, v[4:5]
; %bb.5644:                             ;   in Loop: Header=BB6_4897 Depth=2
	s_and_not1_saveexec_b32 s7, s7
; %bb.5645:                             ;   in Loop: Header=BB6_4897 Depth=2
	v_mov_b64_e32 v[0:1], v[4:5]
	v_bfe_u32 v2, v4, 23, 1
; %bb.5646:                             ;   in Loop: Header=BB6_4897 Depth=2
	s_or_b32 exec_lo, exec_lo, s7
	s_delay_alu instid0(VALU_DEP_2) | instskip(NEXT) | instid1(VALU_DEP_2)
	v_lshrrev_b64 v[0:1], 21, v[0:1]
	v_cmp_gt_i32_e32 vcc_lo, 32, v2
	v_min_i32_e32 v3, 31, v2
	v_cmp_eq_u32_e64 s7, 0, v2
	s_delay_alu instid0(VALU_DEP_2) | instskip(SKIP_1) | instid1(VALU_DEP_2)
	v_dual_cndmask_b32 v1, 0, v1, vcc_lo :: v_dual_lshlrev_b32 v3, 2, v3
	v_cndmask_b32_e32 v0, 3, v0, vcc_lo
	v_and_b32_e32 v3, 0xfc, v3
	s_delay_alu instid0(VALU_DEP_2) | instskip(NEXT) | instid1(VALU_DEP_2)
	v_cmp_eq_u64_e32 vcc_lo, 0, v[0:1]
	v_and_or_b32 v0, v0, 3, v3
	s_and_b32 s7, s7, vcc_lo
	s_delay_alu instid0(VALU_DEP_1) | instid1(SALU_CYCLE_1)
	v_cndmask_b32_e64 v0, v0, 0, s7
	s_delay_alu instid0(VALU_DEP_1)
	v_or_b32_e32 v51, v0, v66
.LBB6_5647:                             ;   in Loop: Header=BB6_4897 Depth=2
	s_or_b32 exec_lo, exec_lo, s26
                                        ; implicit-def: $vgpr66
.LBB6_5648:                             ;   in Loop: Header=BB6_4897 Depth=2
	s_and_not1_saveexec_b32 s7, s25
; %bb.5649:                             ;   in Loop: Header=BB6_4897 Depth=2
	v_or_b32_e32 v51, 0x7b, v66
; %bb.5650:                             ;   in Loop: Header=BB6_4897 Depth=2
	s_or_b32 exec_lo, exec_lo, s7
                                        ; implicit-def: $vgpr0
                                        ; implicit-def: $vgpr1
.LBB6_5651:                             ;   in Loop: Header=BB6_4897 Depth=2
	s_and_not1_saveexec_b32 s7, s24
	s_cbranch_execz .LBB6_5657
; %bb.5652:                             ;   in Loop: Header=BB6_4897 Depth=2
	s_mov_b32 s24, exec_lo
                                        ; implicit-def: $vgpr51
	v_cmpx_ne_u64_e32 0, v[4:5]
	s_xor_b32 s24, exec_lo, s24
; %bb.5653:                             ;   in Loop: Header=BB6_4897 Depth=2
	v_or_b32_e32 v51, 0x7f, v1
                                        ; implicit-def: $vgpr0
; %bb.5654:                             ;   in Loop: Header=BB6_4897 Depth=2
	s_and_not1_saveexec_b32 s24, s24
; %bb.5655:                             ;   in Loop: Header=BB6_4897 Depth=2
	v_cmp_lt_i32_e32 vcc_lo, -1, v0
	v_cndmask_b32_e32 v51, 0xfc, v104, vcc_lo
; %bb.5656:                             ;   in Loop: Header=BB6_4897 Depth=2
	s_or_b32 exec_lo, exec_lo, s24
.LBB6_5657:                             ;   in Loop: Header=BB6_4897 Depth=2
	s_delay_alu instid0(SALU_CYCLE_1)
	s_or_b32 exec_lo, exec_lo, s7
	v_dual_mov_b32 v1, 0 :: v_dual_mov_b32 v2, 0
	s_mov_b32 s7, exec_lo
	v_cmpx_lt_u32_e32 0xffffff, v32
	s_cbranch_execz .LBB6_5667
; %bb.5658:                             ;   in Loop: Header=BB6_4897 Depth=2
	v_lshrrev_b32_e32 v0, 24, v32
	v_bfrev_b32_e32 v2, 1
	s_mov_b32 s24, exec_lo
	s_delay_alu instid0(VALU_DEP_2)
	v_cmpx_ne_u32_e32 0x80, v0
	s_cbranch_execz .LBB6_5666
; %bb.5659:                             ;   in Loop: Header=BB6_4897 Depth=2
	v_and_b32_e32 v2, 0x7c000000, v32
	v_bfe_u32 v3, v32, 24, 2
	s_delay_alu instid0(VALU_DEP_2) | instskip(SKIP_1) | instid1(SALU_CYCLE_1)
	v_cmp_ne_u32_e32 vcc_lo, 0x7c000000, v2
                                        ; implicit-def: $vgpr2
	s_and_saveexec_b32 s25, vcc_lo
	s_xor_b32 s25, exec_lo, s25
	s_cbranch_execz .LBB6_5663
; %bb.5660:                             ;   in Loop: Header=BB6_4897 Depth=2
	v_bfe_u32 v2, v32, 26, 5
	s_mov_b32 s26, exec_lo
	s_delay_alu instid0(VALU_DEP_1)
	v_cmpx_eq_u32_e32 0, v2
; %bb.5661:                             ;   in Loop: Header=BB6_4897 Depth=2
	v_clz_i32_u32_e32 v2, v3
	s_delay_alu instid0(VALU_DEP_1) | instskip(NEXT) | instid1(VALU_DEP_1)
	v_min_u32_e32 v2, 32, v2
	v_subrev_nc_u32_e32 v3, 29, v2
	v_sub_nc_u32_e32 v2, 30, v2
	s_delay_alu instid0(VALU_DEP_2) | instskip(NEXT) | instid1(VALU_DEP_1)
	v_lshlrev_b64_e32 v[66:67], v3, v[0:1]
	v_and_b32_e32 v3, 3, v66
; %bb.5662:                             ;   in Loop: Header=BB6_4897 Depth=2
	s_or_b32 exec_lo, exec_lo, s26
	v_and_b32_e32 v0, 0x80000000, v32
	s_delay_alu instid0(VALU_DEP_1) | instskip(NEXT) | instid1(VALU_DEP_1)
	v_lshl_add_u32 v0, v2, 23, v0
	v_lshl_or_b32 v0, v3, 21, v0
                                        ; implicit-def: $vgpr3
	s_delay_alu instid0(VALU_DEP_1)
	v_add_nc_u32_e32 v2, 0x38000000, v0
.LBB6_5663:                             ;   in Loop: Header=BB6_4897 Depth=2
	s_and_not1_saveexec_b32 s25, s25
; %bb.5664:                             ;   in Loop: Header=BB6_4897 Depth=2
	v_cmp_lt_i32_e32 vcc_lo, -1, v32
	v_cndmask_b32_e32 v0, 0xff800000, v105, vcc_lo
	v_cmp_eq_u32_e32 vcc_lo, 0, v3
	s_delay_alu instid0(VALU_DEP_2)
	v_cndmask_b32_e32 v2, 0x7f800001, v0, vcc_lo
; %bb.5665:                             ;   in Loop: Header=BB6_4897 Depth=2
	s_or_b32 exec_lo, exec_lo, s25
.LBB6_5666:                             ;   in Loop: Header=BB6_4897 Depth=2
	s_delay_alu instid0(SALU_CYCLE_1)
	s_or_b32 exec_lo, exec_lo, s24
.LBB6_5667:                             ;   in Loop: Header=BB6_4897 Depth=2
	s_delay_alu instid0(SALU_CYCLE_1) | instskip(NEXT) | instid1(SALU_CYCLE_1)
	s_or_b32 exec_lo, exec_lo, s7
	s_mov_b32 s7, exec_lo
	v_cmpx_lt_u32_e32 0xffffff, v26
	s_cbranch_execz .LBB6_5677
; %bb.5668:                             ;   in Loop: Header=BB6_4897 Depth=2
	v_lshrrev_b32_e32 v0, 24, v26
	v_bfrev_b32_e32 v1, 1
	s_mov_b32 s24, exec_lo
	s_delay_alu instid0(VALU_DEP_2)
	v_cmpx_ne_u32_e32 0x80, v0
	s_cbranch_execz .LBB6_5676
; %bb.5669:                             ;   in Loop: Header=BB6_4897 Depth=2
	v_and_b32_e32 v1, 0x7c000000, v26
	v_bfe_u32 v3, v26, 24, 2
	s_delay_alu instid0(VALU_DEP_2) | instskip(SKIP_1) | instid1(SALU_CYCLE_1)
	v_cmp_ne_u32_e32 vcc_lo, 0x7c000000, v1
                                        ; implicit-def: $vgpr1
	s_and_saveexec_b32 s25, vcc_lo
	s_xor_b32 s25, exec_lo, s25
	s_cbranch_execz .LBB6_5673
; %bb.5670:                             ;   in Loop: Header=BB6_4897 Depth=2
	v_bfe_u32 v1, v26, 26, 5
	s_mov_b32 s26, exec_lo
	s_delay_alu instid0(VALU_DEP_1)
	v_cmpx_eq_u32_e32 0, v1
; %bb.5671:                             ;   in Loop: Header=BB6_4897 Depth=2
	v_clz_i32_u32_e32 v1, v3
	s_delay_alu instid0(VALU_DEP_1) | instskip(NEXT) | instid1(VALU_DEP_1)
	v_min_u32_e32 v3, 32, v1
	v_subrev_nc_u32_e32 v1, 29, v3
	s_delay_alu instid0(VALU_DEP_1) | instskip(NEXT) | instid1(VALU_DEP_1)
	v_lshlrev_b64_e32 v[0:1], v1, v[0:1]
	v_dual_sub_nc_u32 v1, 30, v3 :: v_dual_bitop2_b32 v3, 3, v0 bitop3:0x40
; %bb.5672:                             ;   in Loop: Header=BB6_4897 Depth=2
	s_or_b32 exec_lo, exec_lo, s26
	v_and_b32_e32 v0, 0x80000000, v26
	s_delay_alu instid0(VALU_DEP_1) | instskip(NEXT) | instid1(VALU_DEP_1)
	v_lshl_add_u32 v0, v1, 23, v0
	v_lshl_or_b32 v0, v3, 21, v0
                                        ; implicit-def: $vgpr3
	s_delay_alu instid0(VALU_DEP_1)
	v_add_nc_u32_e32 v1, 0x38000000, v0
.LBB6_5673:                             ;   in Loop: Header=BB6_4897 Depth=2
	s_and_not1_saveexec_b32 s25, s25
; %bb.5674:                             ;   in Loop: Header=BB6_4897 Depth=2
	v_cmp_lt_i32_e32 vcc_lo, -1, v26
	v_cndmask_b32_e32 v0, 0xff800000, v105, vcc_lo
	v_cmp_eq_u32_e32 vcc_lo, 0, v3
	s_delay_alu instid0(VALU_DEP_2)
	v_cndmask_b32_e32 v1, 0x7f800001, v0, vcc_lo
; %bb.5675:                             ;   in Loop: Header=BB6_4897 Depth=2
	s_or_b32 exec_lo, exec_lo, s25
.LBB6_5676:                             ;   in Loop: Header=BB6_4897 Depth=2
	s_delay_alu instid0(SALU_CYCLE_1)
	s_or_b32 exec_lo, exec_lo, s24
.LBB6_5677:                             ;   in Loop: Header=BB6_4897 Depth=2
	s_delay_alu instid0(SALU_CYCLE_1) | instskip(NEXT) | instid1(VALU_DEP_1)
	s_or_b32 exec_lo, exec_lo, s7
	v_dual_mul_f32 v0, v2, v1 :: v_dual_mov_b32 v3, v5
                                        ; implicit-def: $vgpr66
	s_mov_b32 s7, exec_lo
	s_delay_alu instid0(VALU_DEP_1) | instskip(SKIP_2) | instid1(VALU_DEP_3)
	v_and_b32_e32 v2, 0x7f800000, v0
	v_and_b32_e32 v4, 0x7fffff, v0
	v_lshrrev_b32_e32 v1, 24, v0
	v_cmpx_ne_u64_e32 0x7f800000, v[2:3]
	s_xor_b32 s24, exec_lo, s7
	s_cbranch_execz .LBB6_5691
; %bb.5678:                             ;   in Loop: Header=BB6_4897 Depth=2
	v_and_b32_e32 v2, 0x7fffffff, v0
	v_mov_b32_e32 v3, v5
	v_and_b32_e32 v67, 0x80, v1
                                        ; implicit-def: $vgpr66
	s_mov_b32 s7, exec_lo
	s_delay_alu instid0(VALU_DEP_2)
	v_cmpx_gt_u64_e32 0x47600001, v[2:3]
	s_xor_b32 s25, exec_lo, s7
	s_cbranch_execz .LBB6_5688
; %bb.5679:                             ;   in Loop: Header=BB6_4897 Depth=2
	v_mov_b32_e32 v66, 0
	s_mov_b32 s26, exec_lo
	v_cmpx_ne_u32_e32 0, v0
	s_cbranch_execz .LBB6_5687
; %bb.5680:                             ;   in Loop: Header=BB6_4897 Depth=2
	v_bfe_u32 v66, v0, 23, 8
	v_or_b32_e32 v2, 0x800000, v4
	s_mov_b32 s27, exec_lo
	s_delay_alu instid0(VALU_DEP_2) | instskip(SKIP_1) | instid1(VALU_DEP_2)
	v_dual_mov_b32 v3, v5 :: v_dual_sub_nc_u32 v0, 0x71, v66
	v_cmp_gt_u32_e32 vcc_lo, 0x72, v66
	v_cndmask_b32_e32 v0, 0, v0, vcc_lo
	v_cmp_eq_u32_e32 vcc_lo, 0, v66
	s_delay_alu instid0(VALU_DEP_2) | instskip(SKIP_1) | instid1(VALU_DEP_2)
	v_cndmask_b32_e64 v68, v0, 0x70, vcc_lo
	v_cndmask_b32_e32 v2, v2, v4, vcc_lo
	v_dual_add_nc_u32 v0, 21, v68 :: v_dual_add_nc_u32 v69, 20, v68
	s_delay_alu instid0(VALU_DEP_1) | instskip(NEXT) | instid1(VALU_DEP_2)
	v_lshlrev_b64_e64 v[0:1], v0, -1
	v_lshlrev_b64_e64 v[70:71], v69, 1
	s_delay_alu instid0(VALU_DEP_2) | instskip(NEXT) | instid1(VALU_DEP_3)
	v_bfi_b32 v81, v1, 0, 0
	v_bfi_b32 v80, v0, 0, v2
	v_lshrrev_b64 v[0:1], v68, v[2:3]
	s_delay_alu instid0(VALU_DEP_1) | instskip(NEXT) | instid1(VALU_DEP_3)
	v_mov_b64_e32 v[2:3], v[0:1]
	v_cmpx_eq_u64_e64 v[80:81], v[70:71]
; %bb.5681:                             ;   in Loop: Header=BB6_4897 Depth=2
	v_bfe_u32 v2, v0, 21, 1
	v_mov_b32_e32 v3, v5
	s_delay_alu instid0(VALU_DEP_1) | instskip(NEXT) | instid1(VALU_DEP_1)
	v_add_nc_u64_e32 v[2:3], v[0:1], v[2:3]
	v_add_nc_u64_e32 v[2:3], -1, v[2:3]
; %bb.5682:                             ;   in Loop: Header=BB6_4897 Depth=2
	s_or_b32 exec_lo, exec_lo, s27
	v_add_nc_u32_e32 v1, 0xffffff81, v66
	v_lshrrev_b32_e32 v3, 23, v0
	s_mov_b32 s7, exec_lo
	s_delay_alu instid0(VALU_DEP_2) | instskip(NEXT) | instid1(VALU_DEP_1)
	v_cndmask_b32_e64 v1, v1, 0xffffff82, vcc_lo
	v_add3_u32 v3, v68, v1, v3
	v_and_b32_e32 v1, 0x1fffff, v2
                                        ; implicit-def: $vgpr2
	s_delay_alu instid0(VALU_DEP_1) | instskip(NEXT) | instid1(VALU_DEP_1)
	v_dual_add_nc_u32 v66, 14, v3 :: v_dual_add_nc_u32 v4, v1, v0
                                        ; implicit-def: $vgpr0_vgpr1
	v_cmpx_ne_u32_e32 0, v66
	s_xor_b32 s7, exec_lo, s7
; %bb.5683:                             ;   in Loop: Header=BB6_4897 Depth=2
	s_delay_alu instid0(VALU_DEP_2) | instskip(SKIP_1) | instid1(VALU_DEP_1)
	v_cmp_lt_u64_e32 vcc_lo, 0xffffff, v[4:5]
	v_add_nc_u32_e32 v0, 15, v3
	v_cndmask_b32_e32 v2, v66, v0, vcc_lo
	v_cndmask_b32_e64 v0, 0, 1, vcc_lo
	s_delay_alu instid0(VALU_DEP_1)
	v_lshrrev_b64 v[0:1], v0, v[4:5]
; %bb.5684:                             ;   in Loop: Header=BB6_4897 Depth=2
	s_and_not1_saveexec_b32 s7, s7
; %bb.5685:                             ;   in Loop: Header=BB6_4897 Depth=2
	v_mov_b64_e32 v[0:1], v[4:5]
	v_bfe_u32 v2, v4, 23, 1
; %bb.5686:                             ;   in Loop: Header=BB6_4897 Depth=2
	s_or_b32 exec_lo, exec_lo, s7
	s_delay_alu instid0(VALU_DEP_2) | instskip(NEXT) | instid1(VALU_DEP_2)
	v_lshrrev_b64 v[0:1], 21, v[0:1]
	v_cmp_gt_i32_e32 vcc_lo, 32, v2
	v_min_i32_e32 v3, 31, v2
	v_cmp_eq_u32_e64 s7, 0, v2
	s_delay_alu instid0(VALU_DEP_2) | instskip(SKIP_1) | instid1(VALU_DEP_2)
	v_dual_cndmask_b32 v1, 0, v1, vcc_lo :: v_dual_lshlrev_b32 v3, 2, v3
	v_cndmask_b32_e32 v0, 3, v0, vcc_lo
	v_and_b32_e32 v3, 0xfc, v3
	s_delay_alu instid0(VALU_DEP_2) | instskip(NEXT) | instid1(VALU_DEP_2)
	v_cmp_eq_u64_e32 vcc_lo, 0, v[0:1]
	v_and_or_b32 v0, v0, 3, v3
	s_and_b32 s7, s7, vcc_lo
	s_delay_alu instid0(VALU_DEP_1) | instid1(SALU_CYCLE_1)
	v_cndmask_b32_e64 v0, v0, 0, s7
	s_delay_alu instid0(VALU_DEP_1)
	v_or_b32_e32 v66, v0, v67
.LBB6_5687:                             ;   in Loop: Header=BB6_4897 Depth=2
	s_or_b32 exec_lo, exec_lo, s26
                                        ; implicit-def: $vgpr67
.LBB6_5688:                             ;   in Loop: Header=BB6_4897 Depth=2
	s_and_not1_saveexec_b32 s7, s25
; %bb.5689:                             ;   in Loop: Header=BB6_4897 Depth=2
	v_or_b32_e32 v66, 0x7b, v67
; %bb.5690:                             ;   in Loop: Header=BB6_4897 Depth=2
	s_or_b32 exec_lo, exec_lo, s7
                                        ; implicit-def: $vgpr0
                                        ; implicit-def: $vgpr1
.LBB6_5691:                             ;   in Loop: Header=BB6_4897 Depth=2
	s_and_not1_saveexec_b32 s7, s24
	s_cbranch_execz .LBB6_5697
; %bb.5692:                             ;   in Loop: Header=BB6_4897 Depth=2
	s_mov_b32 s24, exec_lo
                                        ; implicit-def: $vgpr66
	v_cmpx_ne_u64_e32 0, v[4:5]
	s_xor_b32 s24, exec_lo, s24
; %bb.5693:                             ;   in Loop: Header=BB6_4897 Depth=2
	v_or_b32_e32 v66, 0x7f, v1
                                        ; implicit-def: $vgpr0
; %bb.5694:                             ;   in Loop: Header=BB6_4897 Depth=2
	s_and_not1_saveexec_b32 s24, s24
; %bb.5695:                             ;   in Loop: Header=BB6_4897 Depth=2
	v_cmp_lt_i32_e32 vcc_lo, -1, v0
	v_cndmask_b32_e32 v66, 0xfc, v104, vcc_lo
; %bb.5696:                             ;   in Loop: Header=BB6_4897 Depth=2
	s_or_b32 exec_lo, exec_lo, s24
.LBB6_5697:                             ;   in Loop: Header=BB6_4897 Depth=2
	s_delay_alu instid0(SALU_CYCLE_1) | instskip(SKIP_4) | instid1(VALU_DEP_3)
	s_or_b32 exec_lo, exec_lo, s7
	v_and_b32_e32 v2, 0xff, v33
	v_dual_mov_b32 v4, v33 :: v_dual_mov_b32 v1, 0
	v_mov_b32_e32 v0, 0
	s_mov_b32 s7, exec_lo
	v_cmpx_ne_u16_e32 0, v2
	s_cbranch_execz .LBB6_5707
; %bb.5698:                             ;   in Loop: Header=BB6_4897 Depth=2
	v_bfrev_b32_e32 v0, 1
	s_mov_b32 s24, exec_lo
	v_cmpx_ne_u16_e32 0x80, v2
	s_cbranch_execz .LBB6_5706
; %bb.5699:                             ;   in Loop: Header=BB6_4897 Depth=2
	v_and_b32_e32 v0, 0x7c, v33
	v_and_b32_e32 v2, 3, v33
	s_delay_alu instid0(VALU_DEP_2) | instskip(SKIP_1) | instid1(SALU_CYCLE_1)
	v_cmp_ne_u32_e32 vcc_lo, 0x7c, v0
                                        ; implicit-def: $vgpr0
	s_and_saveexec_b32 s25, vcc_lo
	s_xor_b32 s25, exec_lo, s25
	s_cbranch_execz .LBB6_5703
; %bb.5700:                             ;   in Loop: Header=BB6_4897 Depth=2
	v_bfe_u32 v0, v33, 2, 5
	s_mov_b32 s26, exec_lo
	s_delay_alu instid0(VALU_DEP_1)
	v_cmpx_eq_u32_e32 0, v0
; %bb.5701:                             ;   in Loop: Header=BB6_4897 Depth=2
	v_clz_i32_u32_e32 v0, v2
	s_delay_alu instid0(VALU_DEP_1) | instskip(NEXT) | instid1(VALU_DEP_1)
	v_min_u32_e32 v0, 32, v0
	v_subrev_nc_u32_e32 v2, 29, v0
	s_delay_alu instid0(VALU_DEP_1) | instskip(NEXT) | instid1(VALU_DEP_1)
	v_lshlrev_b64_e32 v[2:3], v2, v[4:5]
	v_dual_sub_nc_u32 v0, 30, v0 :: v_dual_bitop2_b32 v2, 3, v2 bitop3:0x40
; %bb.5702:                             ;   in Loop: Header=BB6_4897 Depth=2
	s_or_b32 exec_lo, exec_lo, s26
	v_lshlrev_b32_e32 v3, 24, v33
	s_delay_alu instid0(VALU_DEP_1) | instskip(NEXT) | instid1(VALU_DEP_1)
	v_and_b32_e32 v3, 0x80000000, v3
	v_lshl_add_u32 v0, v0, 23, v3
	s_delay_alu instid0(VALU_DEP_1) | instskip(NEXT) | instid1(VALU_DEP_1)
	v_lshl_or_b32 v0, v2, 21, v0
                                        ; implicit-def: $vgpr2
	v_add_nc_u32_e32 v0, 0x38000000, v0
.LBB6_5703:                             ;   in Loop: Header=BB6_4897 Depth=2
	s_and_not1_saveexec_b32 s25, s25
; %bb.5704:                             ;   in Loop: Header=BB6_4897 Depth=2
	v_bfe_i32 v0, v33, 0, 8
	s_delay_alu instid0(VALU_DEP_1) | instskip(SKIP_2) | instid1(VALU_DEP_2)
	v_cmp_lt_i16_e32 vcc_lo, -1, v0
	v_cndmask_b32_e32 v0, 0xff800000, v105, vcc_lo
	v_cmp_eq_u32_e32 vcc_lo, 0, v2
	v_cndmask_b32_e32 v0, 0x7f800001, v0, vcc_lo
; %bb.5705:                             ;   in Loop: Header=BB6_4897 Depth=2
	s_or_b32 exec_lo, exec_lo, s25
.LBB6_5706:                             ;   in Loop: Header=BB6_4897 Depth=2
	s_delay_alu instid0(SALU_CYCLE_1)
	s_or_b32 exec_lo, exec_lo, s24
.LBB6_5707:                             ;   in Loop: Header=BB6_4897 Depth=2
	s_delay_alu instid0(SALU_CYCLE_1) | instskip(SKIP_2) | instid1(VALU_DEP_1)
	s_or_b32 exec_lo, exec_lo, s7
	v_and_b32_e32 v2, 0xff, v27
	s_mov_b32 s7, exec_lo
	v_cmpx_ne_u16_e32 0, v2
	s_cbranch_execz .LBB6_5717
; %bb.5708:                             ;   in Loop: Header=BB6_4897 Depth=2
	v_bfrev_b32_e32 v1, 1
	s_mov_b32 s24, exec_lo
	v_cmpx_ne_u16_e32 0x80, v2
	s_cbranch_execz .LBB6_5716
; %bb.5709:                             ;   in Loop: Header=BB6_4897 Depth=2
	v_and_b32_e32 v1, 0x7c, v27
	v_and_b32_e32 v2, 3, v27
	s_delay_alu instid0(VALU_DEP_2) | instskip(SKIP_1) | instid1(SALU_CYCLE_1)
	v_cmp_ne_u32_e32 vcc_lo, 0x7c, v1
                                        ; implicit-def: $vgpr1
	s_and_saveexec_b32 s25, vcc_lo
	s_xor_b32 s25, exec_lo, s25
	s_cbranch_execz .LBB6_5713
; %bb.5710:                             ;   in Loop: Header=BB6_4897 Depth=2
	v_bfe_u32 v1, v27, 2, 5
	s_mov_b32 s26, exec_lo
	s_delay_alu instid0(VALU_DEP_1)
	v_cmpx_eq_u32_e32 0, v1
; %bb.5711:                             ;   in Loop: Header=BB6_4897 Depth=2
	v_clz_i32_u32_e32 v1, v2
	v_dual_mov_b32 v2, v27 :: v_dual_mov_b32 v3, v5
	s_delay_alu instid0(VALU_DEP_2) | instskip(NEXT) | instid1(VALU_DEP_1)
	v_min_u32_e32 v1, 32, v1
	v_subrev_nc_u32_e32 v67, 29, v1
	s_delay_alu instid0(VALU_DEP_1) | instskip(NEXT) | instid1(VALU_DEP_1)
	v_lshlrev_b64_e32 v[2:3], v67, v[2:3]
	v_dual_sub_nc_u32 v1, 30, v1 :: v_dual_bitop2_b32 v2, 3, v2 bitop3:0x40
; %bb.5712:                             ;   in Loop: Header=BB6_4897 Depth=2
	s_or_b32 exec_lo, exec_lo, s26
	v_lshlrev_b32_e32 v3, 24, v27
	s_delay_alu instid0(VALU_DEP_1) | instskip(NEXT) | instid1(VALU_DEP_1)
	v_and_b32_e32 v3, 0x80000000, v3
	v_lshl_add_u32 v1, v1, 23, v3
	s_delay_alu instid0(VALU_DEP_1) | instskip(NEXT) | instid1(VALU_DEP_1)
	v_lshl_or_b32 v1, v2, 21, v1
                                        ; implicit-def: $vgpr2
	v_add_nc_u32_e32 v1, 0x38000000, v1
.LBB6_5713:                             ;   in Loop: Header=BB6_4897 Depth=2
	s_and_not1_saveexec_b32 s25, s25
; %bb.5714:                             ;   in Loop: Header=BB6_4897 Depth=2
	v_bfe_i32 v1, v27, 0, 8
	s_delay_alu instid0(VALU_DEP_1) | instskip(SKIP_2) | instid1(VALU_DEP_2)
	v_cmp_lt_i16_e32 vcc_lo, -1, v1
	v_cndmask_b32_e32 v1, 0xff800000, v105, vcc_lo
	v_cmp_eq_u32_e32 vcc_lo, 0, v2
	v_cndmask_b32_e32 v1, 0x7f800001, v1, vcc_lo
; %bb.5715:                             ;   in Loop: Header=BB6_4897 Depth=2
	s_or_b32 exec_lo, exec_lo, s25
.LBB6_5716:                             ;   in Loop: Header=BB6_4897 Depth=2
	s_delay_alu instid0(SALU_CYCLE_1)
	s_or_b32 exec_lo, exec_lo, s24
.LBB6_5717:                             ;   in Loop: Header=BB6_4897 Depth=2
	s_delay_alu instid0(SALU_CYCLE_1) | instskip(NEXT) | instid1(VALU_DEP_1)
	s_or_b32 exec_lo, exec_lo, s7
	v_dual_mul_f32 v2, v0, v1 :: v_dual_mov_b32 v69, v5
	v_mov_b32_e32 v1, v5
                                        ; implicit-def: $vgpr67
	s_mov_b32 s7, exec_lo
	s_delay_alu instid0(VALU_DEP_2) | instskip(SKIP_2) | instid1(VALU_DEP_3)
	v_and_b32_e32 v68, 0x7f800000, v2
	v_and_b32_e32 v0, 0x7fffff, v2
	v_lshrrev_b32_e32 v3, 24, v2
	v_cmpx_ne_u64_e32 0x7f800000, v[68:69]
	s_xor_b32 s24, exec_lo, s7
	s_cbranch_execz .LBB6_5731
; %bb.5718:                             ;   in Loop: Header=BB6_4897 Depth=2
	v_and_b32_e32 v68, 0x7fffffff, v2
	v_mov_b32_e32 v69, v5
                                        ; implicit-def: $vgpr67
	s_delay_alu instid0(VALU_DEP_1) | instskip(SKIP_2) | instid1(SALU_CYCLE_1)
	v_cmp_gt_u64_e32 vcc_lo, 0x47600001, v[68:69]
	v_and_b32_e32 v68, 0x80, v3
	s_and_saveexec_b32 s7, vcc_lo
	s_xor_b32 s25, exec_lo, s7
	s_cbranch_execz .LBB6_5728
; %bb.5719:                             ;   in Loop: Header=BB6_4897 Depth=2
	v_mov_b32_e32 v67, 0
	s_mov_b32 s26, exec_lo
	v_cmpx_ne_u32_e32 0, v2
	s_cbranch_execz .LBB6_5727
; %bb.5720:                             ;   in Loop: Header=BB6_4897 Depth=2
	v_bfe_u32 v67, v2, 23, 8
	v_or_b32_e32 v70, 0x800000, v0
	s_delay_alu instid0(VALU_DEP_2) | instskip(SKIP_1) | instid1(VALU_DEP_2)
	v_sub_nc_u32_e32 v2, 0x71, v67
	v_cmp_gt_u32_e32 vcc_lo, 0x72, v67
	v_cndmask_b32_e32 v2, 0, v2, vcc_lo
	v_cmp_eq_u32_e32 vcc_lo, 0, v67
	s_delay_alu instid0(VALU_DEP_2) | instskip(NEXT) | instid1(VALU_DEP_1)
	v_cndmask_b32_e64 v69, v2, 0x70, vcc_lo
	v_dual_cndmask_b32 v0, v70, v0, vcc_lo :: v_dual_add_nc_u32 v2, 21, v69
	v_add_nc_u32_e32 v71, 20, v69
	s_delay_alu instid0(VALU_DEP_2) | instskip(NEXT) | instid1(VALU_DEP_2)
	v_lshlrev_b64_e64 v[2:3], v2, -1
	v_lshlrev_b64_e64 v[70:71], v71, 1
	s_delay_alu instid0(VALU_DEP_2) | instskip(SKIP_1) | instid1(VALU_DEP_4)
	v_bfi_b32 v2, v2, 0, v0
	v_lshrrev_b64 v[0:1], v69, v[0:1]
	v_bfi_b32 v3, v3, 0, 0
	s_delay_alu instid0(VALU_DEP_1) | instskip(NEXT) | instid1(VALU_DEP_3)
	v_cmp_eq_u64_e64 s7, v[2:3], v[70:71]
	v_mov_b64_e32 v[2:3], v[0:1]
	s_and_saveexec_b32 s27, s7
; %bb.5721:                             ;   in Loop: Header=BB6_4897 Depth=2
	v_bfe_u32 v2, v0, 21, 1
	v_mov_b32_e32 v3, v5
	s_delay_alu instid0(VALU_DEP_1) | instskip(NEXT) | instid1(VALU_DEP_1)
	v_add_nc_u64_e32 v[2:3], v[0:1], v[2:3]
	v_add_nc_u64_e32 v[2:3], -1, v[2:3]
; %bb.5722:                             ;   in Loop: Header=BB6_4897 Depth=2
	s_or_b32 exec_lo, exec_lo, s27
	v_add_nc_u32_e32 v1, 0xffffff81, v67
	v_lshrrev_b32_e32 v3, 23, v0
	s_mov_b32 s7, exec_lo
	s_delay_alu instid0(VALU_DEP_2) | instskip(NEXT) | instid1(VALU_DEP_1)
	v_cndmask_b32_e64 v1, v1, 0xffffff82, vcc_lo
	v_add3_u32 v3, v69, v1, v3
	v_and_b32_e32 v1, 0x1fffff, v2
                                        ; implicit-def: $vgpr2
	s_delay_alu instid0(VALU_DEP_1) | instskip(SKIP_1) | instid1(VALU_DEP_2)
	v_dual_add_nc_u32 v67, 14, v3 :: v_dual_add_nc_u32 v0, v1, v0
	v_mov_b32_e32 v1, v5
	v_cmpx_ne_u32_e32 0, v67
	s_xor_b32 s7, exec_lo, s7
; %bb.5723:                             ;   in Loop: Header=BB6_4897 Depth=2
	s_delay_alu instid0(VALU_DEP_2) | instskip(SKIP_2) | instid1(VALU_DEP_2)
	v_cmp_lt_u64_e32 vcc_lo, 0xffffff, v[0:1]
	v_add_nc_u32_e32 v2, 15, v3
	v_cndmask_b32_e64 v3, 0, 1, vcc_lo
	v_cndmask_b32_e32 v2, v67, v2, vcc_lo
	s_delay_alu instid0(VALU_DEP_2)
	v_lshrrev_b64 v[0:1], v3, v[0:1]
; %bb.5724:                             ;   in Loop: Header=BB6_4897 Depth=2
	s_and_not1_saveexec_b32 s7, s7
; %bb.5725:                             ;   in Loop: Header=BB6_4897 Depth=2
	s_delay_alu instid0(VALU_DEP_1)
	v_bfe_u32 v2, v0, 23, 1
; %bb.5726:                             ;   in Loop: Header=BB6_4897 Depth=2
	s_or_b32 exec_lo, exec_lo, s7
	s_delay_alu instid0(VALU_DEP_2) | instskip(NEXT) | instid1(VALU_DEP_2)
	v_lshrrev_b64 v[0:1], 21, v[0:1]
	v_cmp_gt_i32_e32 vcc_lo, 32, v2
	v_min_i32_e32 v3, 31, v2
	v_cmp_eq_u32_e64 s7, 0, v2
	s_delay_alu instid0(VALU_DEP_2) | instskip(SKIP_1) | instid1(VALU_DEP_2)
	v_dual_cndmask_b32 v1, 0, v1, vcc_lo :: v_dual_lshlrev_b32 v3, 2, v3
	v_cndmask_b32_e32 v0, 3, v0, vcc_lo
	v_and_b32_e32 v3, 0xfc, v3
	s_delay_alu instid0(VALU_DEP_2) | instskip(NEXT) | instid1(VALU_DEP_2)
	v_cmp_eq_u64_e32 vcc_lo, 0, v[0:1]
	v_and_or_b32 v0, v0, 3, v3
	s_and_b32 s7, s7, vcc_lo
	s_delay_alu instid0(VALU_DEP_1) | instid1(SALU_CYCLE_1)
	v_cndmask_b32_e64 v0, v0, 0, s7
	s_delay_alu instid0(VALU_DEP_1)
	v_or_b32_e32 v67, v0, v68
.LBB6_5727:                             ;   in Loop: Header=BB6_4897 Depth=2
	s_or_b32 exec_lo, exec_lo, s26
                                        ; implicit-def: $vgpr68
.LBB6_5728:                             ;   in Loop: Header=BB6_4897 Depth=2
	s_and_not1_saveexec_b32 s7, s25
; %bb.5729:                             ;   in Loop: Header=BB6_4897 Depth=2
	v_or_b32_e32 v67, 0x7b, v68
; %bb.5730:                             ;   in Loop: Header=BB6_4897 Depth=2
	s_or_b32 exec_lo, exec_lo, s7
                                        ; implicit-def: $vgpr2
                                        ; implicit-def: $vgpr0_vgpr1
                                        ; implicit-def: $vgpr3
.LBB6_5731:                             ;   in Loop: Header=BB6_4897 Depth=2
	s_and_not1_saveexec_b32 s7, s24
	s_cbranch_execz .LBB6_5737
; %bb.5732:                             ;   in Loop: Header=BB6_4897 Depth=2
	s_mov_b32 s24, exec_lo
                                        ; implicit-def: $vgpr67
	v_cmpx_ne_u64_e32 0, v[0:1]
	s_xor_b32 s24, exec_lo, s24
; %bb.5733:                             ;   in Loop: Header=BB6_4897 Depth=2
	v_or_b32_e32 v67, 0x7f, v3
                                        ; implicit-def: $vgpr2
; %bb.5734:                             ;   in Loop: Header=BB6_4897 Depth=2
	s_and_not1_saveexec_b32 s24, s24
; %bb.5735:                             ;   in Loop: Header=BB6_4897 Depth=2
	v_cmp_lt_i32_e32 vcc_lo, -1, v2
	v_cndmask_b32_e32 v67, 0xfc, v104, vcc_lo
; %bb.5736:                             ;   in Loop: Header=BB6_4897 Depth=2
	s_or_b32 exec_lo, exec_lo, s24
.LBB6_5737:                             ;   in Loop: Header=BB6_4897 Depth=2
	s_delay_alu instid0(SALU_CYCLE_1) | instskip(SKIP_3) | instid1(VALU_DEP_2)
	s_or_b32 exec_lo, exec_lo, s7
	v_lshrrev_b16 v0, 8, v4
	v_dual_mov_b32 v2, 0 :: v_dual_mov_b32 v3, 0
	s_mov_b32 s7, exec_lo
	v_cmpx_ne_u16_e32 0, v0
	s_cbranch_execz .LBB6_5747
; %bb.5738:                             ;   in Loop: Header=BB6_4897 Depth=2
	v_bfrev_b32_e32 v3, 1
	s_mov_b32 s24, exec_lo
	v_cmpx_ne_u16_e32 0x80, v0
	s_cbranch_execz .LBB6_5746
; %bb.5739:                             ;   in Loop: Header=BB6_4897 Depth=2
	v_and_b32_e32 v68, 0xffff, v0
	s_delay_alu instid0(VALU_DEP_1) | instskip(SKIP_1) | instid1(VALU_DEP_2)
	v_and_b32_e32 v3, 0x7c, v68
	v_and_b32_e32 v1, 3, v68
	v_cmp_ne_u32_e32 vcc_lo, 0x7c, v3
                                        ; implicit-def: $vgpr3
	s_and_saveexec_b32 s25, vcc_lo
	s_delay_alu instid0(SALU_CYCLE_1)
	s_xor_b32 s25, exec_lo, s25
	s_cbranch_execz .LBB6_5743
; %bb.5740:                             ;   in Loop: Header=BB6_4897 Depth=2
	v_bfe_u32 v3, v68, 2, 5
	s_mov_b32 s26, exec_lo
	s_delay_alu instid0(VALU_DEP_1)
	v_cmpx_eq_u32_e32 0, v3
	s_cbranch_execz .LBB6_5742
; %bb.5741:                             ;   in Loop: Header=BB6_4897 Depth=2
	v_clz_i32_u32_e32 v1, v1
	s_delay_alu instid0(VALU_DEP_1) | instskip(SKIP_1) | instid1(VALU_DEP_2)
	v_min_u32_e32 v3, 32, v1
	v_mov_b32_e32 v1, v5
	v_subrev_nc_u32_e32 v68, 29, v3
	v_sub_nc_u32_e32 v3, 30, v3
	s_delay_alu instid0(VALU_DEP_2) | instskip(NEXT) | instid1(VALU_DEP_1)
	v_lshlrev_b64_e32 v[0:1], v68, v[0:1]
	v_and_b32_e32 v1, 3, v0
.LBB6_5742:                             ;   in Loop: Header=BB6_4897 Depth=2
	s_or_b32 exec_lo, exec_lo, s26
	v_lshlrev_b32_e32 v0, 16, v4
	s_delay_alu instid0(VALU_DEP_1) | instskip(NEXT) | instid1(VALU_DEP_1)
	v_and_b32_e32 v0, 0x80000000, v0
	v_lshl_add_u32 v0, v3, 23, v0
	s_delay_alu instid0(VALU_DEP_1) | instskip(NEXT) | instid1(VALU_DEP_1)
	v_lshl_or_b32 v0, v1, 21, v0
                                        ; implicit-def: $vgpr1
	v_add_nc_u32_e32 v3, 0x38000000, v0
.LBB6_5743:                             ;   in Loop: Header=BB6_4897 Depth=2
	s_and_not1_saveexec_b32 s25, s25
; %bb.5744:                             ;   in Loop: Header=BB6_4897 Depth=2
	v_cmp_lt_i16_e32 vcc_lo, -1, v4
	v_cndmask_b32_e32 v0, 0xff800000, v105, vcc_lo
	v_cmp_eq_u32_e32 vcc_lo, 0, v1
	s_delay_alu instid0(VALU_DEP_2)
	v_cndmask_b32_e32 v3, 0x7f800001, v0, vcc_lo
; %bb.5745:                             ;   in Loop: Header=BB6_4897 Depth=2
	s_or_b32 exec_lo, exec_lo, s25
.LBB6_5746:                             ;   in Loop: Header=BB6_4897 Depth=2
	s_delay_alu instid0(SALU_CYCLE_1)
	s_or_b32 exec_lo, exec_lo, s24
.LBB6_5747:                             ;   in Loop: Header=BB6_4897 Depth=2
	s_delay_alu instid0(SALU_CYCLE_1) | instskip(SKIP_2) | instid1(VALU_DEP_1)
	s_or_b32 exec_lo, exec_lo, s7
	v_lshrrev_b16 v0, 8, v27
	s_mov_b32 s7, exec_lo
	v_cmpx_ne_u16_e32 0, v0
	s_cbranch_execz .LBB6_5757
; %bb.5748:                             ;   in Loop: Header=BB6_4897 Depth=2
	v_bfrev_b32_e32 v2, 1
	s_mov_b32 s24, exec_lo
	v_cmpx_ne_u16_e32 0x80, v0
	s_cbranch_execz .LBB6_5756
; %bb.5749:                             ;   in Loop: Header=BB6_4897 Depth=2
	v_and_b32_e32 v4, 0xffff, v0
	s_delay_alu instid0(VALU_DEP_1) | instskip(SKIP_1) | instid1(VALU_DEP_2)
	v_and_b32_e32 v2, 0x7c, v4
	v_and_b32_e32 v1, 3, v4
	v_cmp_ne_u32_e32 vcc_lo, 0x7c, v2
                                        ; implicit-def: $vgpr2
	s_and_saveexec_b32 s25, vcc_lo
	s_delay_alu instid0(SALU_CYCLE_1)
	s_xor_b32 s25, exec_lo, s25
	s_cbranch_execz .LBB6_5753
; %bb.5750:                             ;   in Loop: Header=BB6_4897 Depth=2
	v_bfe_u32 v2, v4, 2, 5
	s_mov_b32 s26, exec_lo
	s_delay_alu instid0(VALU_DEP_1)
	v_cmpx_eq_u32_e32 0, v2
	s_cbranch_execz .LBB6_5752
; %bb.5751:                             ;   in Loop: Header=BB6_4897 Depth=2
	v_clz_i32_u32_e32 v1, v1
	s_delay_alu instid0(VALU_DEP_1) | instskip(SKIP_1) | instid1(VALU_DEP_2)
	v_min_u32_e32 v2, 32, v1
	v_mov_b32_e32 v1, v5
	v_subrev_nc_u32_e32 v4, 29, v2
	v_sub_nc_u32_e32 v2, 30, v2
	s_delay_alu instid0(VALU_DEP_2) | instskip(NEXT) | instid1(VALU_DEP_1)
	v_lshlrev_b64_e32 v[0:1], v4, v[0:1]
	v_and_b32_e32 v1, 3, v0
.LBB6_5752:                             ;   in Loop: Header=BB6_4897 Depth=2
	s_or_b32 exec_lo, exec_lo, s26
	v_lshlrev_b32_e32 v0, 16, v27
	s_delay_alu instid0(VALU_DEP_1) | instskip(NEXT) | instid1(VALU_DEP_1)
	v_and_b32_e32 v0, 0x80000000, v0
	v_lshl_add_u32 v0, v2, 23, v0
	s_delay_alu instid0(VALU_DEP_1) | instskip(NEXT) | instid1(VALU_DEP_1)
	v_lshl_or_b32 v0, v1, 21, v0
                                        ; implicit-def: $vgpr1
	v_add_nc_u32_e32 v2, 0x38000000, v0
.LBB6_5753:                             ;   in Loop: Header=BB6_4897 Depth=2
	s_and_not1_saveexec_b32 s25, s25
; %bb.5754:                             ;   in Loop: Header=BB6_4897 Depth=2
	v_cmp_lt_i16_e32 vcc_lo, -1, v27
	v_cndmask_b32_e32 v0, 0xff800000, v105, vcc_lo
	v_cmp_eq_u32_e32 vcc_lo, 0, v1
	s_delay_alu instid0(VALU_DEP_2)
	v_cndmask_b32_e32 v2, 0x7f800001, v0, vcc_lo
; %bb.5755:                             ;   in Loop: Header=BB6_4897 Depth=2
	s_or_b32 exec_lo, exec_lo, s25
.LBB6_5756:                             ;   in Loop: Header=BB6_4897 Depth=2
	s_delay_alu instid0(SALU_CYCLE_1)
	s_or_b32 exec_lo, exec_lo, s24
.LBB6_5757:                             ;   in Loop: Header=BB6_4897 Depth=2
	s_delay_alu instid0(SALU_CYCLE_1) | instskip(NEXT) | instid1(VALU_DEP_1)
	s_or_b32 exec_lo, exec_lo, s7
	v_dual_mul_f32 v0, v3, v2 :: v_dual_mov_b32 v3, v5
                                        ; implicit-def: $vgpr68
	s_mov_b32 s7, exec_lo
	s_delay_alu instid0(VALU_DEP_1) | instskip(SKIP_2) | instid1(VALU_DEP_3)
	v_and_b32_e32 v2, 0x7f800000, v0
	v_and_b32_e32 v4, 0x7fffff, v0
	v_lshrrev_b32_e32 v1, 24, v0
	v_cmpx_ne_u64_e32 0x7f800000, v[2:3]
	s_xor_b32 s24, exec_lo, s7
	s_cbranch_execz .LBB6_5771
; %bb.5758:                             ;   in Loop: Header=BB6_4897 Depth=2
	v_and_b32_e32 v2, 0x7fffffff, v0
	v_mov_b32_e32 v3, v5
	v_and_b32_e32 v69, 0x80, v1
                                        ; implicit-def: $vgpr68
	s_mov_b32 s7, exec_lo
	s_delay_alu instid0(VALU_DEP_2)
	v_cmpx_gt_u64_e32 0x47600001, v[2:3]
	s_xor_b32 s25, exec_lo, s7
	s_cbranch_execz .LBB6_5768
; %bb.5759:                             ;   in Loop: Header=BB6_4897 Depth=2
	v_mov_b32_e32 v68, 0
	s_mov_b32 s26, exec_lo
	v_cmpx_ne_u32_e32 0, v0
	s_cbranch_execz .LBB6_5767
; %bb.5760:                             ;   in Loop: Header=BB6_4897 Depth=2
	v_bfe_u32 v68, v0, 23, 8
	v_or_b32_e32 v2, 0x800000, v4
	s_mov_b32 s27, exec_lo
	s_delay_alu instid0(VALU_DEP_2) | instskip(SKIP_1) | instid1(VALU_DEP_2)
	v_dual_mov_b32 v3, v5 :: v_dual_sub_nc_u32 v0, 0x71, v68
	v_cmp_gt_u32_e32 vcc_lo, 0x72, v68
	v_cndmask_b32_e32 v0, 0, v0, vcc_lo
	v_cmp_eq_u32_e32 vcc_lo, 0, v68
	s_delay_alu instid0(VALU_DEP_2) | instskip(NEXT) | instid1(VALU_DEP_1)
	v_cndmask_b32_e64 v70, v0, 0x70, vcc_lo
	v_dual_cndmask_b32 v2, v2, v4, vcc_lo :: v_dual_add_nc_u32 v0, 21, v70
	v_add_nc_u32_e32 v71, 20, v70
	s_delay_alu instid0(VALU_DEP_2) | instskip(NEXT) | instid1(VALU_DEP_2)
	v_lshlrev_b64_e64 v[0:1], v0, -1
	v_lshlrev_b64_e64 v[80:81], v71, 1
	s_delay_alu instid0(VALU_DEP_2) | instskip(NEXT) | instid1(VALU_DEP_3)
	v_bfi_b32 v83, v1, 0, 0
	v_bfi_b32 v82, v0, 0, v2
	v_lshrrev_b64 v[0:1], v70, v[2:3]
	s_delay_alu instid0(VALU_DEP_1) | instskip(NEXT) | instid1(VALU_DEP_3)
	v_mov_b64_e32 v[2:3], v[0:1]
	v_cmpx_eq_u64_e64 v[82:83], v[80:81]
; %bb.5761:                             ;   in Loop: Header=BB6_4897 Depth=2
	v_bfe_u32 v2, v0, 21, 1
	v_mov_b32_e32 v3, v5
	s_delay_alu instid0(VALU_DEP_1) | instskip(NEXT) | instid1(VALU_DEP_1)
	v_add_nc_u64_e32 v[2:3], v[0:1], v[2:3]
	v_add_nc_u64_e32 v[2:3], -1, v[2:3]
; %bb.5762:                             ;   in Loop: Header=BB6_4897 Depth=2
	s_or_b32 exec_lo, exec_lo, s27
	v_add_nc_u32_e32 v1, 0xffffff81, v68
	v_lshrrev_b32_e32 v3, 23, v0
	s_mov_b32 s7, exec_lo
	s_delay_alu instid0(VALU_DEP_2) | instskip(NEXT) | instid1(VALU_DEP_1)
	v_cndmask_b32_e64 v1, v1, 0xffffff82, vcc_lo
	v_add3_u32 v3, v70, v1, v3
	v_and_b32_e32 v1, 0x1fffff, v2
                                        ; implicit-def: $vgpr2
	s_delay_alu instid0(VALU_DEP_1) | instskip(NEXT) | instid1(VALU_DEP_1)
	v_dual_add_nc_u32 v68, 14, v3 :: v_dual_add_nc_u32 v4, v1, v0
                                        ; implicit-def: $vgpr0_vgpr1
	v_cmpx_ne_u32_e32 0, v68
	s_xor_b32 s7, exec_lo, s7
; %bb.5763:                             ;   in Loop: Header=BB6_4897 Depth=2
	s_delay_alu instid0(VALU_DEP_2) | instskip(SKIP_1) | instid1(VALU_DEP_1)
	v_cmp_lt_u64_e32 vcc_lo, 0xffffff, v[4:5]
	v_add_nc_u32_e32 v0, 15, v3
	v_cndmask_b32_e32 v2, v68, v0, vcc_lo
	v_cndmask_b32_e64 v0, 0, 1, vcc_lo
	s_delay_alu instid0(VALU_DEP_1)
	v_lshrrev_b64 v[0:1], v0, v[4:5]
; %bb.5764:                             ;   in Loop: Header=BB6_4897 Depth=2
	s_and_not1_saveexec_b32 s7, s7
; %bb.5765:                             ;   in Loop: Header=BB6_4897 Depth=2
	v_mov_b64_e32 v[0:1], v[4:5]
	v_bfe_u32 v2, v4, 23, 1
; %bb.5766:                             ;   in Loop: Header=BB6_4897 Depth=2
	s_or_b32 exec_lo, exec_lo, s7
	s_delay_alu instid0(VALU_DEP_2) | instskip(NEXT) | instid1(VALU_DEP_2)
	v_lshrrev_b64 v[0:1], 21, v[0:1]
	v_cmp_gt_i32_e32 vcc_lo, 32, v2
	v_min_i32_e32 v3, 31, v2
	v_cmp_eq_u32_e64 s7, 0, v2
	s_delay_alu instid0(VALU_DEP_2) | instskip(SKIP_1) | instid1(VALU_DEP_2)
	v_dual_cndmask_b32 v1, 0, v1, vcc_lo :: v_dual_lshlrev_b32 v3, 2, v3
	v_cndmask_b32_e32 v0, 3, v0, vcc_lo
	v_and_b32_e32 v3, 0xfc, v3
	s_delay_alu instid0(VALU_DEP_2) | instskip(NEXT) | instid1(VALU_DEP_2)
	v_cmp_eq_u64_e32 vcc_lo, 0, v[0:1]
	v_and_or_b32 v0, v0, 3, v3
	s_and_b32 s7, s7, vcc_lo
	s_delay_alu instid0(VALU_DEP_1) | instid1(SALU_CYCLE_1)
	v_cndmask_b32_e64 v0, v0, 0, s7
	s_delay_alu instid0(VALU_DEP_1)
	v_or_b32_e32 v68, v0, v69
.LBB6_5767:                             ;   in Loop: Header=BB6_4897 Depth=2
	s_or_b32 exec_lo, exec_lo, s26
                                        ; implicit-def: $vgpr69
.LBB6_5768:                             ;   in Loop: Header=BB6_4897 Depth=2
	s_and_not1_saveexec_b32 s7, s25
; %bb.5769:                             ;   in Loop: Header=BB6_4897 Depth=2
	v_or_b32_e32 v68, 0x7b, v69
; %bb.5770:                             ;   in Loop: Header=BB6_4897 Depth=2
	s_or_b32 exec_lo, exec_lo, s7
                                        ; implicit-def: $vgpr0
                                        ; implicit-def: $vgpr1
.LBB6_5771:                             ;   in Loop: Header=BB6_4897 Depth=2
	s_and_not1_saveexec_b32 s7, s24
	s_cbranch_execz .LBB6_5777
; %bb.5772:                             ;   in Loop: Header=BB6_4897 Depth=2
	s_mov_b32 s24, exec_lo
                                        ; implicit-def: $vgpr68
	v_cmpx_ne_u64_e32 0, v[4:5]
	s_xor_b32 s24, exec_lo, s24
; %bb.5773:                             ;   in Loop: Header=BB6_4897 Depth=2
	v_or_b32_e32 v68, 0x7f, v1
                                        ; implicit-def: $vgpr0
; %bb.5774:                             ;   in Loop: Header=BB6_4897 Depth=2
	s_and_not1_saveexec_b32 s24, s24
; %bb.5775:                             ;   in Loop: Header=BB6_4897 Depth=2
	v_cmp_lt_i32_e32 vcc_lo, -1, v0
	v_cndmask_b32_e32 v68, 0xfc, v104, vcc_lo
; %bb.5776:                             ;   in Loop: Header=BB6_4897 Depth=2
	s_or_b32 exec_lo, exec_lo, s24
.LBB6_5777:                             ;   in Loop: Header=BB6_4897 Depth=2
	s_delay_alu instid0(SALU_CYCLE_1) | instskip(SKIP_3) | instid1(VALU_DEP_2)
	s_or_b32 exec_lo, exec_lo, s7
	v_dual_mov_b32 v1, 0 :: v_dual_lshrrev_b32 v0, 16, v33
	v_mov_b32_e32 v2, 0
	s_mov_b32 s7, exec_lo
	v_and_b32_e32 v3, 0xff, v0
	s_delay_alu instid0(VALU_DEP_1)
	v_cmpx_ne_u16_e32 0, v3
	s_cbranch_execz .LBB6_5787
; %bb.5778:                             ;   in Loop: Header=BB6_4897 Depth=2
	v_bfrev_b32_e32 v2, 1
	s_mov_b32 s24, exec_lo
	v_cmpx_ne_u16_e32 0x80, v3
	s_cbranch_execz .LBB6_5786
; %bb.5779:                             ;   in Loop: Header=BB6_4897 Depth=2
	v_and_b32_e32 v2, 0x7c0000, v33
	v_bfe_u32 v3, v33, 16, 2
	s_delay_alu instid0(VALU_DEP_2) | instskip(SKIP_1) | instid1(SALU_CYCLE_1)
	v_cmp_ne_u32_e32 vcc_lo, 0x7c0000, v2
                                        ; implicit-def: $vgpr2
	s_and_saveexec_b32 s25, vcc_lo
	s_xor_b32 s25, exec_lo, s25
	s_cbranch_execz .LBB6_5783
; %bb.5780:                             ;   in Loop: Header=BB6_4897 Depth=2
	v_bfe_u32 v2, v33, 18, 5
	s_mov_b32 s26, exec_lo
	s_delay_alu instid0(VALU_DEP_1)
	v_cmpx_eq_u32_e32 0, v2
; %bb.5781:                             ;   in Loop: Header=BB6_4897 Depth=2
	v_clz_i32_u32_e32 v2, v3
	s_delay_alu instid0(VALU_DEP_1) | instskip(NEXT) | instid1(VALU_DEP_1)
	v_min_u32_e32 v2, 32, v2
	v_subrev_nc_u32_e32 v3, 29, v2
	v_sub_nc_u32_e32 v2, 30, v2
	s_delay_alu instid0(VALU_DEP_2) | instskip(NEXT) | instid1(VALU_DEP_1)
	v_lshlrev_b64_e32 v[70:71], v3, v[0:1]
	v_and_b32_e32 v3, 3, v70
; %bb.5782:                             ;   in Loop: Header=BB6_4897 Depth=2
	s_or_b32 exec_lo, exec_lo, s26
	v_lshlrev_b32_e32 v0, 24, v0
	s_delay_alu instid0(VALU_DEP_1) | instskip(NEXT) | instid1(VALU_DEP_1)
	v_and_b32_e32 v0, 0x80000000, v0
	v_lshl_add_u32 v0, v2, 23, v0
	s_delay_alu instid0(VALU_DEP_1) | instskip(NEXT) | instid1(VALU_DEP_1)
	v_lshl_or_b32 v0, v3, 21, v0
                                        ; implicit-def: $vgpr3
	v_add_nc_u32_e32 v2, 0x38000000, v0
                                        ; implicit-def: $vgpr0
.LBB6_5783:                             ;   in Loop: Header=BB6_4897 Depth=2
	s_and_not1_saveexec_b32 s25, s25
; %bb.5784:                             ;   in Loop: Header=BB6_4897 Depth=2
	v_bfe_i32 v0, v0, 0, 8
	s_delay_alu instid0(VALU_DEP_1) | instskip(SKIP_2) | instid1(VALU_DEP_2)
	v_cmp_lt_i16_e32 vcc_lo, -1, v0
	v_cndmask_b32_e32 v0, 0xff800000, v105, vcc_lo
	v_cmp_eq_u32_e32 vcc_lo, 0, v3
	v_cndmask_b32_e32 v2, 0x7f800001, v0, vcc_lo
; %bb.5785:                             ;   in Loop: Header=BB6_4897 Depth=2
	s_or_b32 exec_lo, exec_lo, s25
.LBB6_5786:                             ;   in Loop: Header=BB6_4897 Depth=2
	s_delay_alu instid0(SALU_CYCLE_1)
	s_or_b32 exec_lo, exec_lo, s24
.LBB6_5787:                             ;   in Loop: Header=BB6_4897 Depth=2
	s_delay_alu instid0(SALU_CYCLE_1) | instskip(SKIP_2) | instid1(VALU_DEP_1)
	s_or_b32 exec_lo, exec_lo, s7
	v_lshrrev_b32_e32 v0, 16, v27
	s_mov_b32 s7, exec_lo
	v_and_b32_e32 v3, 0xff, v0
	s_delay_alu instid0(VALU_DEP_1)
	v_cmpx_ne_u16_e32 0, v3
	s_cbranch_execz .LBB6_5797
; %bb.5788:                             ;   in Loop: Header=BB6_4897 Depth=2
	v_bfrev_b32_e32 v1, 1
	s_mov_b32 s24, exec_lo
	v_cmpx_ne_u16_e32 0x80, v3
	s_cbranch_execz .LBB6_5796
; %bb.5789:                             ;   in Loop: Header=BB6_4897 Depth=2
	v_and_b32_e32 v1, 0x7c0000, v27
	v_bfe_u32 v3, v27, 16, 2
	s_delay_alu instid0(VALU_DEP_2) | instskip(SKIP_1) | instid1(SALU_CYCLE_1)
	v_cmp_ne_u32_e32 vcc_lo, 0x7c0000, v1
                                        ; implicit-def: $vgpr1
	s_and_saveexec_b32 s25, vcc_lo
	s_xor_b32 s25, exec_lo, s25
	s_cbranch_execz .LBB6_5793
; %bb.5790:                             ;   in Loop: Header=BB6_4897 Depth=2
	v_bfe_u32 v1, v27, 18, 5
	s_mov_b32 s26, exec_lo
	s_delay_alu instid0(VALU_DEP_1)
	v_cmpx_eq_u32_e32 0, v1
; %bb.5791:                             ;   in Loop: Header=BB6_4897 Depth=2
	v_clz_i32_u32_e32 v1, v3
	s_delay_alu instid0(VALU_DEP_1) | instskip(NEXT) | instid1(VALU_DEP_1)
	v_min_u32_e32 v1, 32, v1
	v_subrev_nc_u32_e32 v3, 29, v1
	s_delay_alu instid0(VALU_DEP_1) | instskip(NEXT) | instid1(VALU_DEP_1)
	v_lshlrev_b64_e32 v[70:71], v3, v[0:1]
	v_dual_sub_nc_u32 v1, 30, v1 :: v_dual_bitop2_b32 v3, 3, v70 bitop3:0x40
; %bb.5792:                             ;   in Loop: Header=BB6_4897 Depth=2
	s_or_b32 exec_lo, exec_lo, s26
	v_lshlrev_b32_e32 v0, 24, v0
	s_delay_alu instid0(VALU_DEP_1) | instskip(NEXT) | instid1(VALU_DEP_1)
	v_and_b32_e32 v0, 0x80000000, v0
	v_lshl_add_u32 v0, v1, 23, v0
	s_delay_alu instid0(VALU_DEP_1) | instskip(NEXT) | instid1(VALU_DEP_1)
	v_lshl_or_b32 v0, v3, 21, v0
                                        ; implicit-def: $vgpr3
	v_add_nc_u32_e32 v1, 0x38000000, v0
                                        ; implicit-def: $vgpr0
.LBB6_5793:                             ;   in Loop: Header=BB6_4897 Depth=2
	s_and_not1_saveexec_b32 s25, s25
; %bb.5794:                             ;   in Loop: Header=BB6_4897 Depth=2
	v_bfe_i32 v0, v0, 0, 8
	s_delay_alu instid0(VALU_DEP_1) | instskip(SKIP_2) | instid1(VALU_DEP_2)
	v_cmp_lt_i16_e32 vcc_lo, -1, v0
	v_cndmask_b32_e32 v0, 0xff800000, v105, vcc_lo
	v_cmp_eq_u32_e32 vcc_lo, 0, v3
	v_cndmask_b32_e32 v1, 0x7f800001, v0, vcc_lo
; %bb.5795:                             ;   in Loop: Header=BB6_4897 Depth=2
	s_or_b32 exec_lo, exec_lo, s25
.LBB6_5796:                             ;   in Loop: Header=BB6_4897 Depth=2
	s_delay_alu instid0(SALU_CYCLE_1)
	s_or_b32 exec_lo, exec_lo, s24
.LBB6_5797:                             ;   in Loop: Header=BB6_4897 Depth=2
	s_delay_alu instid0(SALU_CYCLE_1) | instskip(NEXT) | instid1(VALU_DEP_1)
	s_or_b32 exec_lo, exec_lo, s7
	v_dual_mul_f32 v0, v2, v1 :: v_dual_mov_b32 v3, v5
                                        ; implicit-def: $vgpr69
	s_mov_b32 s7, exec_lo
	s_delay_alu instid0(VALU_DEP_1) | instskip(SKIP_2) | instid1(VALU_DEP_3)
	v_and_b32_e32 v2, 0x7f800000, v0
	v_and_b32_e32 v4, 0x7fffff, v0
	v_lshrrev_b32_e32 v1, 24, v0
	v_cmpx_ne_u64_e32 0x7f800000, v[2:3]
	s_xor_b32 s24, exec_lo, s7
	s_cbranch_execz .LBB6_5811
; %bb.5798:                             ;   in Loop: Header=BB6_4897 Depth=2
	v_and_b32_e32 v2, 0x7fffffff, v0
	v_mov_b32_e32 v3, v5
	v_and_b32_e32 v70, 0x80, v1
                                        ; implicit-def: $vgpr69
	s_mov_b32 s7, exec_lo
	s_delay_alu instid0(VALU_DEP_2)
	v_cmpx_gt_u64_e32 0x47600001, v[2:3]
	s_xor_b32 s25, exec_lo, s7
	s_cbranch_execz .LBB6_5808
; %bb.5799:                             ;   in Loop: Header=BB6_4897 Depth=2
	v_mov_b32_e32 v69, 0
	s_mov_b32 s26, exec_lo
	v_cmpx_ne_u32_e32 0, v0
	s_cbranch_execz .LBB6_5807
; %bb.5800:                             ;   in Loop: Header=BB6_4897 Depth=2
	v_bfe_u32 v69, v0, 23, 8
	v_or_b32_e32 v2, 0x800000, v4
	s_mov_b32 s27, exec_lo
	s_delay_alu instid0(VALU_DEP_2) | instskip(SKIP_1) | instid1(VALU_DEP_2)
	v_dual_mov_b32 v3, v5 :: v_dual_sub_nc_u32 v0, 0x71, v69
	v_cmp_gt_u32_e32 vcc_lo, 0x72, v69
	v_cndmask_b32_e32 v0, 0, v0, vcc_lo
	v_cmp_eq_u32_e32 vcc_lo, 0, v69
	s_delay_alu instid0(VALU_DEP_2) | instskip(NEXT) | instid1(VALU_DEP_1)
	v_cndmask_b32_e64 v71, v0, 0x70, vcc_lo
	v_dual_cndmask_b32 v2, v2, v4, vcc_lo :: v_dual_add_nc_u32 v0, 21, v71
	v_add_nc_u32_e32 v80, 20, v71
	s_delay_alu instid0(VALU_DEP_2) | instskip(NEXT) | instid1(VALU_DEP_2)
	v_lshlrev_b64_e64 v[0:1], v0, -1
	v_lshlrev_b64_e64 v[80:81], v80, 1
	s_delay_alu instid0(VALU_DEP_2) | instskip(NEXT) | instid1(VALU_DEP_3)
	v_bfi_b32 v83, v1, 0, 0
	v_bfi_b32 v82, v0, 0, v2
	v_lshrrev_b64 v[0:1], v71, v[2:3]
	s_delay_alu instid0(VALU_DEP_1) | instskip(NEXT) | instid1(VALU_DEP_3)
	v_mov_b64_e32 v[2:3], v[0:1]
	v_cmpx_eq_u64_e64 v[82:83], v[80:81]
; %bb.5801:                             ;   in Loop: Header=BB6_4897 Depth=2
	v_bfe_u32 v2, v0, 21, 1
	v_mov_b32_e32 v3, v5
	s_delay_alu instid0(VALU_DEP_1) | instskip(NEXT) | instid1(VALU_DEP_1)
	v_add_nc_u64_e32 v[2:3], v[0:1], v[2:3]
	v_add_nc_u64_e32 v[2:3], -1, v[2:3]
; %bb.5802:                             ;   in Loop: Header=BB6_4897 Depth=2
	s_or_b32 exec_lo, exec_lo, s27
	v_add_nc_u32_e32 v1, 0xffffff81, v69
	v_lshrrev_b32_e32 v3, 23, v0
	s_mov_b32 s7, exec_lo
	s_delay_alu instid0(VALU_DEP_2) | instskip(NEXT) | instid1(VALU_DEP_1)
	v_cndmask_b32_e64 v1, v1, 0xffffff82, vcc_lo
	v_add3_u32 v3, v71, v1, v3
	v_and_b32_e32 v1, 0x1fffff, v2
                                        ; implicit-def: $vgpr2
	s_delay_alu instid0(VALU_DEP_1) | instskip(NEXT) | instid1(VALU_DEP_1)
	v_dual_add_nc_u32 v69, 14, v3 :: v_dual_add_nc_u32 v4, v1, v0
                                        ; implicit-def: $vgpr0_vgpr1
	v_cmpx_ne_u32_e32 0, v69
	s_xor_b32 s7, exec_lo, s7
; %bb.5803:                             ;   in Loop: Header=BB6_4897 Depth=2
	s_delay_alu instid0(VALU_DEP_2) | instskip(SKIP_1) | instid1(VALU_DEP_1)
	v_cmp_lt_u64_e32 vcc_lo, 0xffffff, v[4:5]
	v_add_nc_u32_e32 v0, 15, v3
	v_cndmask_b32_e32 v2, v69, v0, vcc_lo
	v_cndmask_b32_e64 v0, 0, 1, vcc_lo
	s_delay_alu instid0(VALU_DEP_1)
	v_lshrrev_b64 v[0:1], v0, v[4:5]
; %bb.5804:                             ;   in Loop: Header=BB6_4897 Depth=2
	s_and_not1_saveexec_b32 s7, s7
; %bb.5805:                             ;   in Loop: Header=BB6_4897 Depth=2
	v_mov_b64_e32 v[0:1], v[4:5]
	v_bfe_u32 v2, v4, 23, 1
; %bb.5806:                             ;   in Loop: Header=BB6_4897 Depth=2
	s_or_b32 exec_lo, exec_lo, s7
	s_delay_alu instid0(VALU_DEP_2) | instskip(NEXT) | instid1(VALU_DEP_2)
	v_lshrrev_b64 v[0:1], 21, v[0:1]
	v_cmp_gt_i32_e32 vcc_lo, 32, v2
	v_min_i32_e32 v3, 31, v2
	v_cmp_eq_u32_e64 s7, 0, v2
	s_delay_alu instid0(VALU_DEP_2) | instskip(SKIP_1) | instid1(VALU_DEP_2)
	v_dual_cndmask_b32 v1, 0, v1, vcc_lo :: v_dual_lshlrev_b32 v3, 2, v3
	v_cndmask_b32_e32 v0, 3, v0, vcc_lo
	v_and_b32_e32 v3, 0xfc, v3
	s_delay_alu instid0(VALU_DEP_2) | instskip(NEXT) | instid1(VALU_DEP_2)
	v_cmp_eq_u64_e32 vcc_lo, 0, v[0:1]
	v_and_or_b32 v0, v0, 3, v3
	s_and_b32 s7, s7, vcc_lo
	s_delay_alu instid0(VALU_DEP_1) | instid1(SALU_CYCLE_1)
	v_cndmask_b32_e64 v0, v0, 0, s7
	s_delay_alu instid0(VALU_DEP_1)
	v_or_b32_e32 v69, v0, v70
.LBB6_5807:                             ;   in Loop: Header=BB6_4897 Depth=2
	s_or_b32 exec_lo, exec_lo, s26
                                        ; implicit-def: $vgpr70
.LBB6_5808:                             ;   in Loop: Header=BB6_4897 Depth=2
	s_and_not1_saveexec_b32 s7, s25
; %bb.5809:                             ;   in Loop: Header=BB6_4897 Depth=2
	v_or_b32_e32 v69, 0x7b, v70
; %bb.5810:                             ;   in Loop: Header=BB6_4897 Depth=2
	s_or_b32 exec_lo, exec_lo, s7
                                        ; implicit-def: $vgpr0
                                        ; implicit-def: $vgpr1
.LBB6_5811:                             ;   in Loop: Header=BB6_4897 Depth=2
	s_and_not1_saveexec_b32 s7, s24
	s_cbranch_execz .LBB6_5817
; %bb.5812:                             ;   in Loop: Header=BB6_4897 Depth=2
	s_mov_b32 s24, exec_lo
                                        ; implicit-def: $vgpr69
	v_cmpx_ne_u64_e32 0, v[4:5]
	s_xor_b32 s24, exec_lo, s24
; %bb.5813:                             ;   in Loop: Header=BB6_4897 Depth=2
	v_or_b32_e32 v69, 0x7f, v1
                                        ; implicit-def: $vgpr0
; %bb.5814:                             ;   in Loop: Header=BB6_4897 Depth=2
	s_and_not1_saveexec_b32 s24, s24
; %bb.5815:                             ;   in Loop: Header=BB6_4897 Depth=2
	v_cmp_lt_i32_e32 vcc_lo, -1, v0
	v_cndmask_b32_e32 v69, 0xfc, v104, vcc_lo
; %bb.5816:                             ;   in Loop: Header=BB6_4897 Depth=2
	s_or_b32 exec_lo, exec_lo, s24
.LBB6_5817:                             ;   in Loop: Header=BB6_4897 Depth=2
	s_delay_alu instid0(SALU_CYCLE_1)
	s_or_b32 exec_lo, exec_lo, s7
	v_dual_mov_b32 v1, 0 :: v_dual_mov_b32 v2, 0
	s_mov_b32 s7, exec_lo
	v_cmpx_lt_u64_e64 s[12:13], v[32:33]
	s_cbranch_execz .LBB6_5827
; %bb.5818:                             ;   in Loop: Header=BB6_4897 Depth=2
	v_lshrrev_b32_e32 v0, 24, v33
	v_bfrev_b32_e32 v2, 1
	s_mov_b32 s24, exec_lo
	s_delay_alu instid0(VALU_DEP_2)
	v_cmpx_ne_u32_e32 0x80, v0
	s_cbranch_execz .LBB6_5826
; %bb.5819:                             ;   in Loop: Header=BB6_4897 Depth=2
	v_and_b32_e32 v2, 0x7c000000, v33
	v_bfe_u32 v3, v33, 24, 2
	s_delay_alu instid0(VALU_DEP_2) | instskip(SKIP_1) | instid1(SALU_CYCLE_1)
	v_cmp_ne_u32_e32 vcc_lo, 0x7c000000, v2
                                        ; implicit-def: $vgpr2
	s_and_saveexec_b32 s25, vcc_lo
	s_xor_b32 s25, exec_lo, s25
	s_cbranch_execz .LBB6_5823
; %bb.5820:                             ;   in Loop: Header=BB6_4897 Depth=2
	v_bfe_u32 v2, v33, 26, 5
	s_mov_b32 s26, exec_lo
	s_delay_alu instid0(VALU_DEP_1)
	v_cmpx_eq_u32_e32 0, v2
; %bb.5821:                             ;   in Loop: Header=BB6_4897 Depth=2
	v_clz_i32_u32_e32 v2, v3
	s_delay_alu instid0(VALU_DEP_1) | instskip(NEXT) | instid1(VALU_DEP_1)
	v_min_u32_e32 v2, 32, v2
	v_subrev_nc_u32_e32 v3, 29, v2
	v_sub_nc_u32_e32 v2, 30, v2
	s_delay_alu instid0(VALU_DEP_2) | instskip(NEXT) | instid1(VALU_DEP_1)
	v_lshlrev_b64_e32 v[70:71], v3, v[0:1]
	v_and_b32_e32 v3, 3, v70
; %bb.5822:                             ;   in Loop: Header=BB6_4897 Depth=2
	s_or_b32 exec_lo, exec_lo, s26
	v_and_b32_e32 v0, 0x80000000, v33
	s_delay_alu instid0(VALU_DEP_1) | instskip(NEXT) | instid1(VALU_DEP_1)
	v_lshl_add_u32 v0, v2, 23, v0
	v_lshl_or_b32 v0, v3, 21, v0
                                        ; implicit-def: $vgpr3
	s_delay_alu instid0(VALU_DEP_1)
	v_add_nc_u32_e32 v2, 0x38000000, v0
.LBB6_5823:                             ;   in Loop: Header=BB6_4897 Depth=2
	s_and_not1_saveexec_b32 s25, s25
; %bb.5824:                             ;   in Loop: Header=BB6_4897 Depth=2
	v_cmp_lt_i64_e32 vcc_lo, -1, v[32:33]
	v_cndmask_b32_e32 v0, 0xff800000, v105, vcc_lo
	v_cmp_eq_u32_e32 vcc_lo, 0, v3
	s_delay_alu instid0(VALU_DEP_2)
	v_cndmask_b32_e32 v2, 0x7f800001, v0, vcc_lo
; %bb.5825:                             ;   in Loop: Header=BB6_4897 Depth=2
	s_or_b32 exec_lo, exec_lo, s25
.LBB6_5826:                             ;   in Loop: Header=BB6_4897 Depth=2
	s_delay_alu instid0(SALU_CYCLE_1)
	s_or_b32 exec_lo, exec_lo, s24
.LBB6_5827:                             ;   in Loop: Header=BB6_4897 Depth=2
	s_delay_alu instid0(SALU_CYCLE_1) | instskip(NEXT) | instid1(SALU_CYCLE_1)
	s_or_b32 exec_lo, exec_lo, s7
	s_mov_b32 s7, exec_lo
	v_cmpx_lt_u64_e64 s[12:13], v[26:27]
	s_cbranch_execz .LBB6_5837
; %bb.5828:                             ;   in Loop: Header=BB6_4897 Depth=2
	v_lshrrev_b32_e32 v0, 24, v27
	v_bfrev_b32_e32 v1, 1
	s_mov_b32 s24, exec_lo
	s_delay_alu instid0(VALU_DEP_2)
	v_cmpx_ne_u32_e32 0x80, v0
	s_cbranch_execz .LBB6_5836
; %bb.5829:                             ;   in Loop: Header=BB6_4897 Depth=2
	v_and_b32_e32 v1, 0x7c000000, v27
	v_bfe_u32 v3, v27, 24, 2
	s_delay_alu instid0(VALU_DEP_2) | instskip(SKIP_1) | instid1(SALU_CYCLE_1)
	v_cmp_ne_u32_e32 vcc_lo, 0x7c000000, v1
                                        ; implicit-def: $vgpr1
	s_and_saveexec_b32 s25, vcc_lo
	s_xor_b32 s25, exec_lo, s25
	s_cbranch_execz .LBB6_5833
; %bb.5830:                             ;   in Loop: Header=BB6_4897 Depth=2
	v_bfe_u32 v1, v27, 26, 5
	s_mov_b32 s26, exec_lo
	s_delay_alu instid0(VALU_DEP_1)
	v_cmpx_eq_u32_e32 0, v1
; %bb.5831:                             ;   in Loop: Header=BB6_4897 Depth=2
	v_clz_i32_u32_e32 v1, v3
	s_delay_alu instid0(VALU_DEP_1) | instskip(NEXT) | instid1(VALU_DEP_1)
	v_min_u32_e32 v3, 32, v1
	v_subrev_nc_u32_e32 v1, 29, v3
	s_delay_alu instid0(VALU_DEP_1) | instskip(NEXT) | instid1(VALU_DEP_1)
	v_lshlrev_b64_e32 v[0:1], v1, v[0:1]
	v_dual_sub_nc_u32 v1, 30, v3 :: v_dual_bitop2_b32 v3, 3, v0 bitop3:0x40
; %bb.5832:                             ;   in Loop: Header=BB6_4897 Depth=2
	s_or_b32 exec_lo, exec_lo, s26
	v_and_b32_e32 v0, 0x80000000, v27
	s_delay_alu instid0(VALU_DEP_1) | instskip(NEXT) | instid1(VALU_DEP_1)
	v_lshl_add_u32 v0, v1, 23, v0
	v_lshl_or_b32 v0, v3, 21, v0
                                        ; implicit-def: $vgpr3
	s_delay_alu instid0(VALU_DEP_1)
	v_add_nc_u32_e32 v1, 0x38000000, v0
.LBB6_5833:                             ;   in Loop: Header=BB6_4897 Depth=2
	s_and_not1_saveexec_b32 s25, s25
; %bb.5834:                             ;   in Loop: Header=BB6_4897 Depth=2
	v_cmp_lt_i64_e32 vcc_lo, -1, v[26:27]
	v_cndmask_b32_e32 v0, 0xff800000, v105, vcc_lo
	v_cmp_eq_u32_e32 vcc_lo, 0, v3
	s_delay_alu instid0(VALU_DEP_2)
	v_cndmask_b32_e32 v1, 0x7f800001, v0, vcc_lo
; %bb.5835:                             ;   in Loop: Header=BB6_4897 Depth=2
	s_or_b32 exec_lo, exec_lo, s25
.LBB6_5836:                             ;   in Loop: Header=BB6_4897 Depth=2
	s_delay_alu instid0(SALU_CYCLE_1)
	s_or_b32 exec_lo, exec_lo, s24
.LBB6_5837:                             ;   in Loop: Header=BB6_4897 Depth=2
	s_delay_alu instid0(SALU_CYCLE_1) | instskip(NEXT) | instid1(VALU_DEP_1)
	s_or_b32 exec_lo, exec_lo, s7
	v_dual_mul_f32 v0, v2, v1 :: v_dual_mov_b32 v3, v5
                                        ; implicit-def: $vgpr26
	s_mov_b32 s7, exec_lo
	s_delay_alu instid0(VALU_DEP_1) | instskip(SKIP_2) | instid1(VALU_DEP_3)
	v_and_b32_e32 v2, 0x7f800000, v0
	v_and_b32_e32 v4, 0x7fffff, v0
	v_lshrrev_b32_e32 v1, 24, v0
	v_cmpx_ne_u64_e32 0x7f800000, v[2:3]
	s_xor_b32 s24, exec_lo, s7
	s_cbranch_execz .LBB6_5851
; %bb.5838:                             ;   in Loop: Header=BB6_4897 Depth=2
	v_and_b32_e32 v2, 0x7fffffff, v0
	v_mov_b32_e32 v3, v5
	v_and_b32_e32 v27, 0x80, v1
                                        ; implicit-def: $vgpr26
	s_mov_b32 s7, exec_lo
	s_delay_alu instid0(VALU_DEP_2)
	v_cmpx_gt_u64_e32 0x47600001, v[2:3]
	s_xor_b32 s25, exec_lo, s7
	s_cbranch_execz .LBB6_5848
; %bb.5839:                             ;   in Loop: Header=BB6_4897 Depth=2
	v_mov_b32_e32 v26, 0
	s_mov_b32 s26, exec_lo
	v_cmpx_ne_u32_e32 0, v0
	s_cbranch_execz .LBB6_5847
; %bb.5840:                             ;   in Loop: Header=BB6_4897 Depth=2
	v_bfe_u32 v26, v0, 23, 8
	v_or_b32_e32 v2, 0x800000, v4
	s_mov_b32 s27, exec_lo
	s_delay_alu instid0(VALU_DEP_2) | instskip(SKIP_1) | instid1(VALU_DEP_2)
	v_dual_mov_b32 v3, v5 :: v_dual_sub_nc_u32 v0, 0x71, v26
	v_cmp_gt_u32_e32 vcc_lo, 0x72, v26
	v_cndmask_b32_e32 v0, 0, v0, vcc_lo
	v_cmp_eq_u32_e32 vcc_lo, 0, v26
	s_delay_alu instid0(VALU_DEP_2) | instskip(SKIP_1) | instid1(VALU_DEP_2)
	v_cndmask_b32_e64 v32, v0, 0x70, vcc_lo
	v_cndmask_b32_e32 v2, v2, v4, vcc_lo
	v_dual_add_nc_u32 v0, 21, v32 :: v_dual_add_nc_u32 v33, 20, v32
	s_delay_alu instid0(VALU_DEP_1) | instskip(NEXT) | instid1(VALU_DEP_2)
	v_lshlrev_b64_e64 v[0:1], v0, -1
	v_lshlrev_b64_e64 v[70:71], v33, 1
	s_delay_alu instid0(VALU_DEP_2) | instskip(NEXT) | instid1(VALU_DEP_3)
	v_bfi_b32 v81, v1, 0, 0
	v_bfi_b32 v80, v0, 0, v2
	v_lshrrev_b64 v[0:1], v32, v[2:3]
	s_delay_alu instid0(VALU_DEP_1) | instskip(NEXT) | instid1(VALU_DEP_3)
	v_mov_b64_e32 v[2:3], v[0:1]
	v_cmpx_eq_u64_e64 v[80:81], v[70:71]
; %bb.5841:                             ;   in Loop: Header=BB6_4897 Depth=2
	v_bfe_u32 v2, v0, 21, 1
	v_mov_b32_e32 v3, v5
	s_delay_alu instid0(VALU_DEP_1) | instskip(NEXT) | instid1(VALU_DEP_1)
	v_add_nc_u64_e32 v[2:3], v[0:1], v[2:3]
	v_add_nc_u64_e32 v[2:3], -1, v[2:3]
; %bb.5842:                             ;   in Loop: Header=BB6_4897 Depth=2
	s_or_b32 exec_lo, exec_lo, s27
	v_add_nc_u32_e32 v1, 0xffffff81, v26
	v_lshrrev_b32_e32 v3, 23, v0
	s_mov_b32 s7, exec_lo
	s_delay_alu instid0(VALU_DEP_2) | instskip(NEXT) | instid1(VALU_DEP_1)
	v_cndmask_b32_e64 v1, v1, 0xffffff82, vcc_lo
	v_add3_u32 v3, v32, v1, v3
	v_and_b32_e32 v1, 0x1fffff, v2
                                        ; implicit-def: $vgpr2
	s_delay_alu instid0(VALU_DEP_1) | instskip(NEXT) | instid1(VALU_DEP_1)
	v_dual_add_nc_u32 v26, 14, v3 :: v_dual_add_nc_u32 v4, v1, v0
                                        ; implicit-def: $vgpr0_vgpr1
	v_cmpx_ne_u32_e32 0, v26
	s_xor_b32 s7, exec_lo, s7
; %bb.5843:                             ;   in Loop: Header=BB6_4897 Depth=2
	s_delay_alu instid0(VALU_DEP_2) | instskip(SKIP_1) | instid1(VALU_DEP_1)
	v_cmp_lt_u64_e32 vcc_lo, 0xffffff, v[4:5]
	v_add_nc_u32_e32 v0, 15, v3
	v_cndmask_b32_e32 v2, v26, v0, vcc_lo
	v_cndmask_b32_e64 v0, 0, 1, vcc_lo
	s_delay_alu instid0(VALU_DEP_1)
	v_lshrrev_b64 v[0:1], v0, v[4:5]
; %bb.5844:                             ;   in Loop: Header=BB6_4897 Depth=2
	s_and_not1_saveexec_b32 s7, s7
; %bb.5845:                             ;   in Loop: Header=BB6_4897 Depth=2
	v_mov_b64_e32 v[0:1], v[4:5]
	v_bfe_u32 v2, v4, 23, 1
; %bb.5846:                             ;   in Loop: Header=BB6_4897 Depth=2
	s_or_b32 exec_lo, exec_lo, s7
	s_delay_alu instid0(VALU_DEP_2) | instskip(NEXT) | instid1(VALU_DEP_2)
	v_lshrrev_b64 v[0:1], 21, v[0:1]
	v_cmp_gt_i32_e32 vcc_lo, 32, v2
	v_min_i32_e32 v3, 31, v2
	v_cmp_eq_u32_e64 s7, 0, v2
	s_delay_alu instid0(VALU_DEP_2) | instskip(SKIP_1) | instid1(VALU_DEP_2)
	v_dual_cndmask_b32 v1, 0, v1, vcc_lo :: v_dual_lshlrev_b32 v3, 2, v3
	v_cndmask_b32_e32 v0, 3, v0, vcc_lo
	v_and_b32_e32 v3, 0xfc, v3
	s_delay_alu instid0(VALU_DEP_2) | instskip(NEXT) | instid1(VALU_DEP_2)
	v_cmp_eq_u64_e32 vcc_lo, 0, v[0:1]
	v_and_or_b32 v0, v0, 3, v3
	s_and_b32 s7, s7, vcc_lo
	s_delay_alu instid0(VALU_DEP_1) | instid1(SALU_CYCLE_1)
	v_cndmask_b32_e64 v0, v0, 0, s7
	s_delay_alu instid0(VALU_DEP_1)
	v_or_b32_e32 v26, v0, v27
.LBB6_5847:                             ;   in Loop: Header=BB6_4897 Depth=2
	s_or_b32 exec_lo, exec_lo, s26
                                        ; implicit-def: $vgpr27
.LBB6_5848:                             ;   in Loop: Header=BB6_4897 Depth=2
	s_and_not1_saveexec_b32 s7, s25
; %bb.5849:                             ;   in Loop: Header=BB6_4897 Depth=2
	v_or_b32_e32 v26, 0x7b, v27
; %bb.5850:                             ;   in Loop: Header=BB6_4897 Depth=2
	s_or_b32 exec_lo, exec_lo, s7
                                        ; implicit-def: $vgpr0
                                        ; implicit-def: $vgpr1
.LBB6_5851:                             ;   in Loop: Header=BB6_4897 Depth=2
	s_and_not1_saveexec_b32 s7, s24
	s_cbranch_execz .LBB6_5857
; %bb.5852:                             ;   in Loop: Header=BB6_4897 Depth=2
	s_mov_b32 s24, exec_lo
                                        ; implicit-def: $vgpr26
	v_cmpx_ne_u64_e32 0, v[4:5]
	s_xor_b32 s24, exec_lo, s24
; %bb.5853:                             ;   in Loop: Header=BB6_4897 Depth=2
	v_or_b32_e32 v26, 0x7f, v1
                                        ; implicit-def: $vgpr0
; %bb.5854:                             ;   in Loop: Header=BB6_4897 Depth=2
	s_and_not1_saveexec_b32 s24, s24
; %bb.5855:                             ;   in Loop: Header=BB6_4897 Depth=2
	v_cmp_lt_i32_e32 vcc_lo, -1, v0
	v_cndmask_b32_e32 v26, 0xfc, v104, vcc_lo
; %bb.5856:                             ;   in Loop: Header=BB6_4897 Depth=2
	s_or_b32 exec_lo, exec_lo, s24
.LBB6_5857:                             ;   in Loop: Header=BB6_4897 Depth=2
	s_delay_alu instid0(SALU_CYCLE_1) | instskip(SKIP_2) | instid1(VALU_DEP_2)
	s_or_b32 exec_lo, exec_lo, s7
	v_and_b32_e32 v1, 0xff, v34
	v_mov_b32_e32 v0, 0
	v_cmp_ne_u16_e32 vcc_lo, 0, v1
	v_mov_b32_e32 v1, 0
	s_and_saveexec_b32 s7, vcc_lo
	s_cbranch_execz .LBB6_5867
; %bb.5858:                             ;   in Loop: Header=BB6_4897 Depth=2
	v_bfe_i32 v3, v34, 0, 8
	v_bfrev_b32_e32 v1, 1
	s_mov_b32 s24, exec_lo
	s_delay_alu instid0(VALU_DEP_2)
	v_cmpx_ne_u16_e32 0xff80, v3
	s_cbranch_execz .LBB6_5866
; %bb.5859:                             ;   in Loop: Header=BB6_4897 Depth=2
	v_and_b32_e32 v1, 0x7c, v34
	v_and_b32_e32 v2, 3, v34
	s_delay_alu instid0(VALU_DEP_2) | instskip(SKIP_1) | instid1(SALU_CYCLE_1)
	v_cmp_ne_u32_e32 vcc_lo, 0x7c, v1
                                        ; implicit-def: $vgpr1
	s_and_saveexec_b32 s25, vcc_lo
	s_xor_b32 s25, exec_lo, s25
	s_cbranch_execz .LBB6_5863
; %bb.5860:                             ;   in Loop: Header=BB6_4897 Depth=2
	v_bfe_u32 v1, v34, 2, 5
	s_mov_b32 s26, exec_lo
	s_delay_alu instid0(VALU_DEP_1)
	v_cmpx_eq_u32_e32 0, v1
; %bb.5861:                             ;   in Loop: Header=BB6_4897 Depth=2
	v_clz_i32_u32_e32 v1, v2
	s_delay_alu instid0(VALU_DEP_1) | instskip(NEXT) | instid1(VALU_DEP_1)
	v_min_u32_e32 v1, 32, v1
	v_subrev_nc_u32_e32 v2, 29, v1
	s_delay_alu instid0(VALU_DEP_1) | instskip(NEXT) | instid1(VALU_DEP_1)
	v_lshlrev_b64_e32 v[2:3], v2, v[34:35]
	v_dual_sub_nc_u32 v1, 30, v1 :: v_dual_bitop2_b32 v2, 3, v2 bitop3:0x40
; %bb.5862:                             ;   in Loop: Header=BB6_4897 Depth=2
	s_or_b32 exec_lo, exec_lo, s26
	v_lshlrev_b32_e32 v3, 24, v34
	s_delay_alu instid0(VALU_DEP_1) | instskip(NEXT) | instid1(VALU_DEP_1)
	v_and_b32_e32 v3, 0x80000000, v3
	v_lshl_add_u32 v1, v1, 23, v3
                                        ; implicit-def: $vgpr3
	s_delay_alu instid0(VALU_DEP_1) | instskip(NEXT) | instid1(VALU_DEP_1)
	v_lshl_or_b32 v1, v2, 21, v1
                                        ; implicit-def: $vgpr2
	v_add_nc_u32_e32 v1, 0x38000000, v1
.LBB6_5863:                             ;   in Loop: Header=BB6_4897 Depth=2
	s_and_not1_saveexec_b32 s25, s25
; %bb.5864:                             ;   in Loop: Header=BB6_4897 Depth=2
	v_cmp_lt_i16_e32 vcc_lo, -1, v3
	v_cndmask_b32_e32 v1, 0xff800000, v105, vcc_lo
	v_cmp_eq_u32_e32 vcc_lo, 0, v2
	s_delay_alu instid0(VALU_DEP_2)
	v_cndmask_b32_e32 v1, 0x7f800001, v1, vcc_lo
; %bb.5865:                             ;   in Loop: Header=BB6_4897 Depth=2
	s_or_b32 exec_lo, exec_lo, s25
.LBB6_5866:                             ;   in Loop: Header=BB6_4897 Depth=2
	s_delay_alu instid0(SALU_CYCLE_1)
	s_or_b32 exec_lo, exec_lo, s24
.LBB6_5867:                             ;   in Loop: Header=BB6_4897 Depth=2
	s_delay_alu instid0(SALU_CYCLE_1) | instskip(SKIP_2) | instid1(VALU_DEP_1)
	s_or_b32 exec_lo, exec_lo, s7
	v_and_b32_e32 v2, 0xff, v28
	s_mov_b32 s7, exec_lo
	v_cmpx_ne_u16_e32 0, v2
	s_cbranch_execz .LBB6_5877
; %bb.5868:                             ;   in Loop: Header=BB6_4897 Depth=2
	v_bfe_i32 v3, v28, 0, 8
	v_bfrev_b32_e32 v0, 1
	s_mov_b32 s24, exec_lo
	s_delay_alu instid0(VALU_DEP_2)
	v_cmpx_ne_u16_e32 0xff80, v3
	s_cbranch_execz .LBB6_5876
; %bb.5869:                             ;   in Loop: Header=BB6_4897 Depth=2
	v_and_b32_e32 v0, 0x7c, v28
	v_and_b32_e32 v2, 3, v28
	s_delay_alu instid0(VALU_DEP_2) | instskip(SKIP_1) | instid1(SALU_CYCLE_1)
	v_cmp_ne_u32_e32 vcc_lo, 0x7c, v0
                                        ; implicit-def: $vgpr0
	s_and_saveexec_b32 s25, vcc_lo
	s_xor_b32 s25, exec_lo, s25
	s_cbranch_execz .LBB6_5873
; %bb.5870:                             ;   in Loop: Header=BB6_4897 Depth=2
	v_bfe_u32 v0, v28, 2, 5
	s_mov_b32 s26, exec_lo
	s_delay_alu instid0(VALU_DEP_1)
	v_cmpx_eq_u32_e32 0, v0
; %bb.5871:                             ;   in Loop: Header=BB6_4897 Depth=2
	v_clz_i32_u32_e32 v0, v2
	s_delay_alu instid0(VALU_DEP_1) | instskip(NEXT) | instid1(VALU_DEP_1)
	v_min_u32_e32 v0, 32, v0
	v_subrev_nc_u32_e32 v2, 29, v0
	s_delay_alu instid0(VALU_DEP_1) | instskip(NEXT) | instid1(VALU_DEP_1)
	v_lshlrev_b64_e32 v[2:3], v2, v[28:29]
	v_dual_sub_nc_u32 v0, 30, v0 :: v_dual_bitop2_b32 v2, 3, v2 bitop3:0x40
; %bb.5872:                             ;   in Loop: Header=BB6_4897 Depth=2
	s_or_b32 exec_lo, exec_lo, s26
	v_lshlrev_b32_e32 v3, 24, v28
	s_delay_alu instid0(VALU_DEP_1) | instskip(NEXT) | instid1(VALU_DEP_1)
	v_and_b32_e32 v3, 0x80000000, v3
	v_lshl_add_u32 v0, v0, 23, v3
                                        ; implicit-def: $vgpr3
	s_delay_alu instid0(VALU_DEP_1) | instskip(NEXT) | instid1(VALU_DEP_1)
	v_lshl_or_b32 v0, v2, 21, v0
                                        ; implicit-def: $vgpr2
	v_add_nc_u32_e32 v0, 0x38000000, v0
.LBB6_5873:                             ;   in Loop: Header=BB6_4897 Depth=2
	s_and_not1_saveexec_b32 s25, s25
; %bb.5874:                             ;   in Loop: Header=BB6_4897 Depth=2
	v_cmp_lt_i16_e32 vcc_lo, -1, v3
	v_cndmask_b32_e32 v0, 0xff800000, v105, vcc_lo
	v_cmp_eq_u32_e32 vcc_lo, 0, v2
	s_delay_alu instid0(VALU_DEP_2)
	v_cndmask_b32_e32 v0, 0x7f800001, v0, vcc_lo
; %bb.5875:                             ;   in Loop: Header=BB6_4897 Depth=2
	s_or_b32 exec_lo, exec_lo, s25
.LBB6_5876:                             ;   in Loop: Header=BB6_4897 Depth=2
	s_delay_alu instid0(SALU_CYCLE_1)
	s_or_b32 exec_lo, exec_lo, s24
.LBB6_5877:                             ;   in Loop: Header=BB6_4897 Depth=2
	s_delay_alu instid0(SALU_CYCLE_1) | instskip(NEXT) | instid1(VALU_DEP_1)
	s_or_b32 exec_lo, exec_lo, s7
	v_mul_f32_e32 v0, v1, v0
	v_mov_b32_e32 v3, v5
                                        ; implicit-def: $vgpr27
	s_mov_b32 s7, exec_lo
	s_delay_alu instid0(VALU_DEP_2) | instskip(SKIP_2) | instid1(VALU_DEP_3)
	v_and_b32_e32 v2, 0x7f800000, v0
	v_and_b32_e32 v4, 0x7fffff, v0
	v_lshrrev_b32_e32 v1, 24, v0
	v_cmpx_ne_u64_e32 0x7f800000, v[2:3]
	s_xor_b32 s24, exec_lo, s7
	s_cbranch_execz .LBB6_5891
; %bb.5878:                             ;   in Loop: Header=BB6_4897 Depth=2
	v_and_b32_e32 v2, 0x7fffffff, v0
	v_mov_b32_e32 v3, v5
	v_and_b32_e32 v32, 0x80, v1
                                        ; implicit-def: $vgpr27
	s_mov_b32 s7, exec_lo
	s_delay_alu instid0(VALU_DEP_2)
	v_cmpx_gt_u64_e32 0x47600001, v[2:3]
	s_xor_b32 s25, exec_lo, s7
	s_cbranch_execz .LBB6_5888
; %bb.5879:                             ;   in Loop: Header=BB6_4897 Depth=2
	v_mov_b32_e32 v27, 0
	s_mov_b32 s26, exec_lo
	v_cmpx_ne_u32_e32 0, v0
	s_cbranch_execz .LBB6_5887
; %bb.5880:                             ;   in Loop: Header=BB6_4897 Depth=2
	v_bfe_u32 v27, v0, 23, 8
	v_or_b32_e32 v2, 0x800000, v4
	s_mov_b32 s27, exec_lo
	s_delay_alu instid0(VALU_DEP_2) | instskip(SKIP_1) | instid1(VALU_DEP_2)
	v_dual_mov_b32 v3, v5 :: v_dual_sub_nc_u32 v0, 0x71, v27
	v_cmp_gt_u32_e32 vcc_lo, 0x72, v27
	v_cndmask_b32_e32 v0, 0, v0, vcc_lo
	v_cmp_eq_u32_e32 vcc_lo, 0, v27
	s_delay_alu instid0(VALU_DEP_2) | instskip(NEXT) | instid1(VALU_DEP_1)
	v_cndmask_b32_e64 v33, v0, 0x70, vcc_lo
	v_dual_cndmask_b32 v2, v2, v4, vcc_lo :: v_dual_add_nc_u32 v0, 21, v33
	v_add_nc_u32_e32 v70, 20, v33
	s_delay_alu instid0(VALU_DEP_2) | instskip(NEXT) | instid1(VALU_DEP_2)
	v_lshlrev_b64_e64 v[0:1], v0, -1
	v_lshlrev_b64_e64 v[70:71], v70, 1
	s_delay_alu instid0(VALU_DEP_2) | instskip(NEXT) | instid1(VALU_DEP_3)
	v_bfi_b32 v81, v1, 0, 0
	v_bfi_b32 v80, v0, 0, v2
	v_lshrrev_b64 v[0:1], v33, v[2:3]
	s_delay_alu instid0(VALU_DEP_1) | instskip(NEXT) | instid1(VALU_DEP_3)
	v_mov_b64_e32 v[2:3], v[0:1]
	v_cmpx_eq_u64_e64 v[80:81], v[70:71]
; %bb.5881:                             ;   in Loop: Header=BB6_4897 Depth=2
	v_bfe_u32 v2, v0, 21, 1
	v_mov_b32_e32 v3, v5
	s_delay_alu instid0(VALU_DEP_1) | instskip(NEXT) | instid1(VALU_DEP_1)
	v_add_nc_u64_e32 v[2:3], v[0:1], v[2:3]
	v_add_nc_u64_e32 v[2:3], -1, v[2:3]
; %bb.5882:                             ;   in Loop: Header=BB6_4897 Depth=2
	s_or_b32 exec_lo, exec_lo, s27
	v_add_nc_u32_e32 v1, 0xffffff81, v27
	v_lshrrev_b32_e32 v3, 23, v0
	s_mov_b32 s7, exec_lo
	s_delay_alu instid0(VALU_DEP_2) | instskip(NEXT) | instid1(VALU_DEP_1)
	v_cndmask_b32_e64 v1, v1, 0xffffff82, vcc_lo
	v_add3_u32 v3, v33, v1, v3
	v_and_b32_e32 v1, 0x1fffff, v2
                                        ; implicit-def: $vgpr2
	s_delay_alu instid0(VALU_DEP_1) | instskip(NEXT) | instid1(VALU_DEP_1)
	v_dual_add_nc_u32 v27, 14, v3 :: v_dual_add_nc_u32 v4, v1, v0
                                        ; implicit-def: $vgpr0_vgpr1
	v_cmpx_ne_u32_e32 0, v27
	s_xor_b32 s7, exec_lo, s7
; %bb.5883:                             ;   in Loop: Header=BB6_4897 Depth=2
	s_delay_alu instid0(VALU_DEP_2) | instskip(SKIP_1) | instid1(VALU_DEP_1)
	v_cmp_lt_u64_e32 vcc_lo, 0xffffff, v[4:5]
	v_add_nc_u32_e32 v0, 15, v3
	v_cndmask_b32_e32 v2, v27, v0, vcc_lo
	v_cndmask_b32_e64 v0, 0, 1, vcc_lo
	s_delay_alu instid0(VALU_DEP_1)
	v_lshrrev_b64 v[0:1], v0, v[4:5]
; %bb.5884:                             ;   in Loop: Header=BB6_4897 Depth=2
	s_and_not1_saveexec_b32 s7, s7
; %bb.5885:                             ;   in Loop: Header=BB6_4897 Depth=2
	v_mov_b64_e32 v[0:1], v[4:5]
	v_bfe_u32 v2, v4, 23, 1
; %bb.5886:                             ;   in Loop: Header=BB6_4897 Depth=2
	s_or_b32 exec_lo, exec_lo, s7
	s_delay_alu instid0(VALU_DEP_2) | instskip(NEXT) | instid1(VALU_DEP_2)
	v_lshrrev_b64 v[0:1], 21, v[0:1]
	v_cmp_gt_i32_e32 vcc_lo, 32, v2
	v_min_i32_e32 v3, 31, v2
	v_cmp_eq_u32_e64 s7, 0, v2
	s_delay_alu instid0(VALU_DEP_2) | instskip(SKIP_1) | instid1(VALU_DEP_2)
	v_dual_cndmask_b32 v1, 0, v1, vcc_lo :: v_dual_lshlrev_b32 v3, 2, v3
	v_cndmask_b32_e32 v0, 3, v0, vcc_lo
	v_and_b32_e32 v3, 0xfc, v3
	s_delay_alu instid0(VALU_DEP_2) | instskip(NEXT) | instid1(VALU_DEP_2)
	v_cmp_eq_u64_e32 vcc_lo, 0, v[0:1]
	v_and_or_b32 v0, v0, 3, v3
	s_and_b32 s7, s7, vcc_lo
	s_delay_alu instid0(VALU_DEP_1) | instid1(SALU_CYCLE_1)
	v_cndmask_b32_e64 v0, v0, 0, s7
	s_delay_alu instid0(VALU_DEP_1)
	v_or_b32_e32 v27, v0, v32
.LBB6_5887:                             ;   in Loop: Header=BB6_4897 Depth=2
	s_or_b32 exec_lo, exec_lo, s26
                                        ; implicit-def: $vgpr32
.LBB6_5888:                             ;   in Loop: Header=BB6_4897 Depth=2
	s_and_not1_saveexec_b32 s7, s25
; %bb.5889:                             ;   in Loop: Header=BB6_4897 Depth=2
	v_or_b32_e32 v27, 0x7b, v32
; %bb.5890:                             ;   in Loop: Header=BB6_4897 Depth=2
	s_or_b32 exec_lo, exec_lo, s7
                                        ; implicit-def: $vgpr0
                                        ; implicit-def: $vgpr1
.LBB6_5891:                             ;   in Loop: Header=BB6_4897 Depth=2
	s_and_not1_saveexec_b32 s7, s24
	s_cbranch_execz .LBB6_5897
; %bb.5892:                             ;   in Loop: Header=BB6_4897 Depth=2
	s_mov_b32 s24, exec_lo
                                        ; implicit-def: $vgpr27
	v_cmpx_ne_u64_e32 0, v[4:5]
	s_xor_b32 s24, exec_lo, s24
; %bb.5893:                             ;   in Loop: Header=BB6_4897 Depth=2
	v_or_b32_e32 v27, 0x7f, v1
                                        ; implicit-def: $vgpr0
; %bb.5894:                             ;   in Loop: Header=BB6_4897 Depth=2
	s_and_not1_saveexec_b32 s24, s24
; %bb.5895:                             ;   in Loop: Header=BB6_4897 Depth=2
	v_cmp_lt_i32_e32 vcc_lo, -1, v0
	v_cndmask_b32_e32 v27, 0xfc, v104, vcc_lo
; %bb.5896:                             ;   in Loop: Header=BB6_4897 Depth=2
	s_or_b32 exec_lo, exec_lo, s24
.LBB6_5897:                             ;   in Loop: Header=BB6_4897 Depth=2
	s_delay_alu instid0(SALU_CYCLE_1) | instskip(SKIP_3) | instid1(VALU_DEP_2)
	s_or_b32 exec_lo, exec_lo, s7
	v_lshrrev_b16 v0, 8, v34
	v_dual_mov_b32 v2, 0 :: v_dual_mov_b32 v3, 0
	s_mov_b32 s7, exec_lo
	v_cmpx_ne_u16_e32 0, v0
	s_cbranch_execz .LBB6_5907
; %bb.5898:                             ;   in Loop: Header=BB6_4897 Depth=2
	v_bfrev_b32_e32 v3, 1
	s_mov_b32 s24, exec_lo
	v_cmpx_ne_u16_e32 0x80, v0
	s_cbranch_execz .LBB6_5906
; %bb.5899:                             ;   in Loop: Header=BB6_4897 Depth=2
	v_and_b32_e32 v4, 0xffff, v0
	s_delay_alu instid0(VALU_DEP_1) | instskip(SKIP_1) | instid1(VALU_DEP_2)
	v_and_b32_e32 v3, 0x7c, v4
	v_and_b32_e32 v1, 3, v4
	v_cmp_ne_u32_e32 vcc_lo, 0x7c, v3
                                        ; implicit-def: $vgpr3
	s_and_saveexec_b32 s25, vcc_lo
	s_delay_alu instid0(SALU_CYCLE_1)
	s_xor_b32 s25, exec_lo, s25
	s_cbranch_execz .LBB6_5903
; %bb.5900:                             ;   in Loop: Header=BB6_4897 Depth=2
	v_bfe_u32 v3, v4, 2, 5
	s_mov_b32 s26, exec_lo
	s_delay_alu instid0(VALU_DEP_1)
	v_cmpx_eq_u32_e32 0, v3
	s_cbranch_execz .LBB6_5902
; %bb.5901:                             ;   in Loop: Header=BB6_4897 Depth=2
	v_clz_i32_u32_e32 v1, v1
	s_delay_alu instid0(VALU_DEP_1) | instskip(SKIP_1) | instid1(VALU_DEP_2)
	v_min_u32_e32 v3, 32, v1
	v_mov_b32_e32 v1, v5
	v_subrev_nc_u32_e32 v4, 29, v3
	v_sub_nc_u32_e32 v3, 30, v3
	s_delay_alu instid0(VALU_DEP_2) | instskip(NEXT) | instid1(VALU_DEP_1)
	v_lshlrev_b64_e32 v[0:1], v4, v[0:1]
	v_and_b32_e32 v1, 3, v0
.LBB6_5902:                             ;   in Loop: Header=BB6_4897 Depth=2
	s_or_b32 exec_lo, exec_lo, s26
	v_lshlrev_b32_e32 v0, 16, v34
	s_delay_alu instid0(VALU_DEP_1) | instskip(NEXT) | instid1(VALU_DEP_1)
	v_and_b32_e32 v0, 0x80000000, v0
	v_lshl_add_u32 v0, v3, 23, v0
	s_delay_alu instid0(VALU_DEP_1) | instskip(NEXT) | instid1(VALU_DEP_1)
	v_lshl_or_b32 v0, v1, 21, v0
                                        ; implicit-def: $vgpr1
	v_add_nc_u32_e32 v3, 0x38000000, v0
.LBB6_5903:                             ;   in Loop: Header=BB6_4897 Depth=2
	s_and_not1_saveexec_b32 s25, s25
; %bb.5904:                             ;   in Loop: Header=BB6_4897 Depth=2
	v_cmp_lt_i16_e32 vcc_lo, -1, v34
	v_cndmask_b32_e32 v0, 0xff800000, v105, vcc_lo
	v_cmp_eq_u32_e32 vcc_lo, 0, v1
	s_delay_alu instid0(VALU_DEP_2)
	v_cndmask_b32_e32 v3, 0x7f800001, v0, vcc_lo
; %bb.5905:                             ;   in Loop: Header=BB6_4897 Depth=2
	s_or_b32 exec_lo, exec_lo, s25
.LBB6_5906:                             ;   in Loop: Header=BB6_4897 Depth=2
	s_delay_alu instid0(SALU_CYCLE_1)
	s_or_b32 exec_lo, exec_lo, s24
.LBB6_5907:                             ;   in Loop: Header=BB6_4897 Depth=2
	s_delay_alu instid0(SALU_CYCLE_1) | instskip(SKIP_2) | instid1(VALU_DEP_1)
	s_or_b32 exec_lo, exec_lo, s7
	v_lshrrev_b16 v0, 8, v28
	s_mov_b32 s7, exec_lo
	v_cmpx_ne_u16_e32 0, v0
	s_cbranch_execz .LBB6_5917
; %bb.5908:                             ;   in Loop: Header=BB6_4897 Depth=2
	v_bfrev_b32_e32 v2, 1
	s_mov_b32 s24, exec_lo
	v_cmpx_ne_u16_e32 0x80, v0
	s_cbranch_execz .LBB6_5916
; %bb.5909:                             ;   in Loop: Header=BB6_4897 Depth=2
	v_and_b32_e32 v4, 0xffff, v0
	s_delay_alu instid0(VALU_DEP_1) | instskip(SKIP_1) | instid1(VALU_DEP_2)
	v_and_b32_e32 v2, 0x7c, v4
	v_and_b32_e32 v1, 3, v4
	v_cmp_ne_u32_e32 vcc_lo, 0x7c, v2
                                        ; implicit-def: $vgpr2
	s_and_saveexec_b32 s25, vcc_lo
	s_delay_alu instid0(SALU_CYCLE_1)
	s_xor_b32 s25, exec_lo, s25
	s_cbranch_execz .LBB6_5913
; %bb.5910:                             ;   in Loop: Header=BB6_4897 Depth=2
	v_bfe_u32 v2, v4, 2, 5
	s_mov_b32 s26, exec_lo
	s_delay_alu instid0(VALU_DEP_1)
	v_cmpx_eq_u32_e32 0, v2
	s_cbranch_execz .LBB6_5912
; %bb.5911:                             ;   in Loop: Header=BB6_4897 Depth=2
	v_clz_i32_u32_e32 v1, v1
	s_delay_alu instid0(VALU_DEP_1) | instskip(SKIP_1) | instid1(VALU_DEP_2)
	v_min_u32_e32 v2, 32, v1
	v_mov_b32_e32 v1, v5
	v_subrev_nc_u32_e32 v4, 29, v2
	v_sub_nc_u32_e32 v2, 30, v2
	s_delay_alu instid0(VALU_DEP_2) | instskip(NEXT) | instid1(VALU_DEP_1)
	v_lshlrev_b64_e32 v[0:1], v4, v[0:1]
	v_and_b32_e32 v1, 3, v0
.LBB6_5912:                             ;   in Loop: Header=BB6_4897 Depth=2
	s_or_b32 exec_lo, exec_lo, s26
	v_lshlrev_b32_e32 v0, 16, v28
	s_delay_alu instid0(VALU_DEP_1) | instskip(NEXT) | instid1(VALU_DEP_1)
	v_and_b32_e32 v0, 0x80000000, v0
	v_lshl_add_u32 v0, v2, 23, v0
	s_delay_alu instid0(VALU_DEP_1) | instskip(NEXT) | instid1(VALU_DEP_1)
	v_lshl_or_b32 v0, v1, 21, v0
                                        ; implicit-def: $vgpr1
	v_add_nc_u32_e32 v2, 0x38000000, v0
.LBB6_5913:                             ;   in Loop: Header=BB6_4897 Depth=2
	s_and_not1_saveexec_b32 s25, s25
; %bb.5914:                             ;   in Loop: Header=BB6_4897 Depth=2
	v_cmp_lt_i16_e32 vcc_lo, -1, v28
	v_cndmask_b32_e32 v0, 0xff800000, v105, vcc_lo
	v_cmp_eq_u32_e32 vcc_lo, 0, v1
	s_delay_alu instid0(VALU_DEP_2)
	v_cndmask_b32_e32 v2, 0x7f800001, v0, vcc_lo
; %bb.5915:                             ;   in Loop: Header=BB6_4897 Depth=2
	s_or_b32 exec_lo, exec_lo, s25
.LBB6_5916:                             ;   in Loop: Header=BB6_4897 Depth=2
	s_delay_alu instid0(SALU_CYCLE_1)
	s_or_b32 exec_lo, exec_lo, s24
.LBB6_5917:                             ;   in Loop: Header=BB6_4897 Depth=2
	s_delay_alu instid0(SALU_CYCLE_1) | instskip(NEXT) | instid1(VALU_DEP_1)
	s_or_b32 exec_lo, exec_lo, s7
	v_dual_mul_f32 v0, v3, v2 :: v_dual_mov_b32 v3, v5
                                        ; implicit-def: $vgpr32
	s_mov_b32 s7, exec_lo
	s_delay_alu instid0(VALU_DEP_1) | instskip(SKIP_2) | instid1(VALU_DEP_3)
	v_and_b32_e32 v2, 0x7f800000, v0
	v_and_b32_e32 v4, 0x7fffff, v0
	v_lshrrev_b32_e32 v1, 24, v0
	v_cmpx_ne_u64_e32 0x7f800000, v[2:3]
	s_xor_b32 s24, exec_lo, s7
	s_cbranch_execz .LBB6_5931
; %bb.5918:                             ;   in Loop: Header=BB6_4897 Depth=2
	v_and_b32_e32 v2, 0x7fffffff, v0
	v_mov_b32_e32 v3, v5
	v_and_b32_e32 v33, 0x80, v1
                                        ; implicit-def: $vgpr32
	s_mov_b32 s7, exec_lo
	s_delay_alu instid0(VALU_DEP_2)
	v_cmpx_gt_u64_e32 0x47600001, v[2:3]
	s_xor_b32 s25, exec_lo, s7
	s_cbranch_execz .LBB6_5928
; %bb.5919:                             ;   in Loop: Header=BB6_4897 Depth=2
	v_mov_b32_e32 v32, 0
	s_mov_b32 s26, exec_lo
	v_cmpx_ne_u32_e32 0, v0
	s_cbranch_execz .LBB6_5927
; %bb.5920:                             ;   in Loop: Header=BB6_4897 Depth=2
	v_bfe_u32 v32, v0, 23, 8
	v_or_b32_e32 v2, 0x800000, v4
	s_mov_b32 s27, exec_lo
	s_delay_alu instid0(VALU_DEP_2) | instskip(SKIP_1) | instid1(VALU_DEP_2)
	v_dual_mov_b32 v3, v5 :: v_dual_sub_nc_u32 v0, 0x71, v32
	v_cmp_gt_u32_e32 vcc_lo, 0x72, v32
	v_cndmask_b32_e32 v0, 0, v0, vcc_lo
	v_cmp_eq_u32_e32 vcc_lo, 0, v32
	s_delay_alu instid0(VALU_DEP_2) | instskip(NEXT) | instid1(VALU_DEP_1)
	v_cndmask_b32_e64 v70, v0, 0x70, vcc_lo
	v_dual_cndmask_b32 v2, v2, v4, vcc_lo :: v_dual_add_nc_u32 v0, 21, v70
	v_add_nc_u32_e32 v71, 20, v70
	s_delay_alu instid0(VALU_DEP_2) | instskip(NEXT) | instid1(VALU_DEP_2)
	v_lshlrev_b64_e64 v[0:1], v0, -1
	v_lshlrev_b64_e64 v[80:81], v71, 1
	s_delay_alu instid0(VALU_DEP_2) | instskip(NEXT) | instid1(VALU_DEP_3)
	v_bfi_b32 v83, v1, 0, 0
	v_bfi_b32 v82, v0, 0, v2
	v_lshrrev_b64 v[0:1], v70, v[2:3]
	s_delay_alu instid0(VALU_DEP_1) | instskip(NEXT) | instid1(VALU_DEP_3)
	v_mov_b64_e32 v[2:3], v[0:1]
	v_cmpx_eq_u64_e64 v[82:83], v[80:81]
; %bb.5921:                             ;   in Loop: Header=BB6_4897 Depth=2
	v_bfe_u32 v2, v0, 21, 1
	v_mov_b32_e32 v3, v5
	s_delay_alu instid0(VALU_DEP_1) | instskip(NEXT) | instid1(VALU_DEP_1)
	v_add_nc_u64_e32 v[2:3], v[0:1], v[2:3]
	v_add_nc_u64_e32 v[2:3], -1, v[2:3]
; %bb.5922:                             ;   in Loop: Header=BB6_4897 Depth=2
	s_or_b32 exec_lo, exec_lo, s27
	v_add_nc_u32_e32 v1, 0xffffff81, v32
	v_lshrrev_b32_e32 v3, 23, v0
	s_mov_b32 s7, exec_lo
	s_delay_alu instid0(VALU_DEP_2) | instskip(NEXT) | instid1(VALU_DEP_1)
	v_cndmask_b32_e64 v1, v1, 0xffffff82, vcc_lo
	v_add3_u32 v3, v70, v1, v3
	v_and_b32_e32 v1, 0x1fffff, v2
                                        ; implicit-def: $vgpr2
	s_delay_alu instid0(VALU_DEP_1) | instskip(NEXT) | instid1(VALU_DEP_1)
	v_dual_add_nc_u32 v32, 14, v3 :: v_dual_add_nc_u32 v4, v1, v0
                                        ; implicit-def: $vgpr0_vgpr1
	v_cmpx_ne_u32_e32 0, v32
	s_xor_b32 s7, exec_lo, s7
; %bb.5923:                             ;   in Loop: Header=BB6_4897 Depth=2
	s_delay_alu instid0(VALU_DEP_2) | instskip(SKIP_1) | instid1(VALU_DEP_1)
	v_cmp_lt_u64_e32 vcc_lo, 0xffffff, v[4:5]
	v_add_nc_u32_e32 v0, 15, v3
	v_cndmask_b32_e32 v2, v32, v0, vcc_lo
	v_cndmask_b32_e64 v0, 0, 1, vcc_lo
	s_delay_alu instid0(VALU_DEP_1)
	v_lshrrev_b64 v[0:1], v0, v[4:5]
; %bb.5924:                             ;   in Loop: Header=BB6_4897 Depth=2
	s_and_not1_saveexec_b32 s7, s7
; %bb.5925:                             ;   in Loop: Header=BB6_4897 Depth=2
	v_mov_b64_e32 v[0:1], v[4:5]
	v_bfe_u32 v2, v4, 23, 1
; %bb.5926:                             ;   in Loop: Header=BB6_4897 Depth=2
	s_or_b32 exec_lo, exec_lo, s7
	s_delay_alu instid0(VALU_DEP_2) | instskip(NEXT) | instid1(VALU_DEP_2)
	v_lshrrev_b64 v[0:1], 21, v[0:1]
	v_cmp_gt_i32_e32 vcc_lo, 32, v2
	v_min_i32_e32 v3, 31, v2
	v_cmp_eq_u32_e64 s7, 0, v2
	s_delay_alu instid0(VALU_DEP_2) | instskip(SKIP_1) | instid1(VALU_DEP_2)
	v_dual_cndmask_b32 v1, 0, v1, vcc_lo :: v_dual_lshlrev_b32 v3, 2, v3
	v_cndmask_b32_e32 v0, 3, v0, vcc_lo
	v_and_b32_e32 v3, 0xfc, v3
	s_delay_alu instid0(VALU_DEP_2) | instskip(NEXT) | instid1(VALU_DEP_2)
	v_cmp_eq_u64_e32 vcc_lo, 0, v[0:1]
	v_and_or_b32 v0, v0, 3, v3
	s_and_b32 s7, s7, vcc_lo
	s_delay_alu instid0(VALU_DEP_1) | instid1(SALU_CYCLE_1)
	v_cndmask_b32_e64 v0, v0, 0, s7
	s_delay_alu instid0(VALU_DEP_1)
	v_or_b32_e32 v32, v0, v33
.LBB6_5927:                             ;   in Loop: Header=BB6_4897 Depth=2
	s_or_b32 exec_lo, exec_lo, s26
                                        ; implicit-def: $vgpr33
.LBB6_5928:                             ;   in Loop: Header=BB6_4897 Depth=2
	s_and_not1_saveexec_b32 s7, s25
; %bb.5929:                             ;   in Loop: Header=BB6_4897 Depth=2
	v_or_b32_e32 v32, 0x7b, v33
; %bb.5930:                             ;   in Loop: Header=BB6_4897 Depth=2
	s_or_b32 exec_lo, exec_lo, s7
                                        ; implicit-def: $vgpr0
                                        ; implicit-def: $vgpr1
.LBB6_5931:                             ;   in Loop: Header=BB6_4897 Depth=2
	s_and_not1_saveexec_b32 s7, s24
	s_cbranch_execz .LBB6_5937
; %bb.5932:                             ;   in Loop: Header=BB6_4897 Depth=2
	s_mov_b32 s24, exec_lo
                                        ; implicit-def: $vgpr32
	v_cmpx_ne_u64_e32 0, v[4:5]
	s_xor_b32 s24, exec_lo, s24
; %bb.5933:                             ;   in Loop: Header=BB6_4897 Depth=2
	v_or_b32_e32 v32, 0x7f, v1
                                        ; implicit-def: $vgpr0
; %bb.5934:                             ;   in Loop: Header=BB6_4897 Depth=2
	s_and_not1_saveexec_b32 s24, s24
; %bb.5935:                             ;   in Loop: Header=BB6_4897 Depth=2
	v_cmp_lt_i32_e32 vcc_lo, -1, v0
	v_cndmask_b32_e32 v32, 0xfc, v104, vcc_lo
; %bb.5936:                             ;   in Loop: Header=BB6_4897 Depth=2
	s_or_b32 exec_lo, exec_lo, s24
.LBB6_5937:                             ;   in Loop: Header=BB6_4897 Depth=2
	s_delay_alu instid0(SALU_CYCLE_1) | instskip(SKIP_3) | instid1(VALU_DEP_2)
	s_or_b32 exec_lo, exec_lo, s7
	v_dual_mov_b32 v1, 0 :: v_dual_lshrrev_b32 v0, 16, v34
	v_mov_b32_e32 v2, 0
	s_mov_b32 s7, exec_lo
	v_and_b32_e32 v3, 0xff, v0
	s_delay_alu instid0(VALU_DEP_1)
	v_cmpx_ne_u16_e32 0, v3
	s_cbranch_execz .LBB6_5947
; %bb.5938:                             ;   in Loop: Header=BB6_4897 Depth=2
	v_bfrev_b32_e32 v2, 1
	s_mov_b32 s24, exec_lo
	v_cmpx_ne_u16_e32 0x80, v3
	s_cbranch_execz .LBB6_5946
; %bb.5939:                             ;   in Loop: Header=BB6_4897 Depth=2
	v_and_b32_e32 v2, 0x7c0000, v34
	v_bfe_u32 v3, v34, 16, 2
	s_delay_alu instid0(VALU_DEP_2) | instskip(SKIP_1) | instid1(SALU_CYCLE_1)
	v_cmp_ne_u32_e32 vcc_lo, 0x7c0000, v2
                                        ; implicit-def: $vgpr2
	s_and_saveexec_b32 s25, vcc_lo
	s_xor_b32 s25, exec_lo, s25
	s_cbranch_execz .LBB6_5943
; %bb.5940:                             ;   in Loop: Header=BB6_4897 Depth=2
	v_bfe_u32 v2, v34, 18, 5
	s_mov_b32 s26, exec_lo
	s_delay_alu instid0(VALU_DEP_1)
	v_cmpx_eq_u32_e32 0, v2
; %bb.5941:                             ;   in Loop: Header=BB6_4897 Depth=2
	v_clz_i32_u32_e32 v2, v3
	s_delay_alu instid0(VALU_DEP_1) | instskip(NEXT) | instid1(VALU_DEP_1)
	v_min_u32_e32 v2, 32, v2
	v_subrev_nc_u32_e32 v3, 29, v2
	v_sub_nc_u32_e32 v2, 30, v2
	s_delay_alu instid0(VALU_DEP_2) | instskip(NEXT) | instid1(VALU_DEP_1)
	v_lshlrev_b64_e32 v[70:71], v3, v[0:1]
	v_and_b32_e32 v3, 3, v70
; %bb.5942:                             ;   in Loop: Header=BB6_4897 Depth=2
	s_or_b32 exec_lo, exec_lo, s26
	v_lshlrev_b32_e32 v0, 24, v0
	s_delay_alu instid0(VALU_DEP_1) | instskip(NEXT) | instid1(VALU_DEP_1)
	v_and_b32_e32 v0, 0x80000000, v0
	v_lshl_add_u32 v0, v2, 23, v0
	s_delay_alu instid0(VALU_DEP_1) | instskip(NEXT) | instid1(VALU_DEP_1)
	v_lshl_or_b32 v0, v3, 21, v0
                                        ; implicit-def: $vgpr3
	v_add_nc_u32_e32 v2, 0x38000000, v0
                                        ; implicit-def: $vgpr0
.LBB6_5943:                             ;   in Loop: Header=BB6_4897 Depth=2
	s_and_not1_saveexec_b32 s25, s25
; %bb.5944:                             ;   in Loop: Header=BB6_4897 Depth=2
	v_bfe_i32 v0, v0, 0, 8
	s_delay_alu instid0(VALU_DEP_1) | instskip(SKIP_2) | instid1(VALU_DEP_2)
	v_cmp_lt_i16_e32 vcc_lo, -1, v0
	v_cndmask_b32_e32 v0, 0xff800000, v105, vcc_lo
	v_cmp_eq_u32_e32 vcc_lo, 0, v3
	v_cndmask_b32_e32 v2, 0x7f800001, v0, vcc_lo
; %bb.5945:                             ;   in Loop: Header=BB6_4897 Depth=2
	s_or_b32 exec_lo, exec_lo, s25
.LBB6_5946:                             ;   in Loop: Header=BB6_4897 Depth=2
	s_delay_alu instid0(SALU_CYCLE_1)
	s_or_b32 exec_lo, exec_lo, s24
.LBB6_5947:                             ;   in Loop: Header=BB6_4897 Depth=2
	s_delay_alu instid0(SALU_CYCLE_1) | instskip(SKIP_2) | instid1(VALU_DEP_1)
	s_or_b32 exec_lo, exec_lo, s7
	v_lshrrev_b32_e32 v0, 16, v28
	s_mov_b32 s7, exec_lo
	v_and_b32_e32 v3, 0xff, v0
	s_delay_alu instid0(VALU_DEP_1)
	v_cmpx_ne_u16_e32 0, v3
	s_cbranch_execz .LBB6_5957
; %bb.5948:                             ;   in Loop: Header=BB6_4897 Depth=2
	v_bfrev_b32_e32 v1, 1
	s_mov_b32 s24, exec_lo
	v_cmpx_ne_u16_e32 0x80, v3
	s_cbranch_execz .LBB6_5956
; %bb.5949:                             ;   in Loop: Header=BB6_4897 Depth=2
	v_and_b32_e32 v1, 0x7c0000, v28
	v_bfe_u32 v3, v28, 16, 2
	s_delay_alu instid0(VALU_DEP_2) | instskip(SKIP_1) | instid1(SALU_CYCLE_1)
	v_cmp_ne_u32_e32 vcc_lo, 0x7c0000, v1
                                        ; implicit-def: $vgpr1
	s_and_saveexec_b32 s25, vcc_lo
	s_xor_b32 s25, exec_lo, s25
	s_cbranch_execz .LBB6_5953
; %bb.5950:                             ;   in Loop: Header=BB6_4897 Depth=2
	v_bfe_u32 v1, v28, 18, 5
	s_mov_b32 s26, exec_lo
	s_delay_alu instid0(VALU_DEP_1)
	v_cmpx_eq_u32_e32 0, v1
; %bb.5951:                             ;   in Loop: Header=BB6_4897 Depth=2
	v_clz_i32_u32_e32 v1, v3
	s_delay_alu instid0(VALU_DEP_1) | instskip(NEXT) | instid1(VALU_DEP_1)
	v_min_u32_e32 v1, 32, v1
	v_subrev_nc_u32_e32 v3, 29, v1
	s_delay_alu instid0(VALU_DEP_1) | instskip(NEXT) | instid1(VALU_DEP_1)
	v_lshlrev_b64_e32 v[70:71], v3, v[0:1]
	v_dual_sub_nc_u32 v1, 30, v1 :: v_dual_bitop2_b32 v3, 3, v70 bitop3:0x40
; %bb.5952:                             ;   in Loop: Header=BB6_4897 Depth=2
	s_or_b32 exec_lo, exec_lo, s26
	v_lshlrev_b32_e32 v0, 24, v0
	s_delay_alu instid0(VALU_DEP_1) | instskip(NEXT) | instid1(VALU_DEP_1)
	v_and_b32_e32 v0, 0x80000000, v0
	v_lshl_add_u32 v0, v1, 23, v0
	s_delay_alu instid0(VALU_DEP_1) | instskip(NEXT) | instid1(VALU_DEP_1)
	v_lshl_or_b32 v0, v3, 21, v0
                                        ; implicit-def: $vgpr3
	v_add_nc_u32_e32 v1, 0x38000000, v0
                                        ; implicit-def: $vgpr0
.LBB6_5953:                             ;   in Loop: Header=BB6_4897 Depth=2
	s_and_not1_saveexec_b32 s25, s25
; %bb.5954:                             ;   in Loop: Header=BB6_4897 Depth=2
	v_bfe_i32 v0, v0, 0, 8
	s_delay_alu instid0(VALU_DEP_1) | instskip(SKIP_2) | instid1(VALU_DEP_2)
	v_cmp_lt_i16_e32 vcc_lo, -1, v0
	v_cndmask_b32_e32 v0, 0xff800000, v105, vcc_lo
	v_cmp_eq_u32_e32 vcc_lo, 0, v3
	v_cndmask_b32_e32 v1, 0x7f800001, v0, vcc_lo
; %bb.5955:                             ;   in Loop: Header=BB6_4897 Depth=2
	s_or_b32 exec_lo, exec_lo, s25
.LBB6_5956:                             ;   in Loop: Header=BB6_4897 Depth=2
	s_delay_alu instid0(SALU_CYCLE_1)
	s_or_b32 exec_lo, exec_lo, s24
.LBB6_5957:                             ;   in Loop: Header=BB6_4897 Depth=2
	s_delay_alu instid0(SALU_CYCLE_1) | instskip(NEXT) | instid1(VALU_DEP_1)
	s_or_b32 exec_lo, exec_lo, s7
	v_dual_mul_f32 v0, v2, v1 :: v_dual_mov_b32 v3, v5
                                        ; implicit-def: $vgpr33
	s_mov_b32 s7, exec_lo
	s_delay_alu instid0(VALU_DEP_1) | instskip(SKIP_2) | instid1(VALU_DEP_3)
	v_and_b32_e32 v2, 0x7f800000, v0
	v_and_b32_e32 v4, 0x7fffff, v0
	v_lshrrev_b32_e32 v1, 24, v0
	v_cmpx_ne_u64_e32 0x7f800000, v[2:3]
	s_xor_b32 s24, exec_lo, s7
	s_cbranch_execz .LBB6_5971
; %bb.5958:                             ;   in Loop: Header=BB6_4897 Depth=2
	v_and_b32_e32 v2, 0x7fffffff, v0
	v_mov_b32_e32 v3, v5
	v_and_b32_e32 v70, 0x80, v1
                                        ; implicit-def: $vgpr33
	s_mov_b32 s7, exec_lo
	s_delay_alu instid0(VALU_DEP_2)
	v_cmpx_gt_u64_e32 0x47600001, v[2:3]
	s_xor_b32 s25, exec_lo, s7
	s_cbranch_execz .LBB6_5968
; %bb.5959:                             ;   in Loop: Header=BB6_4897 Depth=2
	v_mov_b32_e32 v33, 0
	s_mov_b32 s26, exec_lo
	v_cmpx_ne_u32_e32 0, v0
	s_cbranch_execz .LBB6_5967
; %bb.5960:                             ;   in Loop: Header=BB6_4897 Depth=2
	v_bfe_u32 v33, v0, 23, 8
	v_or_b32_e32 v2, 0x800000, v4
	s_mov_b32 s27, exec_lo
	s_delay_alu instid0(VALU_DEP_2) | instskip(SKIP_1) | instid1(VALU_DEP_2)
	v_dual_mov_b32 v3, v5 :: v_dual_sub_nc_u32 v0, 0x71, v33
	v_cmp_gt_u32_e32 vcc_lo, 0x72, v33
	v_cndmask_b32_e32 v0, 0, v0, vcc_lo
	v_cmp_eq_u32_e32 vcc_lo, 0, v33
	s_delay_alu instid0(VALU_DEP_2) | instskip(NEXT) | instid1(VALU_DEP_1)
	v_cndmask_b32_e64 v71, v0, 0x70, vcc_lo
	v_dual_cndmask_b32 v2, v2, v4, vcc_lo :: v_dual_add_nc_u32 v0, 21, v71
	v_add_nc_u32_e32 v80, 20, v71
	s_delay_alu instid0(VALU_DEP_2) | instskip(NEXT) | instid1(VALU_DEP_2)
	v_lshlrev_b64_e64 v[0:1], v0, -1
	v_lshlrev_b64_e64 v[80:81], v80, 1
	s_delay_alu instid0(VALU_DEP_2) | instskip(NEXT) | instid1(VALU_DEP_3)
	v_bfi_b32 v83, v1, 0, 0
	v_bfi_b32 v82, v0, 0, v2
	v_lshrrev_b64 v[0:1], v71, v[2:3]
	s_delay_alu instid0(VALU_DEP_1) | instskip(NEXT) | instid1(VALU_DEP_3)
	v_mov_b64_e32 v[2:3], v[0:1]
	v_cmpx_eq_u64_e64 v[82:83], v[80:81]
; %bb.5961:                             ;   in Loop: Header=BB6_4897 Depth=2
	v_bfe_u32 v2, v0, 21, 1
	v_mov_b32_e32 v3, v5
	s_delay_alu instid0(VALU_DEP_1) | instskip(NEXT) | instid1(VALU_DEP_1)
	v_add_nc_u64_e32 v[2:3], v[0:1], v[2:3]
	v_add_nc_u64_e32 v[2:3], -1, v[2:3]
; %bb.5962:                             ;   in Loop: Header=BB6_4897 Depth=2
	s_or_b32 exec_lo, exec_lo, s27
	v_add_nc_u32_e32 v1, 0xffffff81, v33
	v_lshrrev_b32_e32 v3, 23, v0
	s_mov_b32 s7, exec_lo
	s_delay_alu instid0(VALU_DEP_2) | instskip(NEXT) | instid1(VALU_DEP_1)
	v_cndmask_b32_e64 v1, v1, 0xffffff82, vcc_lo
	v_add3_u32 v3, v71, v1, v3
	v_and_b32_e32 v1, 0x1fffff, v2
                                        ; implicit-def: $vgpr2
	s_delay_alu instid0(VALU_DEP_1) | instskip(NEXT) | instid1(VALU_DEP_1)
	v_dual_add_nc_u32 v33, 14, v3 :: v_dual_add_nc_u32 v4, v1, v0
                                        ; implicit-def: $vgpr0_vgpr1
	v_cmpx_ne_u32_e32 0, v33
	s_xor_b32 s7, exec_lo, s7
; %bb.5963:                             ;   in Loop: Header=BB6_4897 Depth=2
	s_delay_alu instid0(VALU_DEP_2) | instskip(SKIP_1) | instid1(VALU_DEP_1)
	v_cmp_lt_u64_e32 vcc_lo, 0xffffff, v[4:5]
	v_add_nc_u32_e32 v0, 15, v3
	v_cndmask_b32_e32 v2, v33, v0, vcc_lo
	v_cndmask_b32_e64 v0, 0, 1, vcc_lo
	s_delay_alu instid0(VALU_DEP_1)
	v_lshrrev_b64 v[0:1], v0, v[4:5]
; %bb.5964:                             ;   in Loop: Header=BB6_4897 Depth=2
	s_and_not1_saveexec_b32 s7, s7
; %bb.5965:                             ;   in Loop: Header=BB6_4897 Depth=2
	v_mov_b64_e32 v[0:1], v[4:5]
	v_bfe_u32 v2, v4, 23, 1
; %bb.5966:                             ;   in Loop: Header=BB6_4897 Depth=2
	s_or_b32 exec_lo, exec_lo, s7
	s_delay_alu instid0(VALU_DEP_2) | instskip(NEXT) | instid1(VALU_DEP_2)
	v_lshrrev_b64 v[0:1], 21, v[0:1]
	v_cmp_gt_i32_e32 vcc_lo, 32, v2
	v_min_i32_e32 v3, 31, v2
	v_cmp_eq_u32_e64 s7, 0, v2
	s_delay_alu instid0(VALU_DEP_2) | instskip(SKIP_1) | instid1(VALU_DEP_2)
	v_dual_cndmask_b32 v1, 0, v1, vcc_lo :: v_dual_lshlrev_b32 v3, 2, v3
	v_cndmask_b32_e32 v0, 3, v0, vcc_lo
	v_and_b32_e32 v3, 0xfc, v3
	s_delay_alu instid0(VALU_DEP_2) | instskip(NEXT) | instid1(VALU_DEP_2)
	v_cmp_eq_u64_e32 vcc_lo, 0, v[0:1]
	v_and_or_b32 v0, v0, 3, v3
	s_and_b32 s7, s7, vcc_lo
	s_delay_alu instid0(VALU_DEP_1) | instid1(SALU_CYCLE_1)
	v_cndmask_b32_e64 v0, v0, 0, s7
	s_delay_alu instid0(VALU_DEP_1)
	v_or_b32_e32 v33, v0, v70
.LBB6_5967:                             ;   in Loop: Header=BB6_4897 Depth=2
	s_or_b32 exec_lo, exec_lo, s26
                                        ; implicit-def: $vgpr70
.LBB6_5968:                             ;   in Loop: Header=BB6_4897 Depth=2
	s_and_not1_saveexec_b32 s7, s25
; %bb.5969:                             ;   in Loop: Header=BB6_4897 Depth=2
	v_or_b32_e32 v33, 0x7b, v70
; %bb.5970:                             ;   in Loop: Header=BB6_4897 Depth=2
	s_or_b32 exec_lo, exec_lo, s7
                                        ; implicit-def: $vgpr0
                                        ; implicit-def: $vgpr1
.LBB6_5971:                             ;   in Loop: Header=BB6_4897 Depth=2
	s_and_not1_saveexec_b32 s7, s24
	s_cbranch_execz .LBB6_5977
; %bb.5972:                             ;   in Loop: Header=BB6_4897 Depth=2
	s_mov_b32 s24, exec_lo
                                        ; implicit-def: $vgpr33
	v_cmpx_ne_u64_e32 0, v[4:5]
	s_xor_b32 s24, exec_lo, s24
; %bb.5973:                             ;   in Loop: Header=BB6_4897 Depth=2
	v_or_b32_e32 v33, 0x7f, v1
                                        ; implicit-def: $vgpr0
; %bb.5974:                             ;   in Loop: Header=BB6_4897 Depth=2
	s_and_not1_saveexec_b32 s24, s24
; %bb.5975:                             ;   in Loop: Header=BB6_4897 Depth=2
	v_cmp_lt_i32_e32 vcc_lo, -1, v0
	v_cndmask_b32_e32 v33, 0xfc, v104, vcc_lo
; %bb.5976:                             ;   in Loop: Header=BB6_4897 Depth=2
	s_or_b32 exec_lo, exec_lo, s24
.LBB6_5977:                             ;   in Loop: Header=BB6_4897 Depth=2
	s_delay_alu instid0(SALU_CYCLE_1)
	s_or_b32 exec_lo, exec_lo, s7
	v_dual_mov_b32 v1, 0 :: v_dual_mov_b32 v2, 0
	s_mov_b32 s7, exec_lo
	v_cmpx_lt_u32_e32 0xffffff, v34
	s_cbranch_execz .LBB6_5987
; %bb.5978:                             ;   in Loop: Header=BB6_4897 Depth=2
	v_lshrrev_b32_e32 v0, 24, v34
	v_bfrev_b32_e32 v2, 1
	s_mov_b32 s24, exec_lo
	s_delay_alu instid0(VALU_DEP_2)
	v_cmpx_ne_u32_e32 0x80, v0
	s_cbranch_execz .LBB6_5986
; %bb.5979:                             ;   in Loop: Header=BB6_4897 Depth=2
	v_and_b32_e32 v2, 0x7c000000, v34
	v_bfe_u32 v3, v34, 24, 2
	s_delay_alu instid0(VALU_DEP_2) | instskip(SKIP_1) | instid1(SALU_CYCLE_1)
	v_cmp_ne_u32_e32 vcc_lo, 0x7c000000, v2
                                        ; implicit-def: $vgpr2
	s_and_saveexec_b32 s25, vcc_lo
	s_xor_b32 s25, exec_lo, s25
	s_cbranch_execz .LBB6_5983
; %bb.5980:                             ;   in Loop: Header=BB6_4897 Depth=2
	v_bfe_u32 v2, v34, 26, 5
	s_mov_b32 s26, exec_lo
	s_delay_alu instid0(VALU_DEP_1)
	v_cmpx_eq_u32_e32 0, v2
; %bb.5981:                             ;   in Loop: Header=BB6_4897 Depth=2
	v_clz_i32_u32_e32 v2, v3
	s_delay_alu instid0(VALU_DEP_1) | instskip(NEXT) | instid1(VALU_DEP_1)
	v_min_u32_e32 v2, 32, v2
	v_subrev_nc_u32_e32 v3, 29, v2
	v_sub_nc_u32_e32 v2, 30, v2
	s_delay_alu instid0(VALU_DEP_2) | instskip(NEXT) | instid1(VALU_DEP_1)
	v_lshlrev_b64_e32 v[70:71], v3, v[0:1]
	v_and_b32_e32 v3, 3, v70
; %bb.5982:                             ;   in Loop: Header=BB6_4897 Depth=2
	s_or_b32 exec_lo, exec_lo, s26
	v_and_b32_e32 v0, 0x80000000, v34
	s_delay_alu instid0(VALU_DEP_1) | instskip(NEXT) | instid1(VALU_DEP_1)
	v_lshl_add_u32 v0, v2, 23, v0
	v_lshl_or_b32 v0, v3, 21, v0
                                        ; implicit-def: $vgpr3
	s_delay_alu instid0(VALU_DEP_1)
	v_add_nc_u32_e32 v2, 0x38000000, v0
.LBB6_5983:                             ;   in Loop: Header=BB6_4897 Depth=2
	s_and_not1_saveexec_b32 s25, s25
; %bb.5984:                             ;   in Loop: Header=BB6_4897 Depth=2
	v_cmp_lt_i32_e32 vcc_lo, -1, v34
	v_cndmask_b32_e32 v0, 0xff800000, v105, vcc_lo
	v_cmp_eq_u32_e32 vcc_lo, 0, v3
	s_delay_alu instid0(VALU_DEP_2)
	v_cndmask_b32_e32 v2, 0x7f800001, v0, vcc_lo
; %bb.5985:                             ;   in Loop: Header=BB6_4897 Depth=2
	s_or_b32 exec_lo, exec_lo, s25
.LBB6_5986:                             ;   in Loop: Header=BB6_4897 Depth=2
	s_delay_alu instid0(SALU_CYCLE_1)
	s_or_b32 exec_lo, exec_lo, s24
.LBB6_5987:                             ;   in Loop: Header=BB6_4897 Depth=2
	s_delay_alu instid0(SALU_CYCLE_1) | instskip(NEXT) | instid1(SALU_CYCLE_1)
	s_or_b32 exec_lo, exec_lo, s7
	s_mov_b32 s7, exec_lo
	v_cmpx_lt_u32_e32 0xffffff, v28
	s_cbranch_execz .LBB6_5997
; %bb.5988:                             ;   in Loop: Header=BB6_4897 Depth=2
	v_lshrrev_b32_e32 v0, 24, v28
	v_bfrev_b32_e32 v1, 1
	s_mov_b32 s24, exec_lo
	s_delay_alu instid0(VALU_DEP_2)
	v_cmpx_ne_u32_e32 0x80, v0
	s_cbranch_execz .LBB6_5996
; %bb.5989:                             ;   in Loop: Header=BB6_4897 Depth=2
	v_and_b32_e32 v1, 0x7c000000, v28
	v_bfe_u32 v3, v28, 24, 2
	s_delay_alu instid0(VALU_DEP_2) | instskip(SKIP_1) | instid1(SALU_CYCLE_1)
	v_cmp_ne_u32_e32 vcc_lo, 0x7c000000, v1
                                        ; implicit-def: $vgpr1
	s_and_saveexec_b32 s25, vcc_lo
	s_xor_b32 s25, exec_lo, s25
	s_cbranch_execz .LBB6_5993
; %bb.5990:                             ;   in Loop: Header=BB6_4897 Depth=2
	v_bfe_u32 v1, v28, 26, 5
	s_mov_b32 s26, exec_lo
	s_delay_alu instid0(VALU_DEP_1)
	v_cmpx_eq_u32_e32 0, v1
; %bb.5991:                             ;   in Loop: Header=BB6_4897 Depth=2
	v_clz_i32_u32_e32 v1, v3
	s_delay_alu instid0(VALU_DEP_1) | instskip(NEXT) | instid1(VALU_DEP_1)
	v_min_u32_e32 v3, 32, v1
	v_subrev_nc_u32_e32 v1, 29, v3
	s_delay_alu instid0(VALU_DEP_1) | instskip(NEXT) | instid1(VALU_DEP_1)
	v_lshlrev_b64_e32 v[0:1], v1, v[0:1]
	v_dual_sub_nc_u32 v1, 30, v3 :: v_dual_bitop2_b32 v3, 3, v0 bitop3:0x40
; %bb.5992:                             ;   in Loop: Header=BB6_4897 Depth=2
	s_or_b32 exec_lo, exec_lo, s26
	v_and_b32_e32 v0, 0x80000000, v28
	s_delay_alu instid0(VALU_DEP_1) | instskip(NEXT) | instid1(VALU_DEP_1)
	v_lshl_add_u32 v0, v1, 23, v0
	v_lshl_or_b32 v0, v3, 21, v0
                                        ; implicit-def: $vgpr3
	s_delay_alu instid0(VALU_DEP_1)
	v_add_nc_u32_e32 v1, 0x38000000, v0
.LBB6_5993:                             ;   in Loop: Header=BB6_4897 Depth=2
	s_and_not1_saveexec_b32 s25, s25
; %bb.5994:                             ;   in Loop: Header=BB6_4897 Depth=2
	v_cmp_lt_i32_e32 vcc_lo, -1, v28
	v_cndmask_b32_e32 v0, 0xff800000, v105, vcc_lo
	v_cmp_eq_u32_e32 vcc_lo, 0, v3
	s_delay_alu instid0(VALU_DEP_2)
	v_cndmask_b32_e32 v1, 0x7f800001, v0, vcc_lo
; %bb.5995:                             ;   in Loop: Header=BB6_4897 Depth=2
	s_or_b32 exec_lo, exec_lo, s25
.LBB6_5996:                             ;   in Loop: Header=BB6_4897 Depth=2
	s_delay_alu instid0(SALU_CYCLE_1)
	s_or_b32 exec_lo, exec_lo, s24
.LBB6_5997:                             ;   in Loop: Header=BB6_4897 Depth=2
	s_delay_alu instid0(SALU_CYCLE_1) | instskip(NEXT) | instid1(VALU_DEP_1)
	s_or_b32 exec_lo, exec_lo, s7
	v_dual_mul_f32 v0, v2, v1 :: v_dual_mov_b32 v3, v5
                                        ; implicit-def: $vgpr70
	s_mov_b32 s7, exec_lo
	s_delay_alu instid0(VALU_DEP_1) | instskip(SKIP_2) | instid1(VALU_DEP_3)
	v_and_b32_e32 v2, 0x7f800000, v0
	v_and_b32_e32 v4, 0x7fffff, v0
	v_lshrrev_b32_e32 v1, 24, v0
	v_cmpx_ne_u64_e32 0x7f800000, v[2:3]
	s_xor_b32 s24, exec_lo, s7
	s_cbranch_execz .LBB6_6011
; %bb.5998:                             ;   in Loop: Header=BB6_4897 Depth=2
	v_and_b32_e32 v2, 0x7fffffff, v0
	v_mov_b32_e32 v3, v5
	v_and_b32_e32 v71, 0x80, v1
                                        ; implicit-def: $vgpr70
	s_mov_b32 s7, exec_lo
	s_delay_alu instid0(VALU_DEP_2)
	v_cmpx_gt_u64_e32 0x47600001, v[2:3]
	s_xor_b32 s25, exec_lo, s7
	s_cbranch_execz .LBB6_6008
; %bb.5999:                             ;   in Loop: Header=BB6_4897 Depth=2
	v_mov_b32_e32 v70, 0
	s_mov_b32 s26, exec_lo
	v_cmpx_ne_u32_e32 0, v0
	s_cbranch_execz .LBB6_6007
; %bb.6000:                             ;   in Loop: Header=BB6_4897 Depth=2
	v_bfe_u32 v70, v0, 23, 8
	v_or_b32_e32 v2, 0x800000, v4
	s_mov_b32 s27, exec_lo
	s_delay_alu instid0(VALU_DEP_2) | instskip(SKIP_1) | instid1(VALU_DEP_2)
	v_dual_mov_b32 v3, v5 :: v_dual_sub_nc_u32 v0, 0x71, v70
	v_cmp_gt_u32_e32 vcc_lo, 0x72, v70
	v_cndmask_b32_e32 v0, 0, v0, vcc_lo
	v_cmp_eq_u32_e32 vcc_lo, 0, v70
	s_delay_alu instid0(VALU_DEP_2) | instskip(SKIP_1) | instid1(VALU_DEP_2)
	v_cndmask_b32_e64 v80, v0, 0x70, vcc_lo
	v_cndmask_b32_e32 v2, v2, v4, vcc_lo
	v_dual_add_nc_u32 v0, 21, v80 :: v_dual_add_nc_u32 v81, 20, v80
	s_delay_alu instid0(VALU_DEP_1) | instskip(NEXT) | instid1(VALU_DEP_2)
	v_lshlrev_b64_e64 v[0:1], v0, -1
	v_lshlrev_b64_e64 v[82:83], v81, 1
	s_delay_alu instid0(VALU_DEP_2) | instskip(NEXT) | instid1(VALU_DEP_3)
	v_bfi_b32 v85, v1, 0, 0
	v_bfi_b32 v84, v0, 0, v2
	v_lshrrev_b64 v[0:1], v80, v[2:3]
	s_delay_alu instid0(VALU_DEP_1) | instskip(NEXT) | instid1(VALU_DEP_3)
	v_mov_b64_e32 v[2:3], v[0:1]
	v_cmpx_eq_u64_e64 v[84:85], v[82:83]
; %bb.6001:                             ;   in Loop: Header=BB6_4897 Depth=2
	v_bfe_u32 v2, v0, 21, 1
	v_mov_b32_e32 v3, v5
	s_delay_alu instid0(VALU_DEP_1) | instskip(NEXT) | instid1(VALU_DEP_1)
	v_add_nc_u64_e32 v[2:3], v[0:1], v[2:3]
	v_add_nc_u64_e32 v[2:3], -1, v[2:3]
; %bb.6002:                             ;   in Loop: Header=BB6_4897 Depth=2
	s_or_b32 exec_lo, exec_lo, s27
	v_add_nc_u32_e32 v1, 0xffffff81, v70
	v_lshrrev_b32_e32 v3, 23, v0
	s_mov_b32 s7, exec_lo
	s_delay_alu instid0(VALU_DEP_2) | instskip(NEXT) | instid1(VALU_DEP_1)
	v_cndmask_b32_e64 v1, v1, 0xffffff82, vcc_lo
	v_add3_u32 v3, v80, v1, v3
	v_and_b32_e32 v1, 0x1fffff, v2
                                        ; implicit-def: $vgpr2
	s_delay_alu instid0(VALU_DEP_1) | instskip(NEXT) | instid1(VALU_DEP_1)
	v_dual_add_nc_u32 v70, 14, v3 :: v_dual_add_nc_u32 v4, v1, v0
                                        ; implicit-def: $vgpr0_vgpr1
	v_cmpx_ne_u32_e32 0, v70
	s_xor_b32 s7, exec_lo, s7
; %bb.6003:                             ;   in Loop: Header=BB6_4897 Depth=2
	s_delay_alu instid0(VALU_DEP_2) | instskip(SKIP_1) | instid1(VALU_DEP_1)
	v_cmp_lt_u64_e32 vcc_lo, 0xffffff, v[4:5]
	v_add_nc_u32_e32 v0, 15, v3
	v_cndmask_b32_e32 v2, v70, v0, vcc_lo
	v_cndmask_b32_e64 v0, 0, 1, vcc_lo
	s_delay_alu instid0(VALU_DEP_1)
	v_lshrrev_b64 v[0:1], v0, v[4:5]
; %bb.6004:                             ;   in Loop: Header=BB6_4897 Depth=2
	s_and_not1_saveexec_b32 s7, s7
; %bb.6005:                             ;   in Loop: Header=BB6_4897 Depth=2
	v_mov_b64_e32 v[0:1], v[4:5]
	v_bfe_u32 v2, v4, 23, 1
; %bb.6006:                             ;   in Loop: Header=BB6_4897 Depth=2
	s_or_b32 exec_lo, exec_lo, s7
	s_delay_alu instid0(VALU_DEP_2) | instskip(NEXT) | instid1(VALU_DEP_2)
	v_lshrrev_b64 v[0:1], 21, v[0:1]
	v_cmp_gt_i32_e32 vcc_lo, 32, v2
	v_min_i32_e32 v3, 31, v2
	v_cmp_eq_u32_e64 s7, 0, v2
	s_delay_alu instid0(VALU_DEP_2) | instskip(SKIP_1) | instid1(VALU_DEP_2)
	v_dual_cndmask_b32 v1, 0, v1, vcc_lo :: v_dual_lshlrev_b32 v3, 2, v3
	v_cndmask_b32_e32 v0, 3, v0, vcc_lo
	v_and_b32_e32 v3, 0xfc, v3
	s_delay_alu instid0(VALU_DEP_2) | instskip(NEXT) | instid1(VALU_DEP_2)
	v_cmp_eq_u64_e32 vcc_lo, 0, v[0:1]
	v_and_or_b32 v0, v0, 3, v3
	s_and_b32 s7, s7, vcc_lo
	s_delay_alu instid0(VALU_DEP_1) | instid1(SALU_CYCLE_1)
	v_cndmask_b32_e64 v0, v0, 0, s7
	s_delay_alu instid0(VALU_DEP_1)
	v_or_b32_e32 v70, v0, v71
.LBB6_6007:                             ;   in Loop: Header=BB6_4897 Depth=2
	s_or_b32 exec_lo, exec_lo, s26
                                        ; implicit-def: $vgpr71
.LBB6_6008:                             ;   in Loop: Header=BB6_4897 Depth=2
	s_and_not1_saveexec_b32 s7, s25
; %bb.6009:                             ;   in Loop: Header=BB6_4897 Depth=2
	v_or_b32_e32 v70, 0x7b, v71
; %bb.6010:                             ;   in Loop: Header=BB6_4897 Depth=2
	s_or_b32 exec_lo, exec_lo, s7
                                        ; implicit-def: $vgpr0
                                        ; implicit-def: $vgpr1
.LBB6_6011:                             ;   in Loop: Header=BB6_4897 Depth=2
	s_and_not1_saveexec_b32 s7, s24
	s_cbranch_execz .LBB6_6017
; %bb.6012:                             ;   in Loop: Header=BB6_4897 Depth=2
	s_mov_b32 s24, exec_lo
                                        ; implicit-def: $vgpr70
	v_cmpx_ne_u64_e32 0, v[4:5]
	s_xor_b32 s24, exec_lo, s24
; %bb.6013:                             ;   in Loop: Header=BB6_4897 Depth=2
	v_or_b32_e32 v70, 0x7f, v1
                                        ; implicit-def: $vgpr0
; %bb.6014:                             ;   in Loop: Header=BB6_4897 Depth=2
	s_and_not1_saveexec_b32 s24, s24
; %bb.6015:                             ;   in Loop: Header=BB6_4897 Depth=2
	v_cmp_lt_i32_e32 vcc_lo, -1, v0
	v_cndmask_b32_e32 v70, 0xfc, v104, vcc_lo
; %bb.6016:                             ;   in Loop: Header=BB6_4897 Depth=2
	s_or_b32 exec_lo, exec_lo, s24
.LBB6_6017:                             ;   in Loop: Header=BB6_4897 Depth=2
	s_delay_alu instid0(SALU_CYCLE_1) | instskip(SKIP_4) | instid1(VALU_DEP_3)
	s_or_b32 exec_lo, exec_lo, s7
	v_and_b32_e32 v2, 0xff, v35
	v_dual_mov_b32 v4, v35 :: v_dual_mov_b32 v1, 0
	v_mov_b32_e32 v0, 0
	s_mov_b32 s7, exec_lo
	v_cmpx_ne_u16_e32 0, v2
	s_cbranch_execz .LBB6_6027
; %bb.6018:                             ;   in Loop: Header=BB6_4897 Depth=2
	v_bfrev_b32_e32 v0, 1
	s_mov_b32 s24, exec_lo
	v_cmpx_ne_u16_e32 0x80, v2
	s_cbranch_execz .LBB6_6026
; %bb.6019:                             ;   in Loop: Header=BB6_4897 Depth=2
	v_and_b32_e32 v0, 0x7c, v35
	v_and_b32_e32 v2, 3, v35
	s_delay_alu instid0(VALU_DEP_2) | instskip(SKIP_1) | instid1(SALU_CYCLE_1)
	v_cmp_ne_u32_e32 vcc_lo, 0x7c, v0
                                        ; implicit-def: $vgpr0
	s_and_saveexec_b32 s25, vcc_lo
	s_xor_b32 s25, exec_lo, s25
	s_cbranch_execz .LBB6_6023
; %bb.6020:                             ;   in Loop: Header=BB6_4897 Depth=2
	v_bfe_u32 v0, v35, 2, 5
	s_mov_b32 s26, exec_lo
	s_delay_alu instid0(VALU_DEP_1)
	v_cmpx_eq_u32_e32 0, v0
; %bb.6021:                             ;   in Loop: Header=BB6_4897 Depth=2
	v_clz_i32_u32_e32 v0, v2
	s_delay_alu instid0(VALU_DEP_1) | instskip(NEXT) | instid1(VALU_DEP_1)
	v_min_u32_e32 v0, 32, v0
	v_subrev_nc_u32_e32 v2, 29, v0
	s_delay_alu instid0(VALU_DEP_1) | instskip(NEXT) | instid1(VALU_DEP_1)
	v_lshlrev_b64_e32 v[2:3], v2, v[4:5]
	v_dual_sub_nc_u32 v0, 30, v0 :: v_dual_bitop2_b32 v2, 3, v2 bitop3:0x40
; %bb.6022:                             ;   in Loop: Header=BB6_4897 Depth=2
	s_or_b32 exec_lo, exec_lo, s26
	v_lshlrev_b32_e32 v3, 24, v35
	s_delay_alu instid0(VALU_DEP_1) | instskip(NEXT) | instid1(VALU_DEP_1)
	v_and_b32_e32 v3, 0x80000000, v3
	v_lshl_add_u32 v0, v0, 23, v3
	s_delay_alu instid0(VALU_DEP_1) | instskip(NEXT) | instid1(VALU_DEP_1)
	v_lshl_or_b32 v0, v2, 21, v0
                                        ; implicit-def: $vgpr2
	v_add_nc_u32_e32 v0, 0x38000000, v0
.LBB6_6023:                             ;   in Loop: Header=BB6_4897 Depth=2
	s_and_not1_saveexec_b32 s25, s25
; %bb.6024:                             ;   in Loop: Header=BB6_4897 Depth=2
	v_bfe_i32 v0, v35, 0, 8
	s_delay_alu instid0(VALU_DEP_1) | instskip(SKIP_2) | instid1(VALU_DEP_2)
	v_cmp_lt_i16_e32 vcc_lo, -1, v0
	v_cndmask_b32_e32 v0, 0xff800000, v105, vcc_lo
	v_cmp_eq_u32_e32 vcc_lo, 0, v2
	v_cndmask_b32_e32 v0, 0x7f800001, v0, vcc_lo
; %bb.6025:                             ;   in Loop: Header=BB6_4897 Depth=2
	s_or_b32 exec_lo, exec_lo, s25
.LBB6_6026:                             ;   in Loop: Header=BB6_4897 Depth=2
	s_delay_alu instid0(SALU_CYCLE_1)
	s_or_b32 exec_lo, exec_lo, s24
.LBB6_6027:                             ;   in Loop: Header=BB6_4897 Depth=2
	s_delay_alu instid0(SALU_CYCLE_1) | instskip(SKIP_2) | instid1(VALU_DEP_1)
	s_or_b32 exec_lo, exec_lo, s7
	v_and_b32_e32 v2, 0xff, v29
	s_mov_b32 s7, exec_lo
	v_cmpx_ne_u16_e32 0, v2
	s_cbranch_execz .LBB6_6037
; %bb.6028:                             ;   in Loop: Header=BB6_4897 Depth=2
	v_bfrev_b32_e32 v1, 1
	s_mov_b32 s24, exec_lo
	v_cmpx_ne_u16_e32 0x80, v2
	s_cbranch_execz .LBB6_6036
; %bb.6029:                             ;   in Loop: Header=BB6_4897 Depth=2
	v_and_b32_e32 v1, 0x7c, v29
	v_and_b32_e32 v2, 3, v29
	s_delay_alu instid0(VALU_DEP_2) | instskip(SKIP_1) | instid1(SALU_CYCLE_1)
	v_cmp_ne_u32_e32 vcc_lo, 0x7c, v1
                                        ; implicit-def: $vgpr1
	s_and_saveexec_b32 s25, vcc_lo
	s_xor_b32 s25, exec_lo, s25
	s_cbranch_execz .LBB6_6033
; %bb.6030:                             ;   in Loop: Header=BB6_4897 Depth=2
	v_bfe_u32 v1, v29, 2, 5
	s_mov_b32 s26, exec_lo
	s_delay_alu instid0(VALU_DEP_1)
	v_cmpx_eq_u32_e32 0, v1
; %bb.6031:                             ;   in Loop: Header=BB6_4897 Depth=2
	v_clz_i32_u32_e32 v1, v2
	v_dual_mov_b32 v2, v29 :: v_dual_mov_b32 v3, v5
	s_delay_alu instid0(VALU_DEP_2) | instskip(NEXT) | instid1(VALU_DEP_1)
	v_min_u32_e32 v1, 32, v1
	v_subrev_nc_u32_e32 v71, 29, v1
	s_delay_alu instid0(VALU_DEP_1) | instskip(NEXT) | instid1(VALU_DEP_1)
	v_lshlrev_b64_e32 v[2:3], v71, v[2:3]
	v_dual_sub_nc_u32 v1, 30, v1 :: v_dual_bitop2_b32 v2, 3, v2 bitop3:0x40
; %bb.6032:                             ;   in Loop: Header=BB6_4897 Depth=2
	s_or_b32 exec_lo, exec_lo, s26
	v_lshlrev_b32_e32 v3, 24, v29
	s_delay_alu instid0(VALU_DEP_1) | instskip(NEXT) | instid1(VALU_DEP_1)
	v_and_b32_e32 v3, 0x80000000, v3
	v_lshl_add_u32 v1, v1, 23, v3
	s_delay_alu instid0(VALU_DEP_1) | instskip(NEXT) | instid1(VALU_DEP_1)
	v_lshl_or_b32 v1, v2, 21, v1
                                        ; implicit-def: $vgpr2
	v_add_nc_u32_e32 v1, 0x38000000, v1
.LBB6_6033:                             ;   in Loop: Header=BB6_4897 Depth=2
	s_and_not1_saveexec_b32 s25, s25
; %bb.6034:                             ;   in Loop: Header=BB6_4897 Depth=2
	v_bfe_i32 v1, v29, 0, 8
	s_delay_alu instid0(VALU_DEP_1) | instskip(SKIP_2) | instid1(VALU_DEP_2)
	v_cmp_lt_i16_e32 vcc_lo, -1, v1
	v_cndmask_b32_e32 v1, 0xff800000, v105, vcc_lo
	v_cmp_eq_u32_e32 vcc_lo, 0, v2
	v_cndmask_b32_e32 v1, 0x7f800001, v1, vcc_lo
; %bb.6035:                             ;   in Loop: Header=BB6_4897 Depth=2
	s_or_b32 exec_lo, exec_lo, s25
.LBB6_6036:                             ;   in Loop: Header=BB6_4897 Depth=2
	s_delay_alu instid0(SALU_CYCLE_1)
	s_or_b32 exec_lo, exec_lo, s24
.LBB6_6037:                             ;   in Loop: Header=BB6_4897 Depth=2
	s_delay_alu instid0(SALU_CYCLE_1) | instskip(NEXT) | instid1(VALU_DEP_1)
	s_or_b32 exec_lo, exec_lo, s7
	v_dual_mul_f32 v2, v0, v1 :: v_dual_mov_b32 v81, v5
	v_mov_b32_e32 v1, v5
                                        ; implicit-def: $vgpr71
	s_mov_b32 s7, exec_lo
	s_delay_alu instid0(VALU_DEP_2) | instskip(SKIP_2) | instid1(VALU_DEP_3)
	v_and_b32_e32 v80, 0x7f800000, v2
	v_and_b32_e32 v0, 0x7fffff, v2
	v_lshrrev_b32_e32 v3, 24, v2
	v_cmpx_ne_u64_e32 0x7f800000, v[80:81]
	s_xor_b32 s24, exec_lo, s7
	s_cbranch_execz .LBB6_6051
; %bb.6038:                             ;   in Loop: Header=BB6_4897 Depth=2
	v_and_b32_e32 v80, 0x7fffffff, v2
	v_mov_b32_e32 v81, v5
                                        ; implicit-def: $vgpr71
	s_delay_alu instid0(VALU_DEP_1) | instskip(SKIP_2) | instid1(SALU_CYCLE_1)
	v_cmp_gt_u64_e32 vcc_lo, 0x47600001, v[80:81]
	v_and_b32_e32 v80, 0x80, v3
	s_and_saveexec_b32 s7, vcc_lo
	s_xor_b32 s25, exec_lo, s7
	s_cbranch_execz .LBB6_6048
; %bb.6039:                             ;   in Loop: Header=BB6_4897 Depth=2
	v_mov_b32_e32 v71, 0
	s_mov_b32 s26, exec_lo
	v_cmpx_ne_u32_e32 0, v2
	s_cbranch_execz .LBB6_6047
; %bb.6040:                             ;   in Loop: Header=BB6_4897 Depth=2
	v_bfe_u32 v71, v2, 23, 8
	v_or_b32_e32 v82, 0x800000, v0
	s_delay_alu instid0(VALU_DEP_2) | instskip(SKIP_1) | instid1(VALU_DEP_2)
	v_sub_nc_u32_e32 v2, 0x71, v71
	v_cmp_gt_u32_e32 vcc_lo, 0x72, v71
	v_cndmask_b32_e32 v2, 0, v2, vcc_lo
	v_cmp_eq_u32_e32 vcc_lo, 0, v71
	s_delay_alu instid0(VALU_DEP_2) | instskip(NEXT) | instid1(VALU_DEP_1)
	v_cndmask_b32_e64 v81, v2, 0x70, vcc_lo
	v_dual_cndmask_b32 v0, v82, v0, vcc_lo :: v_dual_add_nc_u32 v2, 21, v81
	v_add_nc_u32_e32 v83, 20, v81
	s_delay_alu instid0(VALU_DEP_2) | instskip(NEXT) | instid1(VALU_DEP_2)
	v_lshlrev_b64_e64 v[2:3], v2, -1
	v_lshlrev_b64_e64 v[82:83], v83, 1
	s_delay_alu instid0(VALU_DEP_2) | instskip(SKIP_1) | instid1(VALU_DEP_4)
	v_bfi_b32 v2, v2, 0, v0
	v_lshrrev_b64 v[0:1], v81, v[0:1]
	v_bfi_b32 v3, v3, 0, 0
	s_delay_alu instid0(VALU_DEP_1) | instskip(NEXT) | instid1(VALU_DEP_3)
	v_cmp_eq_u64_e64 s7, v[2:3], v[82:83]
	v_mov_b64_e32 v[2:3], v[0:1]
	s_and_saveexec_b32 s27, s7
; %bb.6041:                             ;   in Loop: Header=BB6_4897 Depth=2
	v_bfe_u32 v2, v0, 21, 1
	v_mov_b32_e32 v3, v5
	s_delay_alu instid0(VALU_DEP_1) | instskip(NEXT) | instid1(VALU_DEP_1)
	v_add_nc_u64_e32 v[2:3], v[0:1], v[2:3]
	v_add_nc_u64_e32 v[2:3], -1, v[2:3]
; %bb.6042:                             ;   in Loop: Header=BB6_4897 Depth=2
	s_or_b32 exec_lo, exec_lo, s27
	v_add_nc_u32_e32 v1, 0xffffff81, v71
	v_lshrrev_b32_e32 v3, 23, v0
	s_mov_b32 s7, exec_lo
	s_delay_alu instid0(VALU_DEP_2) | instskip(NEXT) | instid1(VALU_DEP_1)
	v_cndmask_b32_e64 v1, v1, 0xffffff82, vcc_lo
	v_add3_u32 v3, v81, v1, v3
	v_and_b32_e32 v1, 0x1fffff, v2
                                        ; implicit-def: $vgpr2
	s_delay_alu instid0(VALU_DEP_1) | instskip(SKIP_1) | instid1(VALU_DEP_2)
	v_dual_add_nc_u32 v71, 14, v3 :: v_dual_add_nc_u32 v0, v1, v0
	v_mov_b32_e32 v1, v5
	v_cmpx_ne_u32_e32 0, v71
	s_xor_b32 s7, exec_lo, s7
; %bb.6043:                             ;   in Loop: Header=BB6_4897 Depth=2
	s_delay_alu instid0(VALU_DEP_2) | instskip(SKIP_2) | instid1(VALU_DEP_2)
	v_cmp_lt_u64_e32 vcc_lo, 0xffffff, v[0:1]
	v_add_nc_u32_e32 v2, 15, v3
	v_cndmask_b32_e64 v3, 0, 1, vcc_lo
	v_cndmask_b32_e32 v2, v71, v2, vcc_lo
	s_delay_alu instid0(VALU_DEP_2)
	v_lshrrev_b64 v[0:1], v3, v[0:1]
; %bb.6044:                             ;   in Loop: Header=BB6_4897 Depth=2
	s_and_not1_saveexec_b32 s7, s7
; %bb.6045:                             ;   in Loop: Header=BB6_4897 Depth=2
	s_delay_alu instid0(VALU_DEP_1)
	v_bfe_u32 v2, v0, 23, 1
; %bb.6046:                             ;   in Loop: Header=BB6_4897 Depth=2
	s_or_b32 exec_lo, exec_lo, s7
	s_delay_alu instid0(VALU_DEP_2) | instskip(NEXT) | instid1(VALU_DEP_2)
	v_lshrrev_b64 v[0:1], 21, v[0:1]
	v_cmp_gt_i32_e32 vcc_lo, 32, v2
	v_min_i32_e32 v3, 31, v2
	v_cmp_eq_u32_e64 s7, 0, v2
	s_delay_alu instid0(VALU_DEP_2) | instskip(SKIP_1) | instid1(VALU_DEP_2)
	v_dual_cndmask_b32 v1, 0, v1, vcc_lo :: v_dual_lshlrev_b32 v3, 2, v3
	v_cndmask_b32_e32 v0, 3, v0, vcc_lo
	v_and_b32_e32 v3, 0xfc, v3
	s_delay_alu instid0(VALU_DEP_2) | instskip(NEXT) | instid1(VALU_DEP_2)
	v_cmp_eq_u64_e32 vcc_lo, 0, v[0:1]
	v_and_or_b32 v0, v0, 3, v3
	s_and_b32 s7, s7, vcc_lo
	s_delay_alu instid0(VALU_DEP_1) | instid1(SALU_CYCLE_1)
	v_cndmask_b32_e64 v0, v0, 0, s7
	s_delay_alu instid0(VALU_DEP_1)
	v_or_b32_e32 v71, v0, v80
.LBB6_6047:                             ;   in Loop: Header=BB6_4897 Depth=2
	s_or_b32 exec_lo, exec_lo, s26
                                        ; implicit-def: $vgpr80
.LBB6_6048:                             ;   in Loop: Header=BB6_4897 Depth=2
	s_and_not1_saveexec_b32 s7, s25
; %bb.6049:                             ;   in Loop: Header=BB6_4897 Depth=2
	v_or_b32_e32 v71, 0x7b, v80
; %bb.6050:                             ;   in Loop: Header=BB6_4897 Depth=2
	s_or_b32 exec_lo, exec_lo, s7
                                        ; implicit-def: $vgpr2
                                        ; implicit-def: $vgpr0_vgpr1
                                        ; implicit-def: $vgpr3
.LBB6_6051:                             ;   in Loop: Header=BB6_4897 Depth=2
	s_and_not1_saveexec_b32 s7, s24
	s_cbranch_execz .LBB6_6057
; %bb.6052:                             ;   in Loop: Header=BB6_4897 Depth=2
	s_mov_b32 s24, exec_lo
                                        ; implicit-def: $vgpr71
	v_cmpx_ne_u64_e32 0, v[0:1]
	s_xor_b32 s24, exec_lo, s24
; %bb.6053:                             ;   in Loop: Header=BB6_4897 Depth=2
	v_or_b32_e32 v71, 0x7f, v3
                                        ; implicit-def: $vgpr2
; %bb.6054:                             ;   in Loop: Header=BB6_4897 Depth=2
	s_and_not1_saveexec_b32 s24, s24
; %bb.6055:                             ;   in Loop: Header=BB6_4897 Depth=2
	v_cmp_lt_i32_e32 vcc_lo, -1, v2
	v_cndmask_b32_e32 v71, 0xfc, v104, vcc_lo
; %bb.6056:                             ;   in Loop: Header=BB6_4897 Depth=2
	s_or_b32 exec_lo, exec_lo, s24
.LBB6_6057:                             ;   in Loop: Header=BB6_4897 Depth=2
	s_delay_alu instid0(SALU_CYCLE_1) | instskip(SKIP_3) | instid1(VALU_DEP_2)
	s_or_b32 exec_lo, exec_lo, s7
	v_lshrrev_b16 v0, 8, v4
	v_dual_mov_b32 v2, 0 :: v_dual_mov_b32 v3, 0
	s_mov_b32 s7, exec_lo
	v_cmpx_ne_u16_e32 0, v0
	s_cbranch_execz .LBB6_6067
; %bb.6058:                             ;   in Loop: Header=BB6_4897 Depth=2
	v_bfrev_b32_e32 v3, 1
	s_mov_b32 s24, exec_lo
	v_cmpx_ne_u16_e32 0x80, v0
	s_cbranch_execz .LBB6_6066
; %bb.6059:                             ;   in Loop: Header=BB6_4897 Depth=2
	v_and_b32_e32 v80, 0xffff, v0
	s_delay_alu instid0(VALU_DEP_1) | instskip(SKIP_1) | instid1(VALU_DEP_2)
	v_and_b32_e32 v3, 0x7c, v80
	v_and_b32_e32 v1, 3, v80
	v_cmp_ne_u32_e32 vcc_lo, 0x7c, v3
                                        ; implicit-def: $vgpr3
	s_and_saveexec_b32 s25, vcc_lo
	s_delay_alu instid0(SALU_CYCLE_1)
	s_xor_b32 s25, exec_lo, s25
	s_cbranch_execz .LBB6_6063
; %bb.6060:                             ;   in Loop: Header=BB6_4897 Depth=2
	v_bfe_u32 v3, v80, 2, 5
	s_mov_b32 s26, exec_lo
	s_delay_alu instid0(VALU_DEP_1)
	v_cmpx_eq_u32_e32 0, v3
	s_cbranch_execz .LBB6_6062
; %bb.6061:                             ;   in Loop: Header=BB6_4897 Depth=2
	v_clz_i32_u32_e32 v1, v1
	s_delay_alu instid0(VALU_DEP_1) | instskip(SKIP_1) | instid1(VALU_DEP_2)
	v_min_u32_e32 v3, 32, v1
	v_mov_b32_e32 v1, v5
	v_subrev_nc_u32_e32 v80, 29, v3
	v_sub_nc_u32_e32 v3, 30, v3
	s_delay_alu instid0(VALU_DEP_2) | instskip(NEXT) | instid1(VALU_DEP_1)
	v_lshlrev_b64_e32 v[0:1], v80, v[0:1]
	v_and_b32_e32 v1, 3, v0
.LBB6_6062:                             ;   in Loop: Header=BB6_4897 Depth=2
	s_or_b32 exec_lo, exec_lo, s26
	v_lshlrev_b32_e32 v0, 16, v4
	s_delay_alu instid0(VALU_DEP_1) | instskip(NEXT) | instid1(VALU_DEP_1)
	v_and_b32_e32 v0, 0x80000000, v0
	v_lshl_add_u32 v0, v3, 23, v0
	s_delay_alu instid0(VALU_DEP_1) | instskip(NEXT) | instid1(VALU_DEP_1)
	v_lshl_or_b32 v0, v1, 21, v0
                                        ; implicit-def: $vgpr1
	v_add_nc_u32_e32 v3, 0x38000000, v0
.LBB6_6063:                             ;   in Loop: Header=BB6_4897 Depth=2
	s_and_not1_saveexec_b32 s25, s25
; %bb.6064:                             ;   in Loop: Header=BB6_4897 Depth=2
	v_cmp_lt_i16_e32 vcc_lo, -1, v4
	v_cndmask_b32_e32 v0, 0xff800000, v105, vcc_lo
	v_cmp_eq_u32_e32 vcc_lo, 0, v1
	s_delay_alu instid0(VALU_DEP_2)
	v_cndmask_b32_e32 v3, 0x7f800001, v0, vcc_lo
; %bb.6065:                             ;   in Loop: Header=BB6_4897 Depth=2
	s_or_b32 exec_lo, exec_lo, s25
.LBB6_6066:                             ;   in Loop: Header=BB6_4897 Depth=2
	s_delay_alu instid0(SALU_CYCLE_1)
	s_or_b32 exec_lo, exec_lo, s24
.LBB6_6067:                             ;   in Loop: Header=BB6_4897 Depth=2
	s_delay_alu instid0(SALU_CYCLE_1) | instskip(SKIP_2) | instid1(VALU_DEP_1)
	s_or_b32 exec_lo, exec_lo, s7
	v_lshrrev_b16 v0, 8, v29
	s_mov_b32 s7, exec_lo
	v_cmpx_ne_u16_e32 0, v0
	s_cbranch_execz .LBB6_6077
; %bb.6068:                             ;   in Loop: Header=BB6_4897 Depth=2
	v_bfrev_b32_e32 v2, 1
	s_mov_b32 s24, exec_lo
	v_cmpx_ne_u16_e32 0x80, v0
	s_cbranch_execz .LBB6_6076
; %bb.6069:                             ;   in Loop: Header=BB6_4897 Depth=2
	v_and_b32_e32 v4, 0xffff, v0
	s_delay_alu instid0(VALU_DEP_1) | instskip(SKIP_1) | instid1(VALU_DEP_2)
	v_and_b32_e32 v2, 0x7c, v4
	v_and_b32_e32 v1, 3, v4
	v_cmp_ne_u32_e32 vcc_lo, 0x7c, v2
                                        ; implicit-def: $vgpr2
	s_and_saveexec_b32 s25, vcc_lo
	s_delay_alu instid0(SALU_CYCLE_1)
	s_xor_b32 s25, exec_lo, s25
	s_cbranch_execz .LBB6_6073
; %bb.6070:                             ;   in Loop: Header=BB6_4897 Depth=2
	v_bfe_u32 v2, v4, 2, 5
	s_mov_b32 s26, exec_lo
	s_delay_alu instid0(VALU_DEP_1)
	v_cmpx_eq_u32_e32 0, v2
	s_cbranch_execz .LBB6_6072
; %bb.6071:                             ;   in Loop: Header=BB6_4897 Depth=2
	v_clz_i32_u32_e32 v1, v1
	s_delay_alu instid0(VALU_DEP_1) | instskip(SKIP_1) | instid1(VALU_DEP_2)
	v_min_u32_e32 v2, 32, v1
	v_mov_b32_e32 v1, v5
	v_subrev_nc_u32_e32 v4, 29, v2
	v_sub_nc_u32_e32 v2, 30, v2
	s_delay_alu instid0(VALU_DEP_2) | instskip(NEXT) | instid1(VALU_DEP_1)
	v_lshlrev_b64_e32 v[0:1], v4, v[0:1]
	v_and_b32_e32 v1, 3, v0
.LBB6_6072:                             ;   in Loop: Header=BB6_4897 Depth=2
	s_or_b32 exec_lo, exec_lo, s26
	v_lshlrev_b32_e32 v0, 16, v29
	s_delay_alu instid0(VALU_DEP_1) | instskip(NEXT) | instid1(VALU_DEP_1)
	v_and_b32_e32 v0, 0x80000000, v0
	v_lshl_add_u32 v0, v2, 23, v0
	s_delay_alu instid0(VALU_DEP_1) | instskip(NEXT) | instid1(VALU_DEP_1)
	v_lshl_or_b32 v0, v1, 21, v0
                                        ; implicit-def: $vgpr1
	v_add_nc_u32_e32 v2, 0x38000000, v0
.LBB6_6073:                             ;   in Loop: Header=BB6_4897 Depth=2
	s_and_not1_saveexec_b32 s25, s25
; %bb.6074:                             ;   in Loop: Header=BB6_4897 Depth=2
	v_cmp_lt_i16_e32 vcc_lo, -1, v29
	v_cndmask_b32_e32 v0, 0xff800000, v105, vcc_lo
	v_cmp_eq_u32_e32 vcc_lo, 0, v1
	s_delay_alu instid0(VALU_DEP_2)
	v_cndmask_b32_e32 v2, 0x7f800001, v0, vcc_lo
; %bb.6075:                             ;   in Loop: Header=BB6_4897 Depth=2
	s_or_b32 exec_lo, exec_lo, s25
.LBB6_6076:                             ;   in Loop: Header=BB6_4897 Depth=2
	s_delay_alu instid0(SALU_CYCLE_1)
	s_or_b32 exec_lo, exec_lo, s24
.LBB6_6077:                             ;   in Loop: Header=BB6_4897 Depth=2
	s_delay_alu instid0(SALU_CYCLE_1) | instskip(NEXT) | instid1(VALU_DEP_1)
	s_or_b32 exec_lo, exec_lo, s7
	v_dual_mul_f32 v0, v3, v2 :: v_dual_mov_b32 v3, v5
                                        ; implicit-def: $vgpr80
	s_mov_b32 s7, exec_lo
	s_delay_alu instid0(VALU_DEP_1) | instskip(SKIP_2) | instid1(VALU_DEP_3)
	v_and_b32_e32 v2, 0x7f800000, v0
	v_and_b32_e32 v4, 0x7fffff, v0
	v_lshrrev_b32_e32 v1, 24, v0
	v_cmpx_ne_u64_e32 0x7f800000, v[2:3]
	s_xor_b32 s24, exec_lo, s7
	s_cbranch_execz .LBB6_6091
; %bb.6078:                             ;   in Loop: Header=BB6_4897 Depth=2
	v_and_b32_e32 v2, 0x7fffffff, v0
	v_mov_b32_e32 v3, v5
	v_and_b32_e32 v81, 0x80, v1
                                        ; implicit-def: $vgpr80
	s_mov_b32 s7, exec_lo
	s_delay_alu instid0(VALU_DEP_2)
	v_cmpx_gt_u64_e32 0x47600001, v[2:3]
	s_xor_b32 s25, exec_lo, s7
	s_cbranch_execz .LBB6_6088
; %bb.6079:                             ;   in Loop: Header=BB6_4897 Depth=2
	v_mov_b32_e32 v80, 0
	s_mov_b32 s26, exec_lo
	v_cmpx_ne_u32_e32 0, v0
	s_cbranch_execz .LBB6_6087
; %bb.6080:                             ;   in Loop: Header=BB6_4897 Depth=2
	v_bfe_u32 v80, v0, 23, 8
	v_or_b32_e32 v2, 0x800000, v4
	s_mov_b32 s27, exec_lo
	s_delay_alu instid0(VALU_DEP_2) | instskip(SKIP_1) | instid1(VALU_DEP_2)
	v_dual_mov_b32 v3, v5 :: v_dual_sub_nc_u32 v0, 0x71, v80
	v_cmp_gt_u32_e32 vcc_lo, 0x72, v80
	v_cndmask_b32_e32 v0, 0, v0, vcc_lo
	v_cmp_eq_u32_e32 vcc_lo, 0, v80
	s_delay_alu instid0(VALU_DEP_2) | instskip(NEXT) | instid1(VALU_DEP_1)
	v_cndmask_b32_e64 v82, v0, 0x70, vcc_lo
	v_dual_cndmask_b32 v2, v2, v4, vcc_lo :: v_dual_add_nc_u32 v0, 21, v82
	v_add_nc_u32_e32 v83, 20, v82
	s_delay_alu instid0(VALU_DEP_2) | instskip(NEXT) | instid1(VALU_DEP_2)
	v_lshlrev_b64_e64 v[0:1], v0, -1
	v_lshlrev_b64_e64 v[84:85], v83, 1
	s_delay_alu instid0(VALU_DEP_2) | instskip(NEXT) | instid1(VALU_DEP_3)
	v_bfi_b32 v87, v1, 0, 0
	v_bfi_b32 v86, v0, 0, v2
	v_lshrrev_b64 v[0:1], v82, v[2:3]
	s_delay_alu instid0(VALU_DEP_1) | instskip(NEXT) | instid1(VALU_DEP_3)
	v_mov_b64_e32 v[2:3], v[0:1]
	v_cmpx_eq_u64_e64 v[86:87], v[84:85]
; %bb.6081:                             ;   in Loop: Header=BB6_4897 Depth=2
	v_bfe_u32 v2, v0, 21, 1
	v_mov_b32_e32 v3, v5
	s_delay_alu instid0(VALU_DEP_1) | instskip(NEXT) | instid1(VALU_DEP_1)
	v_add_nc_u64_e32 v[2:3], v[0:1], v[2:3]
	v_add_nc_u64_e32 v[2:3], -1, v[2:3]
; %bb.6082:                             ;   in Loop: Header=BB6_4897 Depth=2
	s_or_b32 exec_lo, exec_lo, s27
	v_add_nc_u32_e32 v1, 0xffffff81, v80
	v_lshrrev_b32_e32 v3, 23, v0
	s_mov_b32 s7, exec_lo
	s_delay_alu instid0(VALU_DEP_2) | instskip(NEXT) | instid1(VALU_DEP_1)
	v_cndmask_b32_e64 v1, v1, 0xffffff82, vcc_lo
	v_add3_u32 v3, v82, v1, v3
	v_and_b32_e32 v1, 0x1fffff, v2
                                        ; implicit-def: $vgpr2
	s_delay_alu instid0(VALU_DEP_1) | instskip(NEXT) | instid1(VALU_DEP_1)
	v_dual_add_nc_u32 v80, 14, v3 :: v_dual_add_nc_u32 v4, v1, v0
                                        ; implicit-def: $vgpr0_vgpr1
	v_cmpx_ne_u32_e32 0, v80
	s_xor_b32 s7, exec_lo, s7
; %bb.6083:                             ;   in Loop: Header=BB6_4897 Depth=2
	s_delay_alu instid0(VALU_DEP_2) | instskip(SKIP_1) | instid1(VALU_DEP_1)
	v_cmp_lt_u64_e32 vcc_lo, 0xffffff, v[4:5]
	v_add_nc_u32_e32 v0, 15, v3
	v_cndmask_b32_e32 v2, v80, v0, vcc_lo
	v_cndmask_b32_e64 v0, 0, 1, vcc_lo
	s_delay_alu instid0(VALU_DEP_1)
	v_lshrrev_b64 v[0:1], v0, v[4:5]
; %bb.6084:                             ;   in Loop: Header=BB6_4897 Depth=2
	s_and_not1_saveexec_b32 s7, s7
; %bb.6085:                             ;   in Loop: Header=BB6_4897 Depth=2
	v_mov_b64_e32 v[0:1], v[4:5]
	v_bfe_u32 v2, v4, 23, 1
; %bb.6086:                             ;   in Loop: Header=BB6_4897 Depth=2
	s_or_b32 exec_lo, exec_lo, s7
	s_delay_alu instid0(VALU_DEP_2) | instskip(NEXT) | instid1(VALU_DEP_2)
	v_lshrrev_b64 v[0:1], 21, v[0:1]
	v_cmp_gt_i32_e32 vcc_lo, 32, v2
	v_min_i32_e32 v3, 31, v2
	v_cmp_eq_u32_e64 s7, 0, v2
	s_delay_alu instid0(VALU_DEP_2) | instskip(SKIP_1) | instid1(VALU_DEP_2)
	v_dual_cndmask_b32 v1, 0, v1, vcc_lo :: v_dual_lshlrev_b32 v3, 2, v3
	v_cndmask_b32_e32 v0, 3, v0, vcc_lo
	v_and_b32_e32 v3, 0xfc, v3
	s_delay_alu instid0(VALU_DEP_2) | instskip(NEXT) | instid1(VALU_DEP_2)
	v_cmp_eq_u64_e32 vcc_lo, 0, v[0:1]
	v_and_or_b32 v0, v0, 3, v3
	s_and_b32 s7, s7, vcc_lo
	s_delay_alu instid0(VALU_DEP_1) | instid1(SALU_CYCLE_1)
	v_cndmask_b32_e64 v0, v0, 0, s7
	s_delay_alu instid0(VALU_DEP_1)
	v_or_b32_e32 v80, v0, v81
.LBB6_6087:                             ;   in Loop: Header=BB6_4897 Depth=2
	s_or_b32 exec_lo, exec_lo, s26
                                        ; implicit-def: $vgpr81
.LBB6_6088:                             ;   in Loop: Header=BB6_4897 Depth=2
	s_and_not1_saveexec_b32 s7, s25
; %bb.6089:                             ;   in Loop: Header=BB6_4897 Depth=2
	v_or_b32_e32 v80, 0x7b, v81
; %bb.6090:                             ;   in Loop: Header=BB6_4897 Depth=2
	s_or_b32 exec_lo, exec_lo, s7
                                        ; implicit-def: $vgpr0
                                        ; implicit-def: $vgpr1
.LBB6_6091:                             ;   in Loop: Header=BB6_4897 Depth=2
	s_and_not1_saveexec_b32 s7, s24
	s_cbranch_execz .LBB6_6097
; %bb.6092:                             ;   in Loop: Header=BB6_4897 Depth=2
	s_mov_b32 s24, exec_lo
                                        ; implicit-def: $vgpr80
	v_cmpx_ne_u64_e32 0, v[4:5]
	s_xor_b32 s24, exec_lo, s24
; %bb.6093:                             ;   in Loop: Header=BB6_4897 Depth=2
	v_or_b32_e32 v80, 0x7f, v1
                                        ; implicit-def: $vgpr0
; %bb.6094:                             ;   in Loop: Header=BB6_4897 Depth=2
	s_and_not1_saveexec_b32 s24, s24
; %bb.6095:                             ;   in Loop: Header=BB6_4897 Depth=2
	v_cmp_lt_i32_e32 vcc_lo, -1, v0
	v_cndmask_b32_e32 v80, 0xfc, v104, vcc_lo
; %bb.6096:                             ;   in Loop: Header=BB6_4897 Depth=2
	s_or_b32 exec_lo, exec_lo, s24
.LBB6_6097:                             ;   in Loop: Header=BB6_4897 Depth=2
	s_delay_alu instid0(SALU_CYCLE_1) | instskip(SKIP_3) | instid1(VALU_DEP_2)
	s_or_b32 exec_lo, exec_lo, s7
	v_dual_mov_b32 v1, 0 :: v_dual_lshrrev_b32 v0, 16, v35
	v_mov_b32_e32 v2, 0
	s_mov_b32 s7, exec_lo
	v_and_b32_e32 v3, 0xff, v0
	s_delay_alu instid0(VALU_DEP_1)
	v_cmpx_ne_u16_e32 0, v3
	s_cbranch_execz .LBB6_6107
; %bb.6098:                             ;   in Loop: Header=BB6_4897 Depth=2
	v_bfrev_b32_e32 v2, 1
	s_mov_b32 s24, exec_lo
	v_cmpx_ne_u16_e32 0x80, v3
	s_cbranch_execz .LBB6_6106
; %bb.6099:                             ;   in Loop: Header=BB6_4897 Depth=2
	v_and_b32_e32 v2, 0x7c0000, v35
	v_bfe_u32 v3, v35, 16, 2
	s_delay_alu instid0(VALU_DEP_2) | instskip(SKIP_1) | instid1(SALU_CYCLE_1)
	v_cmp_ne_u32_e32 vcc_lo, 0x7c0000, v2
                                        ; implicit-def: $vgpr2
	s_and_saveexec_b32 s25, vcc_lo
	s_xor_b32 s25, exec_lo, s25
	s_cbranch_execz .LBB6_6103
; %bb.6100:                             ;   in Loop: Header=BB6_4897 Depth=2
	v_bfe_u32 v2, v35, 18, 5
	s_mov_b32 s26, exec_lo
	s_delay_alu instid0(VALU_DEP_1)
	v_cmpx_eq_u32_e32 0, v2
; %bb.6101:                             ;   in Loop: Header=BB6_4897 Depth=2
	v_clz_i32_u32_e32 v2, v3
	s_delay_alu instid0(VALU_DEP_1) | instskip(NEXT) | instid1(VALU_DEP_1)
	v_min_u32_e32 v2, 32, v2
	v_subrev_nc_u32_e32 v3, 29, v2
	v_sub_nc_u32_e32 v2, 30, v2
	s_delay_alu instid0(VALU_DEP_2) | instskip(NEXT) | instid1(VALU_DEP_1)
	v_lshlrev_b64_e32 v[82:83], v3, v[0:1]
	v_and_b32_e32 v3, 3, v82
; %bb.6102:                             ;   in Loop: Header=BB6_4897 Depth=2
	s_or_b32 exec_lo, exec_lo, s26
	v_lshlrev_b32_e32 v0, 24, v0
	s_delay_alu instid0(VALU_DEP_1) | instskip(NEXT) | instid1(VALU_DEP_1)
	v_and_b32_e32 v0, 0x80000000, v0
	v_lshl_add_u32 v0, v2, 23, v0
	s_delay_alu instid0(VALU_DEP_1) | instskip(NEXT) | instid1(VALU_DEP_1)
	v_lshl_or_b32 v0, v3, 21, v0
                                        ; implicit-def: $vgpr3
	v_add_nc_u32_e32 v2, 0x38000000, v0
                                        ; implicit-def: $vgpr0
.LBB6_6103:                             ;   in Loop: Header=BB6_4897 Depth=2
	s_and_not1_saveexec_b32 s25, s25
; %bb.6104:                             ;   in Loop: Header=BB6_4897 Depth=2
	v_bfe_i32 v0, v0, 0, 8
	s_delay_alu instid0(VALU_DEP_1) | instskip(SKIP_2) | instid1(VALU_DEP_2)
	v_cmp_lt_i16_e32 vcc_lo, -1, v0
	v_cndmask_b32_e32 v0, 0xff800000, v105, vcc_lo
	v_cmp_eq_u32_e32 vcc_lo, 0, v3
	v_cndmask_b32_e32 v2, 0x7f800001, v0, vcc_lo
; %bb.6105:                             ;   in Loop: Header=BB6_4897 Depth=2
	s_or_b32 exec_lo, exec_lo, s25
.LBB6_6106:                             ;   in Loop: Header=BB6_4897 Depth=2
	s_delay_alu instid0(SALU_CYCLE_1)
	s_or_b32 exec_lo, exec_lo, s24
.LBB6_6107:                             ;   in Loop: Header=BB6_4897 Depth=2
	s_delay_alu instid0(SALU_CYCLE_1) | instskip(SKIP_2) | instid1(VALU_DEP_1)
	s_or_b32 exec_lo, exec_lo, s7
	v_lshrrev_b32_e32 v0, 16, v29
	s_mov_b32 s7, exec_lo
	v_and_b32_e32 v3, 0xff, v0
	s_delay_alu instid0(VALU_DEP_1)
	v_cmpx_ne_u16_e32 0, v3
	s_cbranch_execz .LBB6_6117
; %bb.6108:                             ;   in Loop: Header=BB6_4897 Depth=2
	v_bfrev_b32_e32 v1, 1
	s_mov_b32 s24, exec_lo
	v_cmpx_ne_u16_e32 0x80, v3
	s_cbranch_execz .LBB6_6116
; %bb.6109:                             ;   in Loop: Header=BB6_4897 Depth=2
	v_and_b32_e32 v1, 0x7c0000, v29
	v_bfe_u32 v3, v29, 16, 2
	s_delay_alu instid0(VALU_DEP_2) | instskip(SKIP_1) | instid1(SALU_CYCLE_1)
	v_cmp_ne_u32_e32 vcc_lo, 0x7c0000, v1
                                        ; implicit-def: $vgpr1
	s_and_saveexec_b32 s25, vcc_lo
	s_xor_b32 s25, exec_lo, s25
	s_cbranch_execz .LBB6_6113
; %bb.6110:                             ;   in Loop: Header=BB6_4897 Depth=2
	v_bfe_u32 v1, v29, 18, 5
	s_mov_b32 s26, exec_lo
	s_delay_alu instid0(VALU_DEP_1)
	v_cmpx_eq_u32_e32 0, v1
; %bb.6111:                             ;   in Loop: Header=BB6_4897 Depth=2
	v_clz_i32_u32_e32 v1, v3
	s_delay_alu instid0(VALU_DEP_1) | instskip(NEXT) | instid1(VALU_DEP_1)
	v_min_u32_e32 v1, 32, v1
	v_subrev_nc_u32_e32 v3, 29, v1
	s_delay_alu instid0(VALU_DEP_1) | instskip(NEXT) | instid1(VALU_DEP_1)
	v_lshlrev_b64_e32 v[82:83], v3, v[0:1]
	v_dual_sub_nc_u32 v1, 30, v1 :: v_dual_bitop2_b32 v3, 3, v82 bitop3:0x40
; %bb.6112:                             ;   in Loop: Header=BB6_4897 Depth=2
	s_or_b32 exec_lo, exec_lo, s26
	v_lshlrev_b32_e32 v0, 24, v0
	s_delay_alu instid0(VALU_DEP_1) | instskip(NEXT) | instid1(VALU_DEP_1)
	v_and_b32_e32 v0, 0x80000000, v0
	v_lshl_add_u32 v0, v1, 23, v0
	s_delay_alu instid0(VALU_DEP_1) | instskip(NEXT) | instid1(VALU_DEP_1)
	v_lshl_or_b32 v0, v3, 21, v0
                                        ; implicit-def: $vgpr3
	v_add_nc_u32_e32 v1, 0x38000000, v0
                                        ; implicit-def: $vgpr0
.LBB6_6113:                             ;   in Loop: Header=BB6_4897 Depth=2
	s_and_not1_saveexec_b32 s25, s25
; %bb.6114:                             ;   in Loop: Header=BB6_4897 Depth=2
	v_bfe_i32 v0, v0, 0, 8
	s_delay_alu instid0(VALU_DEP_1) | instskip(SKIP_2) | instid1(VALU_DEP_2)
	v_cmp_lt_i16_e32 vcc_lo, -1, v0
	v_cndmask_b32_e32 v0, 0xff800000, v105, vcc_lo
	v_cmp_eq_u32_e32 vcc_lo, 0, v3
	v_cndmask_b32_e32 v1, 0x7f800001, v0, vcc_lo
; %bb.6115:                             ;   in Loop: Header=BB6_4897 Depth=2
	s_or_b32 exec_lo, exec_lo, s25
.LBB6_6116:                             ;   in Loop: Header=BB6_4897 Depth=2
	s_delay_alu instid0(SALU_CYCLE_1)
	s_or_b32 exec_lo, exec_lo, s24
.LBB6_6117:                             ;   in Loop: Header=BB6_4897 Depth=2
	s_delay_alu instid0(SALU_CYCLE_1) | instskip(NEXT) | instid1(VALU_DEP_1)
	s_or_b32 exec_lo, exec_lo, s7
	v_dual_mul_f32 v0, v2, v1 :: v_dual_mov_b32 v3, v5
                                        ; implicit-def: $vgpr81
	s_mov_b32 s7, exec_lo
	s_delay_alu instid0(VALU_DEP_1) | instskip(SKIP_2) | instid1(VALU_DEP_3)
	v_and_b32_e32 v2, 0x7f800000, v0
	v_and_b32_e32 v4, 0x7fffff, v0
	v_lshrrev_b32_e32 v1, 24, v0
	v_cmpx_ne_u64_e32 0x7f800000, v[2:3]
	s_xor_b32 s24, exec_lo, s7
	s_cbranch_execz .LBB6_6131
; %bb.6118:                             ;   in Loop: Header=BB6_4897 Depth=2
	v_and_b32_e32 v2, 0x7fffffff, v0
	v_mov_b32_e32 v3, v5
	v_and_b32_e32 v82, 0x80, v1
                                        ; implicit-def: $vgpr81
	s_mov_b32 s7, exec_lo
	s_delay_alu instid0(VALU_DEP_2)
	v_cmpx_gt_u64_e32 0x47600001, v[2:3]
	s_xor_b32 s25, exec_lo, s7
	s_cbranch_execz .LBB6_6128
; %bb.6119:                             ;   in Loop: Header=BB6_4897 Depth=2
	v_mov_b32_e32 v81, 0
	s_mov_b32 s26, exec_lo
	v_cmpx_ne_u32_e32 0, v0
	s_cbranch_execz .LBB6_6127
; %bb.6120:                             ;   in Loop: Header=BB6_4897 Depth=2
	v_bfe_u32 v81, v0, 23, 8
	v_or_b32_e32 v2, 0x800000, v4
	s_mov_b32 s27, exec_lo
	s_delay_alu instid0(VALU_DEP_2) | instskip(SKIP_1) | instid1(VALU_DEP_2)
	v_dual_mov_b32 v3, v5 :: v_dual_sub_nc_u32 v0, 0x71, v81
	v_cmp_gt_u32_e32 vcc_lo, 0x72, v81
	v_cndmask_b32_e32 v0, 0, v0, vcc_lo
	v_cmp_eq_u32_e32 vcc_lo, 0, v81
	s_delay_alu instid0(VALU_DEP_2) | instskip(NEXT) | instid1(VALU_DEP_1)
	v_cndmask_b32_e64 v83, v0, 0x70, vcc_lo
	v_dual_cndmask_b32 v2, v2, v4, vcc_lo :: v_dual_add_nc_u32 v0, 21, v83
	v_add_nc_u32_e32 v84, 20, v83
	s_delay_alu instid0(VALU_DEP_2) | instskip(NEXT) | instid1(VALU_DEP_2)
	v_lshlrev_b64_e64 v[0:1], v0, -1
	v_lshlrev_b64_e64 v[84:85], v84, 1
	s_delay_alu instid0(VALU_DEP_2) | instskip(NEXT) | instid1(VALU_DEP_3)
	v_bfi_b32 v87, v1, 0, 0
	v_bfi_b32 v86, v0, 0, v2
	v_lshrrev_b64 v[0:1], v83, v[2:3]
	s_delay_alu instid0(VALU_DEP_1) | instskip(NEXT) | instid1(VALU_DEP_3)
	v_mov_b64_e32 v[2:3], v[0:1]
	v_cmpx_eq_u64_e64 v[86:87], v[84:85]
; %bb.6121:                             ;   in Loop: Header=BB6_4897 Depth=2
	v_bfe_u32 v2, v0, 21, 1
	v_mov_b32_e32 v3, v5
	s_delay_alu instid0(VALU_DEP_1) | instskip(NEXT) | instid1(VALU_DEP_1)
	v_add_nc_u64_e32 v[2:3], v[0:1], v[2:3]
	v_add_nc_u64_e32 v[2:3], -1, v[2:3]
; %bb.6122:                             ;   in Loop: Header=BB6_4897 Depth=2
	s_or_b32 exec_lo, exec_lo, s27
	v_add_nc_u32_e32 v1, 0xffffff81, v81
	v_lshrrev_b32_e32 v3, 23, v0
	s_mov_b32 s7, exec_lo
	s_delay_alu instid0(VALU_DEP_2) | instskip(NEXT) | instid1(VALU_DEP_1)
	v_cndmask_b32_e64 v1, v1, 0xffffff82, vcc_lo
	v_add3_u32 v3, v83, v1, v3
	v_and_b32_e32 v1, 0x1fffff, v2
                                        ; implicit-def: $vgpr2
	s_delay_alu instid0(VALU_DEP_1) | instskip(NEXT) | instid1(VALU_DEP_1)
	v_dual_add_nc_u32 v81, 14, v3 :: v_dual_add_nc_u32 v4, v1, v0
                                        ; implicit-def: $vgpr0_vgpr1
	v_cmpx_ne_u32_e32 0, v81
	s_xor_b32 s7, exec_lo, s7
; %bb.6123:                             ;   in Loop: Header=BB6_4897 Depth=2
	s_delay_alu instid0(VALU_DEP_2) | instskip(SKIP_1) | instid1(VALU_DEP_1)
	v_cmp_lt_u64_e32 vcc_lo, 0xffffff, v[4:5]
	v_add_nc_u32_e32 v0, 15, v3
	v_cndmask_b32_e32 v2, v81, v0, vcc_lo
	v_cndmask_b32_e64 v0, 0, 1, vcc_lo
	s_delay_alu instid0(VALU_DEP_1)
	v_lshrrev_b64 v[0:1], v0, v[4:5]
; %bb.6124:                             ;   in Loop: Header=BB6_4897 Depth=2
	s_and_not1_saveexec_b32 s7, s7
; %bb.6125:                             ;   in Loop: Header=BB6_4897 Depth=2
	v_mov_b64_e32 v[0:1], v[4:5]
	v_bfe_u32 v2, v4, 23, 1
; %bb.6126:                             ;   in Loop: Header=BB6_4897 Depth=2
	s_or_b32 exec_lo, exec_lo, s7
	s_delay_alu instid0(VALU_DEP_2) | instskip(NEXT) | instid1(VALU_DEP_2)
	v_lshrrev_b64 v[0:1], 21, v[0:1]
	v_cmp_gt_i32_e32 vcc_lo, 32, v2
	v_min_i32_e32 v3, 31, v2
	v_cmp_eq_u32_e64 s7, 0, v2
	s_delay_alu instid0(VALU_DEP_2) | instskip(SKIP_1) | instid1(VALU_DEP_2)
	v_dual_cndmask_b32 v1, 0, v1, vcc_lo :: v_dual_lshlrev_b32 v3, 2, v3
	v_cndmask_b32_e32 v0, 3, v0, vcc_lo
	v_and_b32_e32 v3, 0xfc, v3
	s_delay_alu instid0(VALU_DEP_2) | instskip(NEXT) | instid1(VALU_DEP_2)
	v_cmp_eq_u64_e32 vcc_lo, 0, v[0:1]
	v_and_or_b32 v0, v0, 3, v3
	s_and_b32 s7, s7, vcc_lo
	s_delay_alu instid0(VALU_DEP_1) | instid1(SALU_CYCLE_1)
	v_cndmask_b32_e64 v0, v0, 0, s7
	s_delay_alu instid0(VALU_DEP_1)
	v_or_b32_e32 v81, v0, v82
.LBB6_6127:                             ;   in Loop: Header=BB6_4897 Depth=2
	s_or_b32 exec_lo, exec_lo, s26
                                        ; implicit-def: $vgpr82
.LBB6_6128:                             ;   in Loop: Header=BB6_4897 Depth=2
	s_and_not1_saveexec_b32 s7, s25
; %bb.6129:                             ;   in Loop: Header=BB6_4897 Depth=2
	v_or_b32_e32 v81, 0x7b, v82
; %bb.6130:                             ;   in Loop: Header=BB6_4897 Depth=2
	s_or_b32 exec_lo, exec_lo, s7
                                        ; implicit-def: $vgpr0
                                        ; implicit-def: $vgpr1
.LBB6_6131:                             ;   in Loop: Header=BB6_4897 Depth=2
	s_and_not1_saveexec_b32 s7, s24
	s_cbranch_execz .LBB6_6137
; %bb.6132:                             ;   in Loop: Header=BB6_4897 Depth=2
	s_mov_b32 s24, exec_lo
                                        ; implicit-def: $vgpr81
	v_cmpx_ne_u64_e32 0, v[4:5]
	s_xor_b32 s24, exec_lo, s24
; %bb.6133:                             ;   in Loop: Header=BB6_4897 Depth=2
	v_or_b32_e32 v81, 0x7f, v1
                                        ; implicit-def: $vgpr0
; %bb.6134:                             ;   in Loop: Header=BB6_4897 Depth=2
	s_and_not1_saveexec_b32 s24, s24
; %bb.6135:                             ;   in Loop: Header=BB6_4897 Depth=2
	v_cmp_lt_i32_e32 vcc_lo, -1, v0
	v_cndmask_b32_e32 v81, 0xfc, v104, vcc_lo
; %bb.6136:                             ;   in Loop: Header=BB6_4897 Depth=2
	s_or_b32 exec_lo, exec_lo, s24
.LBB6_6137:                             ;   in Loop: Header=BB6_4897 Depth=2
	s_delay_alu instid0(SALU_CYCLE_1)
	s_or_b32 exec_lo, exec_lo, s7
	v_dual_mov_b32 v1, 0 :: v_dual_mov_b32 v2, 0
	s_mov_b32 s7, exec_lo
	v_cmpx_lt_u64_e64 s[12:13], v[34:35]
	s_cbranch_execz .LBB6_6147
; %bb.6138:                             ;   in Loop: Header=BB6_4897 Depth=2
	v_lshrrev_b32_e32 v0, 24, v35
	v_bfrev_b32_e32 v2, 1
	s_mov_b32 s24, exec_lo
	s_delay_alu instid0(VALU_DEP_2)
	v_cmpx_ne_u32_e32 0x80, v0
	s_cbranch_execz .LBB6_6146
; %bb.6139:                             ;   in Loop: Header=BB6_4897 Depth=2
	v_and_b32_e32 v2, 0x7c000000, v35
	v_bfe_u32 v3, v35, 24, 2
	s_delay_alu instid0(VALU_DEP_2) | instskip(SKIP_1) | instid1(SALU_CYCLE_1)
	v_cmp_ne_u32_e32 vcc_lo, 0x7c000000, v2
                                        ; implicit-def: $vgpr2
	s_and_saveexec_b32 s25, vcc_lo
	s_xor_b32 s25, exec_lo, s25
	s_cbranch_execz .LBB6_6143
; %bb.6140:                             ;   in Loop: Header=BB6_4897 Depth=2
	v_bfe_u32 v2, v35, 26, 5
	s_mov_b32 s26, exec_lo
	s_delay_alu instid0(VALU_DEP_1)
	v_cmpx_eq_u32_e32 0, v2
; %bb.6141:                             ;   in Loop: Header=BB6_4897 Depth=2
	v_clz_i32_u32_e32 v2, v3
	s_delay_alu instid0(VALU_DEP_1) | instskip(NEXT) | instid1(VALU_DEP_1)
	v_min_u32_e32 v2, 32, v2
	v_subrev_nc_u32_e32 v3, 29, v2
	v_sub_nc_u32_e32 v2, 30, v2
	s_delay_alu instid0(VALU_DEP_2) | instskip(NEXT) | instid1(VALU_DEP_1)
	v_lshlrev_b64_e32 v[82:83], v3, v[0:1]
	v_and_b32_e32 v3, 3, v82
; %bb.6142:                             ;   in Loop: Header=BB6_4897 Depth=2
	s_or_b32 exec_lo, exec_lo, s26
	v_and_b32_e32 v0, 0x80000000, v35
                                        ; implicit-def: $vgpr34_vgpr35
	s_delay_alu instid0(VALU_DEP_1) | instskip(NEXT) | instid1(VALU_DEP_1)
	v_lshl_add_u32 v0, v2, 23, v0
	v_lshl_or_b32 v0, v3, 21, v0
                                        ; implicit-def: $vgpr3
	s_delay_alu instid0(VALU_DEP_1)
	v_add_nc_u32_e32 v2, 0x38000000, v0
.LBB6_6143:                             ;   in Loop: Header=BB6_4897 Depth=2
	s_and_not1_saveexec_b32 s25, s25
; %bb.6144:                             ;   in Loop: Header=BB6_4897 Depth=2
	v_cmp_lt_i64_e32 vcc_lo, -1, v[34:35]
	v_cndmask_b32_e32 v0, 0xff800000, v105, vcc_lo
	v_cmp_eq_u32_e32 vcc_lo, 0, v3
	s_delay_alu instid0(VALU_DEP_2)
	v_cndmask_b32_e32 v2, 0x7f800001, v0, vcc_lo
; %bb.6145:                             ;   in Loop: Header=BB6_4897 Depth=2
	s_or_b32 exec_lo, exec_lo, s25
.LBB6_6146:                             ;   in Loop: Header=BB6_4897 Depth=2
	s_delay_alu instid0(SALU_CYCLE_1)
	s_or_b32 exec_lo, exec_lo, s24
.LBB6_6147:                             ;   in Loop: Header=BB6_4897 Depth=2
	s_delay_alu instid0(SALU_CYCLE_1) | instskip(NEXT) | instid1(SALU_CYCLE_1)
	s_or_b32 exec_lo, exec_lo, s7
	s_mov_b32 s7, exec_lo
	v_cmpx_lt_u64_e64 s[12:13], v[28:29]
	s_cbranch_execz .LBB6_6157
; %bb.6148:                             ;   in Loop: Header=BB6_4897 Depth=2
	v_lshrrev_b32_e32 v0, 24, v29
	v_bfrev_b32_e32 v1, 1
	s_mov_b32 s24, exec_lo
	s_delay_alu instid0(VALU_DEP_2)
	v_cmpx_ne_u32_e32 0x80, v0
	s_cbranch_execz .LBB6_6156
; %bb.6149:                             ;   in Loop: Header=BB6_4897 Depth=2
	v_and_b32_e32 v1, 0x7c000000, v29
	v_bfe_u32 v3, v29, 24, 2
	s_delay_alu instid0(VALU_DEP_2) | instskip(SKIP_1) | instid1(SALU_CYCLE_1)
	v_cmp_ne_u32_e32 vcc_lo, 0x7c000000, v1
                                        ; implicit-def: $vgpr1
	s_and_saveexec_b32 s25, vcc_lo
	s_xor_b32 s25, exec_lo, s25
	s_cbranch_execz .LBB6_6153
; %bb.6150:                             ;   in Loop: Header=BB6_4897 Depth=2
	v_bfe_u32 v1, v29, 26, 5
	s_mov_b32 s26, exec_lo
	s_delay_alu instid0(VALU_DEP_1)
	v_cmpx_eq_u32_e32 0, v1
; %bb.6151:                             ;   in Loop: Header=BB6_4897 Depth=2
	v_clz_i32_u32_e32 v1, v3
	s_delay_alu instid0(VALU_DEP_1) | instskip(NEXT) | instid1(VALU_DEP_1)
	v_min_u32_e32 v3, 32, v1
	v_subrev_nc_u32_e32 v1, 29, v3
	s_delay_alu instid0(VALU_DEP_1) | instskip(NEXT) | instid1(VALU_DEP_1)
	v_lshlrev_b64_e32 v[0:1], v1, v[0:1]
	v_dual_sub_nc_u32 v1, 30, v3 :: v_dual_bitop2_b32 v3, 3, v0 bitop3:0x40
; %bb.6152:                             ;   in Loop: Header=BB6_4897 Depth=2
	s_or_b32 exec_lo, exec_lo, s26
	v_and_b32_e32 v0, 0x80000000, v29
                                        ; implicit-def: $vgpr28_vgpr29
	s_delay_alu instid0(VALU_DEP_1) | instskip(NEXT) | instid1(VALU_DEP_1)
	v_lshl_add_u32 v0, v1, 23, v0
	v_lshl_or_b32 v0, v3, 21, v0
                                        ; implicit-def: $vgpr3
	s_delay_alu instid0(VALU_DEP_1)
	v_add_nc_u32_e32 v1, 0x38000000, v0
.LBB6_6153:                             ;   in Loop: Header=BB6_4897 Depth=2
	s_and_not1_saveexec_b32 s25, s25
; %bb.6154:                             ;   in Loop: Header=BB6_4897 Depth=2
	v_cmp_lt_i64_e32 vcc_lo, -1, v[28:29]
	v_cndmask_b32_e32 v0, 0xff800000, v105, vcc_lo
	v_cmp_eq_u32_e32 vcc_lo, 0, v3
	s_delay_alu instid0(VALU_DEP_2)
	v_cndmask_b32_e32 v1, 0x7f800001, v0, vcc_lo
; %bb.6155:                             ;   in Loop: Header=BB6_4897 Depth=2
	s_or_b32 exec_lo, exec_lo, s25
.LBB6_6156:                             ;   in Loop: Header=BB6_4897 Depth=2
	s_delay_alu instid0(SALU_CYCLE_1)
	s_or_b32 exec_lo, exec_lo, s24
.LBB6_6157:                             ;   in Loop: Header=BB6_4897 Depth=2
	s_delay_alu instid0(SALU_CYCLE_1) | instskip(NEXT) | instid1(VALU_DEP_1)
	s_or_b32 exec_lo, exec_lo, s7
	v_dual_mul_f32 v0, v2, v1 :: v_dual_mov_b32 v3, v5
                                        ; implicit-def: $vgpr28
	s_mov_b32 s7, exec_lo
	s_delay_alu instid0(VALU_DEP_1) | instskip(SKIP_2) | instid1(VALU_DEP_3)
	v_and_b32_e32 v2, 0x7f800000, v0
	v_and_b32_e32 v4, 0x7fffff, v0
	v_lshrrev_b32_e32 v1, 24, v0
	v_cmpx_ne_u64_e32 0x7f800000, v[2:3]
	s_xor_b32 s24, exec_lo, s7
	s_cbranch_execz .LBB6_6171
; %bb.6158:                             ;   in Loop: Header=BB6_4897 Depth=2
	v_and_b32_e32 v2, 0x7fffffff, v0
	v_mov_b32_e32 v3, v5
	v_and_b32_e32 v29, 0x80, v1
                                        ; implicit-def: $vgpr28
	s_mov_b32 s7, exec_lo
	s_delay_alu instid0(VALU_DEP_2)
	v_cmpx_gt_u64_e32 0x47600001, v[2:3]
	s_xor_b32 s25, exec_lo, s7
	s_cbranch_execz .LBB6_6168
; %bb.6159:                             ;   in Loop: Header=BB6_4897 Depth=2
	v_mov_b32_e32 v28, 0
	s_mov_b32 s26, exec_lo
	v_cmpx_ne_u32_e32 0, v0
	s_cbranch_execz .LBB6_6167
; %bb.6160:                             ;   in Loop: Header=BB6_4897 Depth=2
	v_bfe_u32 v28, v0, 23, 8
	v_or_b32_e32 v2, 0x800000, v4
	s_mov_b32 s27, exec_lo
	s_delay_alu instid0(VALU_DEP_2) | instskip(SKIP_1) | instid1(VALU_DEP_2)
	v_dual_mov_b32 v3, v5 :: v_dual_sub_nc_u32 v0, 0x71, v28
	v_cmp_gt_u32_e32 vcc_lo, 0x72, v28
	v_cndmask_b32_e32 v0, 0, v0, vcc_lo
	v_cmp_eq_u32_e32 vcc_lo, 0, v28
	s_delay_alu instid0(VALU_DEP_2) | instskip(NEXT) | instid1(VALU_DEP_1)
	v_cndmask_b32_e64 v34, v0, 0x70, vcc_lo
	v_dual_cndmask_b32 v2, v2, v4, vcc_lo :: v_dual_add_nc_u32 v0, 21, v34
	v_add_nc_u32_e32 v35, 20, v34
	s_delay_alu instid0(VALU_DEP_2) | instskip(NEXT) | instid1(VALU_DEP_2)
	v_lshlrev_b64_e64 v[0:1], v0, -1
	v_lshlrev_b64_e64 v[82:83], v35, 1
	s_delay_alu instid0(VALU_DEP_2) | instskip(NEXT) | instid1(VALU_DEP_3)
	v_bfi_b32 v85, v1, 0, 0
	v_bfi_b32 v84, v0, 0, v2
	v_lshrrev_b64 v[0:1], v34, v[2:3]
	s_delay_alu instid0(VALU_DEP_1) | instskip(NEXT) | instid1(VALU_DEP_3)
	v_mov_b64_e32 v[2:3], v[0:1]
	v_cmpx_eq_u64_e64 v[84:85], v[82:83]
; %bb.6161:                             ;   in Loop: Header=BB6_4897 Depth=2
	v_bfe_u32 v2, v0, 21, 1
	v_mov_b32_e32 v3, v5
	s_delay_alu instid0(VALU_DEP_1) | instskip(NEXT) | instid1(VALU_DEP_1)
	v_add_nc_u64_e32 v[2:3], v[0:1], v[2:3]
	v_add_nc_u64_e32 v[2:3], -1, v[2:3]
; %bb.6162:                             ;   in Loop: Header=BB6_4897 Depth=2
	s_or_b32 exec_lo, exec_lo, s27
	v_add_nc_u32_e32 v1, 0xffffff81, v28
	v_lshrrev_b32_e32 v3, 23, v0
	s_mov_b32 s7, exec_lo
	s_delay_alu instid0(VALU_DEP_2) | instskip(NEXT) | instid1(VALU_DEP_1)
	v_cndmask_b32_e64 v1, v1, 0xffffff82, vcc_lo
	v_add3_u32 v3, v34, v1, v3
	v_and_b32_e32 v1, 0x1fffff, v2
                                        ; implicit-def: $vgpr2
	s_delay_alu instid0(VALU_DEP_1) | instskip(NEXT) | instid1(VALU_DEP_1)
	v_dual_add_nc_u32 v28, 14, v3 :: v_dual_add_nc_u32 v4, v1, v0
                                        ; implicit-def: $vgpr0_vgpr1
	v_cmpx_ne_u32_e32 0, v28
	s_xor_b32 s7, exec_lo, s7
; %bb.6163:                             ;   in Loop: Header=BB6_4897 Depth=2
	s_delay_alu instid0(VALU_DEP_2) | instskip(SKIP_1) | instid1(VALU_DEP_1)
	v_cmp_lt_u64_e32 vcc_lo, 0xffffff, v[4:5]
	v_add_nc_u32_e32 v0, 15, v3
	v_cndmask_b32_e32 v2, v28, v0, vcc_lo
	v_cndmask_b32_e64 v0, 0, 1, vcc_lo
	s_delay_alu instid0(VALU_DEP_1)
	v_lshrrev_b64 v[0:1], v0, v[4:5]
; %bb.6164:                             ;   in Loop: Header=BB6_4897 Depth=2
	s_and_not1_saveexec_b32 s7, s7
; %bb.6165:                             ;   in Loop: Header=BB6_4897 Depth=2
	v_mov_b64_e32 v[0:1], v[4:5]
	v_bfe_u32 v2, v4, 23, 1
; %bb.6166:                             ;   in Loop: Header=BB6_4897 Depth=2
	s_or_b32 exec_lo, exec_lo, s7
	s_delay_alu instid0(VALU_DEP_2) | instskip(NEXT) | instid1(VALU_DEP_2)
	v_lshrrev_b64 v[0:1], 21, v[0:1]
	v_cmp_gt_i32_e32 vcc_lo, 32, v2
	v_min_i32_e32 v3, 31, v2
	v_cmp_eq_u32_e64 s7, 0, v2
	s_delay_alu instid0(VALU_DEP_2) | instskip(SKIP_1) | instid1(VALU_DEP_2)
	v_dual_cndmask_b32 v1, 0, v1, vcc_lo :: v_dual_lshlrev_b32 v3, 2, v3
	v_cndmask_b32_e32 v0, 3, v0, vcc_lo
	v_and_b32_e32 v3, 0xfc, v3
	s_delay_alu instid0(VALU_DEP_2) | instskip(NEXT) | instid1(VALU_DEP_2)
	v_cmp_eq_u64_e32 vcc_lo, 0, v[0:1]
	v_and_or_b32 v0, v0, 3, v3
	s_and_b32 s7, s7, vcc_lo
	s_delay_alu instid0(VALU_DEP_1) | instid1(SALU_CYCLE_1)
	v_cndmask_b32_e64 v0, v0, 0, s7
	s_delay_alu instid0(VALU_DEP_1)
	v_or_b32_e32 v28, v0, v29
.LBB6_6167:                             ;   in Loop: Header=BB6_4897 Depth=2
	s_or_b32 exec_lo, exec_lo, s26
                                        ; implicit-def: $vgpr29
.LBB6_6168:                             ;   in Loop: Header=BB6_4897 Depth=2
	s_and_not1_saveexec_b32 s7, s25
; %bb.6169:                             ;   in Loop: Header=BB6_4897 Depth=2
	v_or_b32_e32 v28, 0x7b, v29
; %bb.6170:                             ;   in Loop: Header=BB6_4897 Depth=2
	s_or_b32 exec_lo, exec_lo, s7
                                        ; implicit-def: $vgpr0
                                        ; implicit-def: $vgpr1
.LBB6_6171:                             ;   in Loop: Header=BB6_4897 Depth=2
	s_and_not1_saveexec_b32 s7, s24
	s_cbranch_execz .LBB6_6177
; %bb.6172:                             ;   in Loop: Header=BB6_4897 Depth=2
	s_mov_b32 s24, exec_lo
                                        ; implicit-def: $vgpr28
	v_cmpx_ne_u64_e32 0, v[4:5]
	s_xor_b32 s24, exec_lo, s24
; %bb.6173:                             ;   in Loop: Header=BB6_4897 Depth=2
	v_or_b32_e32 v28, 0x7f, v1
                                        ; implicit-def: $vgpr0
; %bb.6174:                             ;   in Loop: Header=BB6_4897 Depth=2
	s_and_not1_saveexec_b32 s24, s24
; %bb.6175:                             ;   in Loop: Header=BB6_4897 Depth=2
	v_cmp_lt_i32_e32 vcc_lo, -1, v0
	v_cndmask_b32_e32 v28, 0xfc, v104, vcc_lo
; %bb.6176:                             ;   in Loop: Header=BB6_4897 Depth=2
	s_or_b32 exec_lo, exec_lo, s24
.LBB6_6177:                             ;   in Loop: Header=BB6_4897 Depth=2
	s_delay_alu instid0(SALU_CYCLE_1) | instskip(SKIP_2) | instid1(VALU_DEP_2)
	s_or_b32 exec_lo, exec_lo, s7
	v_and_b32_e32 v1, 0xff, v22
	v_mov_b32_e32 v0, 0
	v_cmp_ne_u16_e32 vcc_lo, 0, v1
	v_mov_b32_e32 v1, 0
	s_and_saveexec_b32 s7, vcc_lo
	s_cbranch_execz .LBB6_6187
; %bb.6178:                             ;   in Loop: Header=BB6_4897 Depth=2
	v_bfe_i32 v3, v22, 0, 8
	v_bfrev_b32_e32 v1, 1
	s_mov_b32 s24, exec_lo
	s_delay_alu instid0(VALU_DEP_2)
	v_cmpx_ne_u16_e32 0xff80, v3
	s_cbranch_execz .LBB6_6186
; %bb.6179:                             ;   in Loop: Header=BB6_4897 Depth=2
	v_and_b32_e32 v1, 0x7c, v22
	v_and_b32_e32 v2, 3, v22
	s_delay_alu instid0(VALU_DEP_2) | instskip(SKIP_1) | instid1(SALU_CYCLE_1)
	v_cmp_ne_u32_e32 vcc_lo, 0x7c, v1
                                        ; implicit-def: $vgpr1
	s_and_saveexec_b32 s25, vcc_lo
	s_xor_b32 s25, exec_lo, s25
	s_cbranch_execz .LBB6_6183
; %bb.6180:                             ;   in Loop: Header=BB6_4897 Depth=2
	v_bfe_u32 v1, v22, 2, 5
	s_mov_b32 s26, exec_lo
	s_delay_alu instid0(VALU_DEP_1)
	v_cmpx_eq_u32_e32 0, v1
; %bb.6181:                             ;   in Loop: Header=BB6_4897 Depth=2
	v_clz_i32_u32_e32 v1, v2
	s_delay_alu instid0(VALU_DEP_1) | instskip(NEXT) | instid1(VALU_DEP_1)
	v_min_u32_e32 v1, 32, v1
	v_subrev_nc_u32_e32 v2, 29, v1
	s_delay_alu instid0(VALU_DEP_1) | instskip(NEXT) | instid1(VALU_DEP_1)
	v_lshlrev_b64_e32 v[2:3], v2, v[22:23]
	v_dual_sub_nc_u32 v1, 30, v1 :: v_dual_bitop2_b32 v2, 3, v2 bitop3:0x40
; %bb.6182:                             ;   in Loop: Header=BB6_4897 Depth=2
	s_or_b32 exec_lo, exec_lo, s26
	v_lshlrev_b32_e32 v3, 24, v22
	s_delay_alu instid0(VALU_DEP_1) | instskip(NEXT) | instid1(VALU_DEP_1)
	v_and_b32_e32 v3, 0x80000000, v3
	v_lshl_add_u32 v1, v1, 23, v3
                                        ; implicit-def: $vgpr3
	s_delay_alu instid0(VALU_DEP_1) | instskip(NEXT) | instid1(VALU_DEP_1)
	v_lshl_or_b32 v1, v2, 21, v1
                                        ; implicit-def: $vgpr2
	v_add_nc_u32_e32 v1, 0x38000000, v1
.LBB6_6183:                             ;   in Loop: Header=BB6_4897 Depth=2
	s_and_not1_saveexec_b32 s25, s25
; %bb.6184:                             ;   in Loop: Header=BB6_4897 Depth=2
	v_cmp_lt_i16_e32 vcc_lo, -1, v3
	v_cndmask_b32_e32 v1, 0xff800000, v105, vcc_lo
	v_cmp_eq_u32_e32 vcc_lo, 0, v2
	s_delay_alu instid0(VALU_DEP_2)
	v_cndmask_b32_e32 v1, 0x7f800001, v1, vcc_lo
; %bb.6185:                             ;   in Loop: Header=BB6_4897 Depth=2
	s_or_b32 exec_lo, exec_lo, s25
.LBB6_6186:                             ;   in Loop: Header=BB6_4897 Depth=2
	s_delay_alu instid0(SALU_CYCLE_1)
	s_or_b32 exec_lo, exec_lo, s24
.LBB6_6187:                             ;   in Loop: Header=BB6_4897 Depth=2
	s_delay_alu instid0(SALU_CYCLE_1) | instskip(SKIP_3) | instid1(VALU_DEP_1)
	s_or_b32 exec_lo, exec_lo, s7
	s_wait_loadcnt 0x1
	v_and_b32_e32 v2, 0xff, v18
	s_mov_b32 s7, exec_lo
	v_cmpx_ne_u16_e32 0, v2
	s_cbranch_execz .LBB6_6197
; %bb.6188:                             ;   in Loop: Header=BB6_4897 Depth=2
	v_bfe_i32 v3, v18, 0, 8
	v_bfrev_b32_e32 v0, 1
	s_mov_b32 s24, exec_lo
	s_delay_alu instid0(VALU_DEP_2)
	v_cmpx_ne_u16_e32 0xff80, v3
	s_cbranch_execz .LBB6_6196
; %bb.6189:                             ;   in Loop: Header=BB6_4897 Depth=2
	v_and_b32_e32 v0, 0x7c, v18
	v_and_b32_e32 v2, 3, v18
	s_delay_alu instid0(VALU_DEP_2) | instskip(SKIP_1) | instid1(SALU_CYCLE_1)
	v_cmp_ne_u32_e32 vcc_lo, 0x7c, v0
                                        ; implicit-def: $vgpr0
	s_and_saveexec_b32 s25, vcc_lo
	s_xor_b32 s25, exec_lo, s25
	s_cbranch_execz .LBB6_6193
; %bb.6190:                             ;   in Loop: Header=BB6_4897 Depth=2
	v_bfe_u32 v0, v18, 2, 5
	s_mov_b32 s26, exec_lo
	s_delay_alu instid0(VALU_DEP_1)
	v_cmpx_eq_u32_e32 0, v0
; %bb.6191:                             ;   in Loop: Header=BB6_4897 Depth=2
	v_clz_i32_u32_e32 v0, v2
	s_delay_alu instid0(VALU_DEP_1) | instskip(NEXT) | instid1(VALU_DEP_1)
	v_min_u32_e32 v0, 32, v0
	v_subrev_nc_u32_e32 v2, 29, v0
	s_delay_alu instid0(VALU_DEP_1) | instskip(NEXT) | instid1(VALU_DEP_1)
	v_lshlrev_b64_e32 v[2:3], v2, v[18:19]
	v_dual_sub_nc_u32 v0, 30, v0 :: v_dual_bitop2_b32 v2, 3, v2 bitop3:0x40
; %bb.6192:                             ;   in Loop: Header=BB6_4897 Depth=2
	s_or_b32 exec_lo, exec_lo, s26
	v_lshlrev_b32_e32 v3, 24, v18
	s_delay_alu instid0(VALU_DEP_1) | instskip(NEXT) | instid1(VALU_DEP_1)
	v_and_b32_e32 v3, 0x80000000, v3
	v_lshl_add_u32 v0, v0, 23, v3
                                        ; implicit-def: $vgpr3
	s_delay_alu instid0(VALU_DEP_1) | instskip(NEXT) | instid1(VALU_DEP_1)
	v_lshl_or_b32 v0, v2, 21, v0
                                        ; implicit-def: $vgpr2
	v_add_nc_u32_e32 v0, 0x38000000, v0
.LBB6_6193:                             ;   in Loop: Header=BB6_4897 Depth=2
	s_and_not1_saveexec_b32 s25, s25
; %bb.6194:                             ;   in Loop: Header=BB6_4897 Depth=2
	v_cmp_lt_i16_e32 vcc_lo, -1, v3
	v_cndmask_b32_e32 v0, 0xff800000, v105, vcc_lo
	v_cmp_eq_u32_e32 vcc_lo, 0, v2
	s_delay_alu instid0(VALU_DEP_2)
	v_cndmask_b32_e32 v0, 0x7f800001, v0, vcc_lo
; %bb.6195:                             ;   in Loop: Header=BB6_4897 Depth=2
	s_or_b32 exec_lo, exec_lo, s25
.LBB6_6196:                             ;   in Loop: Header=BB6_4897 Depth=2
	s_delay_alu instid0(SALU_CYCLE_1)
	s_or_b32 exec_lo, exec_lo, s24
.LBB6_6197:                             ;   in Loop: Header=BB6_4897 Depth=2
	s_delay_alu instid0(SALU_CYCLE_1) | instskip(NEXT) | instid1(VALU_DEP_1)
	s_or_b32 exec_lo, exec_lo, s7
	v_mul_f32_e32 v0, v1, v0
	v_mov_b32_e32 v3, v5
                                        ; implicit-def: $vgpr29
	s_mov_b32 s7, exec_lo
	s_delay_alu instid0(VALU_DEP_2) | instskip(SKIP_2) | instid1(VALU_DEP_3)
	v_and_b32_e32 v2, 0x7f800000, v0
	v_and_b32_e32 v4, 0x7fffff, v0
	v_lshrrev_b32_e32 v1, 24, v0
	v_cmpx_ne_u64_e32 0x7f800000, v[2:3]
	s_xor_b32 s24, exec_lo, s7
	s_cbranch_execz .LBB6_6211
; %bb.6198:                             ;   in Loop: Header=BB6_4897 Depth=2
	v_and_b32_e32 v2, 0x7fffffff, v0
	v_mov_b32_e32 v3, v5
	v_and_b32_e32 v34, 0x80, v1
                                        ; implicit-def: $vgpr29
	s_mov_b32 s7, exec_lo
	s_delay_alu instid0(VALU_DEP_2)
	v_cmpx_gt_u64_e32 0x47600001, v[2:3]
	s_xor_b32 s25, exec_lo, s7
	s_cbranch_execz .LBB6_6208
; %bb.6199:                             ;   in Loop: Header=BB6_4897 Depth=2
	v_mov_b32_e32 v29, 0
	s_mov_b32 s26, exec_lo
	v_cmpx_ne_u32_e32 0, v0
	s_cbranch_execz .LBB6_6207
; %bb.6200:                             ;   in Loop: Header=BB6_4897 Depth=2
	v_bfe_u32 v29, v0, 23, 8
	v_or_b32_e32 v2, 0x800000, v4
	s_mov_b32 s27, exec_lo
	s_delay_alu instid0(VALU_DEP_2) | instskip(SKIP_1) | instid1(VALU_DEP_2)
	v_dual_mov_b32 v3, v5 :: v_dual_sub_nc_u32 v0, 0x71, v29
	v_cmp_gt_u32_e32 vcc_lo, 0x72, v29
	v_cndmask_b32_e32 v0, 0, v0, vcc_lo
	v_cmp_eq_u32_e32 vcc_lo, 0, v29
	s_delay_alu instid0(VALU_DEP_2) | instskip(NEXT) | instid1(VALU_DEP_1)
	v_cndmask_b32_e64 v35, v0, 0x70, vcc_lo
	v_dual_cndmask_b32 v2, v2, v4, vcc_lo :: v_dual_add_nc_u32 v0, 21, v35
	v_add_nc_u32_e32 v82, 20, v35
	s_delay_alu instid0(VALU_DEP_2) | instskip(NEXT) | instid1(VALU_DEP_2)
	v_lshlrev_b64_e64 v[0:1], v0, -1
	v_lshlrev_b64_e64 v[82:83], v82, 1
	s_delay_alu instid0(VALU_DEP_2) | instskip(NEXT) | instid1(VALU_DEP_3)
	v_bfi_b32 v85, v1, 0, 0
	v_bfi_b32 v84, v0, 0, v2
	v_lshrrev_b64 v[0:1], v35, v[2:3]
	s_delay_alu instid0(VALU_DEP_1) | instskip(NEXT) | instid1(VALU_DEP_3)
	v_mov_b64_e32 v[2:3], v[0:1]
	v_cmpx_eq_u64_e64 v[84:85], v[82:83]
; %bb.6201:                             ;   in Loop: Header=BB6_4897 Depth=2
	v_bfe_u32 v2, v0, 21, 1
	v_mov_b32_e32 v3, v5
	s_delay_alu instid0(VALU_DEP_1) | instskip(NEXT) | instid1(VALU_DEP_1)
	v_add_nc_u64_e32 v[2:3], v[0:1], v[2:3]
	v_add_nc_u64_e32 v[2:3], -1, v[2:3]
; %bb.6202:                             ;   in Loop: Header=BB6_4897 Depth=2
	s_or_b32 exec_lo, exec_lo, s27
	v_add_nc_u32_e32 v1, 0xffffff81, v29
	v_lshrrev_b32_e32 v3, 23, v0
	s_mov_b32 s7, exec_lo
	s_delay_alu instid0(VALU_DEP_2) | instskip(NEXT) | instid1(VALU_DEP_1)
	v_cndmask_b32_e64 v1, v1, 0xffffff82, vcc_lo
	v_add3_u32 v3, v35, v1, v3
	v_and_b32_e32 v1, 0x1fffff, v2
                                        ; implicit-def: $vgpr2
	s_delay_alu instid0(VALU_DEP_1) | instskip(NEXT) | instid1(VALU_DEP_1)
	v_dual_add_nc_u32 v29, 14, v3 :: v_dual_add_nc_u32 v4, v1, v0
                                        ; implicit-def: $vgpr0_vgpr1
	v_cmpx_ne_u32_e32 0, v29
	s_xor_b32 s7, exec_lo, s7
; %bb.6203:                             ;   in Loop: Header=BB6_4897 Depth=2
	s_delay_alu instid0(VALU_DEP_2) | instskip(SKIP_1) | instid1(VALU_DEP_1)
	v_cmp_lt_u64_e32 vcc_lo, 0xffffff, v[4:5]
	v_add_nc_u32_e32 v0, 15, v3
	v_cndmask_b32_e32 v2, v29, v0, vcc_lo
	v_cndmask_b32_e64 v0, 0, 1, vcc_lo
	s_delay_alu instid0(VALU_DEP_1)
	v_lshrrev_b64 v[0:1], v0, v[4:5]
; %bb.6204:                             ;   in Loop: Header=BB6_4897 Depth=2
	s_and_not1_saveexec_b32 s7, s7
; %bb.6205:                             ;   in Loop: Header=BB6_4897 Depth=2
	v_mov_b64_e32 v[0:1], v[4:5]
	v_bfe_u32 v2, v4, 23, 1
; %bb.6206:                             ;   in Loop: Header=BB6_4897 Depth=2
	s_or_b32 exec_lo, exec_lo, s7
	s_delay_alu instid0(VALU_DEP_2) | instskip(NEXT) | instid1(VALU_DEP_2)
	v_lshrrev_b64 v[0:1], 21, v[0:1]
	v_cmp_gt_i32_e32 vcc_lo, 32, v2
	v_min_i32_e32 v3, 31, v2
	v_cmp_eq_u32_e64 s7, 0, v2
	s_delay_alu instid0(VALU_DEP_2) | instskip(SKIP_1) | instid1(VALU_DEP_2)
	v_dual_cndmask_b32 v1, 0, v1, vcc_lo :: v_dual_lshlrev_b32 v3, 2, v3
	v_cndmask_b32_e32 v0, 3, v0, vcc_lo
	v_and_b32_e32 v3, 0xfc, v3
	s_delay_alu instid0(VALU_DEP_2) | instskip(NEXT) | instid1(VALU_DEP_2)
	v_cmp_eq_u64_e32 vcc_lo, 0, v[0:1]
	v_and_or_b32 v0, v0, 3, v3
	s_and_b32 s7, s7, vcc_lo
	s_delay_alu instid0(VALU_DEP_1) | instid1(SALU_CYCLE_1)
	v_cndmask_b32_e64 v0, v0, 0, s7
	s_delay_alu instid0(VALU_DEP_1)
	v_or_b32_e32 v29, v0, v34
.LBB6_6207:                             ;   in Loop: Header=BB6_4897 Depth=2
	s_or_b32 exec_lo, exec_lo, s26
                                        ; implicit-def: $vgpr34
.LBB6_6208:                             ;   in Loop: Header=BB6_4897 Depth=2
	s_and_not1_saveexec_b32 s7, s25
; %bb.6209:                             ;   in Loop: Header=BB6_4897 Depth=2
	v_or_b32_e32 v29, 0x7b, v34
; %bb.6210:                             ;   in Loop: Header=BB6_4897 Depth=2
	s_or_b32 exec_lo, exec_lo, s7
                                        ; implicit-def: $vgpr0
                                        ; implicit-def: $vgpr1
.LBB6_6211:                             ;   in Loop: Header=BB6_4897 Depth=2
	s_and_not1_saveexec_b32 s7, s24
	s_cbranch_execz .LBB6_6217
; %bb.6212:                             ;   in Loop: Header=BB6_4897 Depth=2
	s_mov_b32 s24, exec_lo
                                        ; implicit-def: $vgpr29
	v_cmpx_ne_u64_e32 0, v[4:5]
	s_xor_b32 s24, exec_lo, s24
; %bb.6213:                             ;   in Loop: Header=BB6_4897 Depth=2
	v_or_b32_e32 v29, 0x7f, v1
                                        ; implicit-def: $vgpr0
; %bb.6214:                             ;   in Loop: Header=BB6_4897 Depth=2
	s_and_not1_saveexec_b32 s24, s24
; %bb.6215:                             ;   in Loop: Header=BB6_4897 Depth=2
	v_cmp_lt_i32_e32 vcc_lo, -1, v0
	v_cndmask_b32_e32 v29, 0xfc, v104, vcc_lo
; %bb.6216:                             ;   in Loop: Header=BB6_4897 Depth=2
	s_or_b32 exec_lo, exec_lo, s24
.LBB6_6217:                             ;   in Loop: Header=BB6_4897 Depth=2
	s_delay_alu instid0(SALU_CYCLE_1) | instskip(SKIP_3) | instid1(VALU_DEP_2)
	s_or_b32 exec_lo, exec_lo, s7
	v_lshrrev_b16 v0, 8, v22
	v_dual_mov_b32 v2, 0 :: v_dual_mov_b32 v3, 0
	s_mov_b32 s7, exec_lo
	v_cmpx_ne_u16_e32 0, v0
	s_cbranch_execz .LBB6_6227
; %bb.6218:                             ;   in Loop: Header=BB6_4897 Depth=2
	v_bfrev_b32_e32 v3, 1
	s_mov_b32 s24, exec_lo
	v_cmpx_ne_u16_e32 0x80, v0
	s_cbranch_execz .LBB6_6226
; %bb.6219:                             ;   in Loop: Header=BB6_4897 Depth=2
	v_and_b32_e32 v4, 0xffff, v0
	s_delay_alu instid0(VALU_DEP_1) | instskip(SKIP_1) | instid1(VALU_DEP_2)
	v_and_b32_e32 v3, 0x7c, v4
	v_and_b32_e32 v1, 3, v4
	v_cmp_ne_u32_e32 vcc_lo, 0x7c, v3
                                        ; implicit-def: $vgpr3
	s_and_saveexec_b32 s25, vcc_lo
	s_delay_alu instid0(SALU_CYCLE_1)
	s_xor_b32 s25, exec_lo, s25
	s_cbranch_execz .LBB6_6223
; %bb.6220:                             ;   in Loop: Header=BB6_4897 Depth=2
	v_bfe_u32 v3, v4, 2, 5
	s_mov_b32 s26, exec_lo
	s_delay_alu instid0(VALU_DEP_1)
	v_cmpx_eq_u32_e32 0, v3
	s_cbranch_execz .LBB6_6222
; %bb.6221:                             ;   in Loop: Header=BB6_4897 Depth=2
	v_clz_i32_u32_e32 v1, v1
	s_delay_alu instid0(VALU_DEP_1) | instskip(SKIP_1) | instid1(VALU_DEP_2)
	v_min_u32_e32 v3, 32, v1
	v_mov_b32_e32 v1, v5
	v_subrev_nc_u32_e32 v4, 29, v3
	v_sub_nc_u32_e32 v3, 30, v3
	s_delay_alu instid0(VALU_DEP_2) | instskip(NEXT) | instid1(VALU_DEP_1)
	v_lshlrev_b64_e32 v[0:1], v4, v[0:1]
	v_and_b32_e32 v1, 3, v0
.LBB6_6222:                             ;   in Loop: Header=BB6_4897 Depth=2
	s_or_b32 exec_lo, exec_lo, s26
	v_lshlrev_b32_e32 v0, 16, v22
	s_delay_alu instid0(VALU_DEP_1) | instskip(NEXT) | instid1(VALU_DEP_1)
	v_and_b32_e32 v0, 0x80000000, v0
	v_lshl_add_u32 v0, v3, 23, v0
	s_delay_alu instid0(VALU_DEP_1) | instskip(NEXT) | instid1(VALU_DEP_1)
	v_lshl_or_b32 v0, v1, 21, v0
                                        ; implicit-def: $vgpr1
	v_add_nc_u32_e32 v3, 0x38000000, v0
.LBB6_6223:                             ;   in Loop: Header=BB6_4897 Depth=2
	s_and_not1_saveexec_b32 s25, s25
; %bb.6224:                             ;   in Loop: Header=BB6_4897 Depth=2
	v_cmp_lt_i16_e32 vcc_lo, -1, v22
	v_cndmask_b32_e32 v0, 0xff800000, v105, vcc_lo
	v_cmp_eq_u32_e32 vcc_lo, 0, v1
	s_delay_alu instid0(VALU_DEP_2)
	v_cndmask_b32_e32 v3, 0x7f800001, v0, vcc_lo
; %bb.6225:                             ;   in Loop: Header=BB6_4897 Depth=2
	s_or_b32 exec_lo, exec_lo, s25
.LBB6_6226:                             ;   in Loop: Header=BB6_4897 Depth=2
	s_delay_alu instid0(SALU_CYCLE_1)
	s_or_b32 exec_lo, exec_lo, s24
.LBB6_6227:                             ;   in Loop: Header=BB6_4897 Depth=2
	s_delay_alu instid0(SALU_CYCLE_1) | instskip(SKIP_2) | instid1(VALU_DEP_1)
	s_or_b32 exec_lo, exec_lo, s7
	v_lshrrev_b16 v0, 8, v18
	s_mov_b32 s7, exec_lo
	v_cmpx_ne_u16_e32 0, v0
	s_cbranch_execz .LBB6_6237
; %bb.6228:                             ;   in Loop: Header=BB6_4897 Depth=2
	v_bfrev_b32_e32 v2, 1
	s_mov_b32 s24, exec_lo
	v_cmpx_ne_u16_e32 0x80, v0
	s_cbranch_execz .LBB6_6236
; %bb.6229:                             ;   in Loop: Header=BB6_4897 Depth=2
	v_and_b32_e32 v4, 0xffff, v0
	s_delay_alu instid0(VALU_DEP_1) | instskip(SKIP_1) | instid1(VALU_DEP_2)
	v_and_b32_e32 v2, 0x7c, v4
	v_and_b32_e32 v1, 3, v4
	v_cmp_ne_u32_e32 vcc_lo, 0x7c, v2
                                        ; implicit-def: $vgpr2
	s_and_saveexec_b32 s25, vcc_lo
	s_delay_alu instid0(SALU_CYCLE_1)
	s_xor_b32 s25, exec_lo, s25
	s_cbranch_execz .LBB6_6233
; %bb.6230:                             ;   in Loop: Header=BB6_4897 Depth=2
	v_bfe_u32 v2, v4, 2, 5
	s_mov_b32 s26, exec_lo
	s_delay_alu instid0(VALU_DEP_1)
	v_cmpx_eq_u32_e32 0, v2
	s_cbranch_execz .LBB6_6232
; %bb.6231:                             ;   in Loop: Header=BB6_4897 Depth=2
	v_clz_i32_u32_e32 v1, v1
	s_delay_alu instid0(VALU_DEP_1) | instskip(SKIP_1) | instid1(VALU_DEP_2)
	v_min_u32_e32 v2, 32, v1
	v_mov_b32_e32 v1, v5
	v_subrev_nc_u32_e32 v4, 29, v2
	v_sub_nc_u32_e32 v2, 30, v2
	s_delay_alu instid0(VALU_DEP_2) | instskip(NEXT) | instid1(VALU_DEP_1)
	v_lshlrev_b64_e32 v[0:1], v4, v[0:1]
	v_and_b32_e32 v1, 3, v0
.LBB6_6232:                             ;   in Loop: Header=BB6_4897 Depth=2
	s_or_b32 exec_lo, exec_lo, s26
	v_lshlrev_b32_e32 v0, 16, v18
	s_delay_alu instid0(VALU_DEP_1) | instskip(NEXT) | instid1(VALU_DEP_1)
	v_and_b32_e32 v0, 0x80000000, v0
	v_lshl_add_u32 v0, v2, 23, v0
	s_delay_alu instid0(VALU_DEP_1) | instskip(NEXT) | instid1(VALU_DEP_1)
	v_lshl_or_b32 v0, v1, 21, v0
                                        ; implicit-def: $vgpr1
	v_add_nc_u32_e32 v2, 0x38000000, v0
.LBB6_6233:                             ;   in Loop: Header=BB6_4897 Depth=2
	s_and_not1_saveexec_b32 s25, s25
; %bb.6234:                             ;   in Loop: Header=BB6_4897 Depth=2
	v_cmp_lt_i16_e32 vcc_lo, -1, v18
	v_cndmask_b32_e32 v0, 0xff800000, v105, vcc_lo
	v_cmp_eq_u32_e32 vcc_lo, 0, v1
	s_delay_alu instid0(VALU_DEP_2)
	v_cndmask_b32_e32 v2, 0x7f800001, v0, vcc_lo
; %bb.6235:                             ;   in Loop: Header=BB6_4897 Depth=2
	s_or_b32 exec_lo, exec_lo, s25
.LBB6_6236:                             ;   in Loop: Header=BB6_4897 Depth=2
	s_delay_alu instid0(SALU_CYCLE_1)
	s_or_b32 exec_lo, exec_lo, s24
.LBB6_6237:                             ;   in Loop: Header=BB6_4897 Depth=2
	s_delay_alu instid0(SALU_CYCLE_1) | instskip(NEXT) | instid1(VALU_DEP_1)
	s_or_b32 exec_lo, exec_lo, s7
	v_dual_mul_f32 v0, v3, v2 :: v_dual_mov_b32 v3, v5
                                        ; implicit-def: $vgpr34
	s_mov_b32 s7, exec_lo
	s_delay_alu instid0(VALU_DEP_1) | instskip(SKIP_2) | instid1(VALU_DEP_3)
	v_and_b32_e32 v2, 0x7f800000, v0
	v_and_b32_e32 v4, 0x7fffff, v0
	v_lshrrev_b32_e32 v1, 24, v0
	v_cmpx_ne_u64_e32 0x7f800000, v[2:3]
	s_xor_b32 s24, exec_lo, s7
	s_cbranch_execz .LBB6_6251
; %bb.6238:                             ;   in Loop: Header=BB6_4897 Depth=2
	v_and_b32_e32 v2, 0x7fffffff, v0
	v_mov_b32_e32 v3, v5
	v_and_b32_e32 v35, 0x80, v1
                                        ; implicit-def: $vgpr34
	s_mov_b32 s7, exec_lo
	s_delay_alu instid0(VALU_DEP_2)
	v_cmpx_gt_u64_e32 0x47600001, v[2:3]
	s_xor_b32 s25, exec_lo, s7
	s_cbranch_execz .LBB6_6248
; %bb.6239:                             ;   in Loop: Header=BB6_4897 Depth=2
	v_mov_b32_e32 v34, 0
	s_mov_b32 s26, exec_lo
	v_cmpx_ne_u32_e32 0, v0
	s_cbranch_execz .LBB6_6247
; %bb.6240:                             ;   in Loop: Header=BB6_4897 Depth=2
	v_bfe_u32 v34, v0, 23, 8
	v_or_b32_e32 v2, 0x800000, v4
	s_mov_b32 s27, exec_lo
	s_delay_alu instid0(VALU_DEP_2) | instskip(SKIP_1) | instid1(VALU_DEP_2)
	v_dual_mov_b32 v3, v5 :: v_dual_sub_nc_u32 v0, 0x71, v34
	v_cmp_gt_u32_e32 vcc_lo, 0x72, v34
	v_cndmask_b32_e32 v0, 0, v0, vcc_lo
	v_cmp_eq_u32_e32 vcc_lo, 0, v34
	s_delay_alu instid0(VALU_DEP_2) | instskip(NEXT) | instid1(VALU_DEP_1)
	v_cndmask_b32_e64 v82, v0, 0x70, vcc_lo
	v_dual_cndmask_b32 v2, v2, v4, vcc_lo :: v_dual_add_nc_u32 v0, 21, v82
	v_add_nc_u32_e32 v83, 20, v82
	s_delay_alu instid0(VALU_DEP_2) | instskip(NEXT) | instid1(VALU_DEP_2)
	v_lshlrev_b64_e64 v[0:1], v0, -1
	v_lshlrev_b64_e64 v[84:85], v83, 1
	s_delay_alu instid0(VALU_DEP_2) | instskip(NEXT) | instid1(VALU_DEP_3)
	v_bfi_b32 v87, v1, 0, 0
	v_bfi_b32 v86, v0, 0, v2
	v_lshrrev_b64 v[0:1], v82, v[2:3]
	s_delay_alu instid0(VALU_DEP_1) | instskip(NEXT) | instid1(VALU_DEP_3)
	v_mov_b64_e32 v[2:3], v[0:1]
	v_cmpx_eq_u64_e64 v[86:87], v[84:85]
; %bb.6241:                             ;   in Loop: Header=BB6_4897 Depth=2
	v_bfe_u32 v2, v0, 21, 1
	v_mov_b32_e32 v3, v5
	s_delay_alu instid0(VALU_DEP_1) | instskip(NEXT) | instid1(VALU_DEP_1)
	v_add_nc_u64_e32 v[2:3], v[0:1], v[2:3]
	v_add_nc_u64_e32 v[2:3], -1, v[2:3]
; %bb.6242:                             ;   in Loop: Header=BB6_4897 Depth=2
	s_or_b32 exec_lo, exec_lo, s27
	v_add_nc_u32_e32 v1, 0xffffff81, v34
	v_lshrrev_b32_e32 v3, 23, v0
	s_mov_b32 s7, exec_lo
	s_delay_alu instid0(VALU_DEP_2) | instskip(NEXT) | instid1(VALU_DEP_1)
	v_cndmask_b32_e64 v1, v1, 0xffffff82, vcc_lo
	v_add3_u32 v3, v82, v1, v3
	v_and_b32_e32 v1, 0x1fffff, v2
                                        ; implicit-def: $vgpr2
	s_delay_alu instid0(VALU_DEP_1) | instskip(NEXT) | instid1(VALU_DEP_1)
	v_dual_add_nc_u32 v34, 14, v3 :: v_dual_add_nc_u32 v4, v1, v0
                                        ; implicit-def: $vgpr0_vgpr1
	v_cmpx_ne_u32_e32 0, v34
	s_xor_b32 s7, exec_lo, s7
; %bb.6243:                             ;   in Loop: Header=BB6_4897 Depth=2
	s_delay_alu instid0(VALU_DEP_2) | instskip(SKIP_1) | instid1(VALU_DEP_1)
	v_cmp_lt_u64_e32 vcc_lo, 0xffffff, v[4:5]
	v_add_nc_u32_e32 v0, 15, v3
	v_cndmask_b32_e32 v2, v34, v0, vcc_lo
	v_cndmask_b32_e64 v0, 0, 1, vcc_lo
	s_delay_alu instid0(VALU_DEP_1)
	v_lshrrev_b64 v[0:1], v0, v[4:5]
; %bb.6244:                             ;   in Loop: Header=BB6_4897 Depth=2
	s_and_not1_saveexec_b32 s7, s7
; %bb.6245:                             ;   in Loop: Header=BB6_4897 Depth=2
	v_mov_b64_e32 v[0:1], v[4:5]
	v_bfe_u32 v2, v4, 23, 1
; %bb.6246:                             ;   in Loop: Header=BB6_4897 Depth=2
	s_or_b32 exec_lo, exec_lo, s7
	s_delay_alu instid0(VALU_DEP_2) | instskip(NEXT) | instid1(VALU_DEP_2)
	v_lshrrev_b64 v[0:1], 21, v[0:1]
	v_cmp_gt_i32_e32 vcc_lo, 32, v2
	v_min_i32_e32 v3, 31, v2
	v_cmp_eq_u32_e64 s7, 0, v2
	s_delay_alu instid0(VALU_DEP_2) | instskip(SKIP_1) | instid1(VALU_DEP_2)
	v_dual_cndmask_b32 v1, 0, v1, vcc_lo :: v_dual_lshlrev_b32 v3, 2, v3
	v_cndmask_b32_e32 v0, 3, v0, vcc_lo
	v_and_b32_e32 v3, 0xfc, v3
	s_delay_alu instid0(VALU_DEP_2) | instskip(NEXT) | instid1(VALU_DEP_2)
	v_cmp_eq_u64_e32 vcc_lo, 0, v[0:1]
	v_and_or_b32 v0, v0, 3, v3
	s_and_b32 s7, s7, vcc_lo
	s_delay_alu instid0(VALU_DEP_1) | instid1(SALU_CYCLE_1)
	v_cndmask_b32_e64 v0, v0, 0, s7
	s_delay_alu instid0(VALU_DEP_1)
	v_or_b32_e32 v34, v0, v35
.LBB6_6247:                             ;   in Loop: Header=BB6_4897 Depth=2
	s_or_b32 exec_lo, exec_lo, s26
                                        ; implicit-def: $vgpr35
.LBB6_6248:                             ;   in Loop: Header=BB6_4897 Depth=2
	s_and_not1_saveexec_b32 s7, s25
; %bb.6249:                             ;   in Loop: Header=BB6_4897 Depth=2
	v_or_b32_e32 v34, 0x7b, v35
; %bb.6250:                             ;   in Loop: Header=BB6_4897 Depth=2
	s_or_b32 exec_lo, exec_lo, s7
                                        ; implicit-def: $vgpr0
                                        ; implicit-def: $vgpr1
.LBB6_6251:                             ;   in Loop: Header=BB6_4897 Depth=2
	s_and_not1_saveexec_b32 s7, s24
	s_cbranch_execz .LBB6_6257
; %bb.6252:                             ;   in Loop: Header=BB6_4897 Depth=2
	s_mov_b32 s24, exec_lo
                                        ; implicit-def: $vgpr34
	v_cmpx_ne_u64_e32 0, v[4:5]
	s_xor_b32 s24, exec_lo, s24
; %bb.6253:                             ;   in Loop: Header=BB6_4897 Depth=2
	v_or_b32_e32 v34, 0x7f, v1
                                        ; implicit-def: $vgpr0
; %bb.6254:                             ;   in Loop: Header=BB6_4897 Depth=2
	s_and_not1_saveexec_b32 s24, s24
; %bb.6255:                             ;   in Loop: Header=BB6_4897 Depth=2
	v_cmp_lt_i32_e32 vcc_lo, -1, v0
	v_cndmask_b32_e32 v34, 0xfc, v104, vcc_lo
; %bb.6256:                             ;   in Loop: Header=BB6_4897 Depth=2
	s_or_b32 exec_lo, exec_lo, s24
.LBB6_6257:                             ;   in Loop: Header=BB6_4897 Depth=2
	s_delay_alu instid0(SALU_CYCLE_1) | instskip(SKIP_3) | instid1(VALU_DEP_2)
	s_or_b32 exec_lo, exec_lo, s7
	v_dual_mov_b32 v1, 0 :: v_dual_lshrrev_b32 v0, 16, v22
	v_mov_b32_e32 v2, 0
	s_mov_b32 s7, exec_lo
	v_and_b32_e32 v3, 0xff, v0
	s_delay_alu instid0(VALU_DEP_1)
	v_cmpx_ne_u16_e32 0, v3
	s_cbranch_execz .LBB6_6267
; %bb.6258:                             ;   in Loop: Header=BB6_4897 Depth=2
	v_bfrev_b32_e32 v2, 1
	s_mov_b32 s24, exec_lo
	v_cmpx_ne_u16_e32 0x80, v3
	s_cbranch_execz .LBB6_6266
; %bb.6259:                             ;   in Loop: Header=BB6_4897 Depth=2
	v_and_b32_e32 v2, 0x7c0000, v22
	v_bfe_u32 v3, v22, 16, 2
	s_delay_alu instid0(VALU_DEP_2) | instskip(SKIP_1) | instid1(SALU_CYCLE_1)
	v_cmp_ne_u32_e32 vcc_lo, 0x7c0000, v2
                                        ; implicit-def: $vgpr2
	s_and_saveexec_b32 s25, vcc_lo
	s_xor_b32 s25, exec_lo, s25
	s_cbranch_execz .LBB6_6263
; %bb.6260:                             ;   in Loop: Header=BB6_4897 Depth=2
	v_bfe_u32 v2, v22, 18, 5
	s_mov_b32 s26, exec_lo
	s_delay_alu instid0(VALU_DEP_1)
	v_cmpx_eq_u32_e32 0, v2
; %bb.6261:                             ;   in Loop: Header=BB6_4897 Depth=2
	v_clz_i32_u32_e32 v2, v3
	s_delay_alu instid0(VALU_DEP_1) | instskip(NEXT) | instid1(VALU_DEP_1)
	v_min_u32_e32 v2, 32, v2
	v_subrev_nc_u32_e32 v3, 29, v2
	v_sub_nc_u32_e32 v2, 30, v2
	s_delay_alu instid0(VALU_DEP_2) | instskip(NEXT) | instid1(VALU_DEP_1)
	v_lshlrev_b64_e32 v[82:83], v3, v[0:1]
	v_and_b32_e32 v3, 3, v82
; %bb.6262:                             ;   in Loop: Header=BB6_4897 Depth=2
	s_or_b32 exec_lo, exec_lo, s26
	v_lshlrev_b32_e32 v0, 24, v0
	s_delay_alu instid0(VALU_DEP_1) | instskip(NEXT) | instid1(VALU_DEP_1)
	v_and_b32_e32 v0, 0x80000000, v0
	v_lshl_add_u32 v0, v2, 23, v0
	s_delay_alu instid0(VALU_DEP_1) | instskip(NEXT) | instid1(VALU_DEP_1)
	v_lshl_or_b32 v0, v3, 21, v0
                                        ; implicit-def: $vgpr3
	v_add_nc_u32_e32 v2, 0x38000000, v0
                                        ; implicit-def: $vgpr0
.LBB6_6263:                             ;   in Loop: Header=BB6_4897 Depth=2
	s_and_not1_saveexec_b32 s25, s25
; %bb.6264:                             ;   in Loop: Header=BB6_4897 Depth=2
	v_bfe_i32 v0, v0, 0, 8
	s_delay_alu instid0(VALU_DEP_1) | instskip(SKIP_2) | instid1(VALU_DEP_2)
	v_cmp_lt_i16_e32 vcc_lo, -1, v0
	v_cndmask_b32_e32 v0, 0xff800000, v105, vcc_lo
	v_cmp_eq_u32_e32 vcc_lo, 0, v3
	v_cndmask_b32_e32 v2, 0x7f800001, v0, vcc_lo
; %bb.6265:                             ;   in Loop: Header=BB6_4897 Depth=2
	s_or_b32 exec_lo, exec_lo, s25
.LBB6_6266:                             ;   in Loop: Header=BB6_4897 Depth=2
	s_delay_alu instid0(SALU_CYCLE_1)
	s_or_b32 exec_lo, exec_lo, s24
.LBB6_6267:                             ;   in Loop: Header=BB6_4897 Depth=2
	s_delay_alu instid0(SALU_CYCLE_1) | instskip(SKIP_2) | instid1(VALU_DEP_1)
	s_or_b32 exec_lo, exec_lo, s7
	v_lshrrev_b32_e32 v0, 16, v18
	s_mov_b32 s7, exec_lo
	v_and_b32_e32 v3, 0xff, v0
	s_delay_alu instid0(VALU_DEP_1)
	v_cmpx_ne_u16_e32 0, v3
	s_cbranch_execz .LBB6_6277
; %bb.6268:                             ;   in Loop: Header=BB6_4897 Depth=2
	v_bfrev_b32_e32 v1, 1
	s_mov_b32 s24, exec_lo
	v_cmpx_ne_u16_e32 0x80, v3
	s_cbranch_execz .LBB6_6276
; %bb.6269:                             ;   in Loop: Header=BB6_4897 Depth=2
	v_and_b32_e32 v1, 0x7c0000, v18
	v_bfe_u32 v3, v18, 16, 2
	s_delay_alu instid0(VALU_DEP_2) | instskip(SKIP_1) | instid1(SALU_CYCLE_1)
	v_cmp_ne_u32_e32 vcc_lo, 0x7c0000, v1
                                        ; implicit-def: $vgpr1
	s_and_saveexec_b32 s25, vcc_lo
	s_xor_b32 s25, exec_lo, s25
	s_cbranch_execz .LBB6_6273
; %bb.6270:                             ;   in Loop: Header=BB6_4897 Depth=2
	v_bfe_u32 v1, v18, 18, 5
	s_mov_b32 s26, exec_lo
	s_delay_alu instid0(VALU_DEP_1)
	v_cmpx_eq_u32_e32 0, v1
; %bb.6271:                             ;   in Loop: Header=BB6_4897 Depth=2
	v_clz_i32_u32_e32 v1, v3
	s_delay_alu instid0(VALU_DEP_1) | instskip(NEXT) | instid1(VALU_DEP_1)
	v_min_u32_e32 v1, 32, v1
	v_subrev_nc_u32_e32 v3, 29, v1
	s_delay_alu instid0(VALU_DEP_1) | instskip(NEXT) | instid1(VALU_DEP_1)
	v_lshlrev_b64_e32 v[82:83], v3, v[0:1]
	v_dual_sub_nc_u32 v1, 30, v1 :: v_dual_bitop2_b32 v3, 3, v82 bitop3:0x40
; %bb.6272:                             ;   in Loop: Header=BB6_4897 Depth=2
	s_or_b32 exec_lo, exec_lo, s26
	v_lshlrev_b32_e32 v0, 24, v0
	s_delay_alu instid0(VALU_DEP_1) | instskip(NEXT) | instid1(VALU_DEP_1)
	v_and_b32_e32 v0, 0x80000000, v0
	v_lshl_add_u32 v0, v1, 23, v0
	s_delay_alu instid0(VALU_DEP_1) | instskip(NEXT) | instid1(VALU_DEP_1)
	v_lshl_or_b32 v0, v3, 21, v0
                                        ; implicit-def: $vgpr3
	v_add_nc_u32_e32 v1, 0x38000000, v0
                                        ; implicit-def: $vgpr0
.LBB6_6273:                             ;   in Loop: Header=BB6_4897 Depth=2
	s_and_not1_saveexec_b32 s25, s25
; %bb.6274:                             ;   in Loop: Header=BB6_4897 Depth=2
	v_bfe_i32 v0, v0, 0, 8
	s_delay_alu instid0(VALU_DEP_1) | instskip(SKIP_2) | instid1(VALU_DEP_2)
	v_cmp_lt_i16_e32 vcc_lo, -1, v0
	v_cndmask_b32_e32 v0, 0xff800000, v105, vcc_lo
	v_cmp_eq_u32_e32 vcc_lo, 0, v3
	v_cndmask_b32_e32 v1, 0x7f800001, v0, vcc_lo
; %bb.6275:                             ;   in Loop: Header=BB6_4897 Depth=2
	s_or_b32 exec_lo, exec_lo, s25
.LBB6_6276:                             ;   in Loop: Header=BB6_4897 Depth=2
	s_delay_alu instid0(SALU_CYCLE_1)
	s_or_b32 exec_lo, exec_lo, s24
.LBB6_6277:                             ;   in Loop: Header=BB6_4897 Depth=2
	s_delay_alu instid0(SALU_CYCLE_1) | instskip(NEXT) | instid1(VALU_DEP_1)
	s_or_b32 exec_lo, exec_lo, s7
	v_dual_mul_f32 v0, v2, v1 :: v_dual_mov_b32 v3, v5
                                        ; implicit-def: $vgpr35
	s_mov_b32 s7, exec_lo
	s_delay_alu instid0(VALU_DEP_1) | instskip(SKIP_2) | instid1(VALU_DEP_3)
	v_and_b32_e32 v2, 0x7f800000, v0
	v_and_b32_e32 v4, 0x7fffff, v0
	v_lshrrev_b32_e32 v1, 24, v0
	v_cmpx_ne_u64_e32 0x7f800000, v[2:3]
	s_xor_b32 s24, exec_lo, s7
	s_cbranch_execz .LBB6_6291
; %bb.6278:                             ;   in Loop: Header=BB6_4897 Depth=2
	v_and_b32_e32 v2, 0x7fffffff, v0
	v_mov_b32_e32 v3, v5
	v_and_b32_e32 v82, 0x80, v1
                                        ; implicit-def: $vgpr35
	s_mov_b32 s7, exec_lo
	s_delay_alu instid0(VALU_DEP_2)
	v_cmpx_gt_u64_e32 0x47600001, v[2:3]
	s_xor_b32 s25, exec_lo, s7
	s_cbranch_execz .LBB6_6288
; %bb.6279:                             ;   in Loop: Header=BB6_4897 Depth=2
	v_mov_b32_e32 v35, 0
	s_mov_b32 s26, exec_lo
	v_cmpx_ne_u32_e32 0, v0
	s_cbranch_execz .LBB6_6287
; %bb.6280:                             ;   in Loop: Header=BB6_4897 Depth=2
	v_bfe_u32 v35, v0, 23, 8
	v_or_b32_e32 v2, 0x800000, v4
	s_mov_b32 s27, exec_lo
	s_delay_alu instid0(VALU_DEP_2) | instskip(SKIP_1) | instid1(VALU_DEP_2)
	v_dual_mov_b32 v3, v5 :: v_dual_sub_nc_u32 v0, 0x71, v35
	v_cmp_gt_u32_e32 vcc_lo, 0x72, v35
	v_cndmask_b32_e32 v0, 0, v0, vcc_lo
	v_cmp_eq_u32_e32 vcc_lo, 0, v35
	s_delay_alu instid0(VALU_DEP_2) | instskip(NEXT) | instid1(VALU_DEP_1)
	v_cndmask_b32_e64 v83, v0, 0x70, vcc_lo
	v_dual_cndmask_b32 v2, v2, v4, vcc_lo :: v_dual_add_nc_u32 v0, 21, v83
	v_add_nc_u32_e32 v84, 20, v83
	s_delay_alu instid0(VALU_DEP_2) | instskip(NEXT) | instid1(VALU_DEP_2)
	v_lshlrev_b64_e64 v[0:1], v0, -1
	v_lshlrev_b64_e64 v[84:85], v84, 1
	s_delay_alu instid0(VALU_DEP_2) | instskip(NEXT) | instid1(VALU_DEP_3)
	v_bfi_b32 v87, v1, 0, 0
	v_bfi_b32 v86, v0, 0, v2
	v_lshrrev_b64 v[0:1], v83, v[2:3]
	s_delay_alu instid0(VALU_DEP_1) | instskip(NEXT) | instid1(VALU_DEP_3)
	v_mov_b64_e32 v[2:3], v[0:1]
	v_cmpx_eq_u64_e64 v[86:87], v[84:85]
; %bb.6281:                             ;   in Loop: Header=BB6_4897 Depth=2
	v_bfe_u32 v2, v0, 21, 1
	v_mov_b32_e32 v3, v5
	s_delay_alu instid0(VALU_DEP_1) | instskip(NEXT) | instid1(VALU_DEP_1)
	v_add_nc_u64_e32 v[2:3], v[0:1], v[2:3]
	v_add_nc_u64_e32 v[2:3], -1, v[2:3]
; %bb.6282:                             ;   in Loop: Header=BB6_4897 Depth=2
	s_or_b32 exec_lo, exec_lo, s27
	v_add_nc_u32_e32 v1, 0xffffff81, v35
	v_lshrrev_b32_e32 v3, 23, v0
	s_mov_b32 s7, exec_lo
	s_delay_alu instid0(VALU_DEP_2) | instskip(NEXT) | instid1(VALU_DEP_1)
	v_cndmask_b32_e64 v1, v1, 0xffffff82, vcc_lo
	v_add3_u32 v3, v83, v1, v3
	v_and_b32_e32 v1, 0x1fffff, v2
                                        ; implicit-def: $vgpr2
	s_delay_alu instid0(VALU_DEP_1) | instskip(NEXT) | instid1(VALU_DEP_1)
	v_dual_add_nc_u32 v35, 14, v3 :: v_dual_add_nc_u32 v4, v1, v0
                                        ; implicit-def: $vgpr0_vgpr1
	v_cmpx_ne_u32_e32 0, v35
	s_xor_b32 s7, exec_lo, s7
; %bb.6283:                             ;   in Loop: Header=BB6_4897 Depth=2
	s_delay_alu instid0(VALU_DEP_2) | instskip(SKIP_1) | instid1(VALU_DEP_1)
	v_cmp_lt_u64_e32 vcc_lo, 0xffffff, v[4:5]
	v_add_nc_u32_e32 v0, 15, v3
	v_cndmask_b32_e32 v2, v35, v0, vcc_lo
	v_cndmask_b32_e64 v0, 0, 1, vcc_lo
	s_delay_alu instid0(VALU_DEP_1)
	v_lshrrev_b64 v[0:1], v0, v[4:5]
; %bb.6284:                             ;   in Loop: Header=BB6_4897 Depth=2
	s_and_not1_saveexec_b32 s7, s7
; %bb.6285:                             ;   in Loop: Header=BB6_4897 Depth=2
	v_mov_b64_e32 v[0:1], v[4:5]
	v_bfe_u32 v2, v4, 23, 1
; %bb.6286:                             ;   in Loop: Header=BB6_4897 Depth=2
	s_or_b32 exec_lo, exec_lo, s7
	s_delay_alu instid0(VALU_DEP_2) | instskip(NEXT) | instid1(VALU_DEP_2)
	v_lshrrev_b64 v[0:1], 21, v[0:1]
	v_cmp_gt_i32_e32 vcc_lo, 32, v2
	v_min_i32_e32 v3, 31, v2
	v_cmp_eq_u32_e64 s7, 0, v2
	s_delay_alu instid0(VALU_DEP_2) | instskip(SKIP_1) | instid1(VALU_DEP_2)
	v_dual_cndmask_b32 v1, 0, v1, vcc_lo :: v_dual_lshlrev_b32 v3, 2, v3
	v_cndmask_b32_e32 v0, 3, v0, vcc_lo
	v_and_b32_e32 v3, 0xfc, v3
	s_delay_alu instid0(VALU_DEP_2) | instskip(NEXT) | instid1(VALU_DEP_2)
	v_cmp_eq_u64_e32 vcc_lo, 0, v[0:1]
	v_and_or_b32 v0, v0, 3, v3
	s_and_b32 s7, s7, vcc_lo
	s_delay_alu instid0(VALU_DEP_1) | instid1(SALU_CYCLE_1)
	v_cndmask_b32_e64 v0, v0, 0, s7
	s_delay_alu instid0(VALU_DEP_1)
	v_or_b32_e32 v35, v0, v82
.LBB6_6287:                             ;   in Loop: Header=BB6_4897 Depth=2
	s_or_b32 exec_lo, exec_lo, s26
                                        ; implicit-def: $vgpr82
.LBB6_6288:                             ;   in Loop: Header=BB6_4897 Depth=2
	s_and_not1_saveexec_b32 s7, s25
; %bb.6289:                             ;   in Loop: Header=BB6_4897 Depth=2
	v_or_b32_e32 v35, 0x7b, v82
; %bb.6290:                             ;   in Loop: Header=BB6_4897 Depth=2
	s_or_b32 exec_lo, exec_lo, s7
                                        ; implicit-def: $vgpr0
                                        ; implicit-def: $vgpr1
.LBB6_6291:                             ;   in Loop: Header=BB6_4897 Depth=2
	s_and_not1_saveexec_b32 s7, s24
	s_cbranch_execz .LBB6_6297
; %bb.6292:                             ;   in Loop: Header=BB6_4897 Depth=2
	s_mov_b32 s24, exec_lo
                                        ; implicit-def: $vgpr35
	v_cmpx_ne_u64_e32 0, v[4:5]
	s_xor_b32 s24, exec_lo, s24
; %bb.6293:                             ;   in Loop: Header=BB6_4897 Depth=2
	v_or_b32_e32 v35, 0x7f, v1
                                        ; implicit-def: $vgpr0
; %bb.6294:                             ;   in Loop: Header=BB6_4897 Depth=2
	s_and_not1_saveexec_b32 s24, s24
; %bb.6295:                             ;   in Loop: Header=BB6_4897 Depth=2
	v_cmp_lt_i32_e32 vcc_lo, -1, v0
	v_cndmask_b32_e32 v35, 0xfc, v104, vcc_lo
; %bb.6296:                             ;   in Loop: Header=BB6_4897 Depth=2
	s_or_b32 exec_lo, exec_lo, s24
.LBB6_6297:                             ;   in Loop: Header=BB6_4897 Depth=2
	s_delay_alu instid0(SALU_CYCLE_1)
	s_or_b32 exec_lo, exec_lo, s7
	v_dual_mov_b32 v1, 0 :: v_dual_mov_b32 v2, 0
	s_mov_b32 s7, exec_lo
	v_cmpx_lt_u32_e32 0xffffff, v22
	s_cbranch_execz .LBB6_6307
; %bb.6298:                             ;   in Loop: Header=BB6_4897 Depth=2
	v_lshrrev_b32_e32 v0, 24, v22
	v_bfrev_b32_e32 v2, 1
	s_mov_b32 s24, exec_lo
	s_delay_alu instid0(VALU_DEP_2)
	v_cmpx_ne_u32_e32 0x80, v0
	s_cbranch_execz .LBB6_6306
; %bb.6299:                             ;   in Loop: Header=BB6_4897 Depth=2
	v_and_b32_e32 v2, 0x7c000000, v22
	v_bfe_u32 v3, v22, 24, 2
	s_delay_alu instid0(VALU_DEP_2) | instskip(SKIP_1) | instid1(SALU_CYCLE_1)
	v_cmp_ne_u32_e32 vcc_lo, 0x7c000000, v2
                                        ; implicit-def: $vgpr2
	s_and_saveexec_b32 s25, vcc_lo
	s_xor_b32 s25, exec_lo, s25
	s_cbranch_execz .LBB6_6303
; %bb.6300:                             ;   in Loop: Header=BB6_4897 Depth=2
	v_bfe_u32 v2, v22, 26, 5
	s_mov_b32 s26, exec_lo
	s_delay_alu instid0(VALU_DEP_1)
	v_cmpx_eq_u32_e32 0, v2
; %bb.6301:                             ;   in Loop: Header=BB6_4897 Depth=2
	v_clz_i32_u32_e32 v2, v3
	s_delay_alu instid0(VALU_DEP_1) | instskip(NEXT) | instid1(VALU_DEP_1)
	v_min_u32_e32 v2, 32, v2
	v_subrev_nc_u32_e32 v3, 29, v2
	v_sub_nc_u32_e32 v2, 30, v2
	s_delay_alu instid0(VALU_DEP_2) | instskip(NEXT) | instid1(VALU_DEP_1)
	v_lshlrev_b64_e32 v[82:83], v3, v[0:1]
	v_and_b32_e32 v3, 3, v82
; %bb.6302:                             ;   in Loop: Header=BB6_4897 Depth=2
	s_or_b32 exec_lo, exec_lo, s26
	v_and_b32_e32 v0, 0x80000000, v22
	s_delay_alu instid0(VALU_DEP_1) | instskip(NEXT) | instid1(VALU_DEP_1)
	v_lshl_add_u32 v0, v2, 23, v0
	v_lshl_or_b32 v0, v3, 21, v0
                                        ; implicit-def: $vgpr3
	s_delay_alu instid0(VALU_DEP_1)
	v_add_nc_u32_e32 v2, 0x38000000, v0
.LBB6_6303:                             ;   in Loop: Header=BB6_4897 Depth=2
	s_and_not1_saveexec_b32 s25, s25
; %bb.6304:                             ;   in Loop: Header=BB6_4897 Depth=2
	v_cmp_lt_i32_e32 vcc_lo, -1, v22
	v_cndmask_b32_e32 v0, 0xff800000, v105, vcc_lo
	v_cmp_eq_u32_e32 vcc_lo, 0, v3
	s_delay_alu instid0(VALU_DEP_2)
	v_cndmask_b32_e32 v2, 0x7f800001, v0, vcc_lo
; %bb.6305:                             ;   in Loop: Header=BB6_4897 Depth=2
	s_or_b32 exec_lo, exec_lo, s25
.LBB6_6306:                             ;   in Loop: Header=BB6_4897 Depth=2
	s_delay_alu instid0(SALU_CYCLE_1)
	s_or_b32 exec_lo, exec_lo, s24
.LBB6_6307:                             ;   in Loop: Header=BB6_4897 Depth=2
	s_delay_alu instid0(SALU_CYCLE_1) | instskip(NEXT) | instid1(SALU_CYCLE_1)
	s_or_b32 exec_lo, exec_lo, s7
	s_mov_b32 s7, exec_lo
	v_cmpx_lt_u32_e32 0xffffff, v18
	s_cbranch_execz .LBB6_6317
; %bb.6308:                             ;   in Loop: Header=BB6_4897 Depth=2
	v_lshrrev_b32_e32 v0, 24, v18
	v_bfrev_b32_e32 v1, 1
	s_mov_b32 s24, exec_lo
	s_delay_alu instid0(VALU_DEP_2)
	v_cmpx_ne_u32_e32 0x80, v0
	s_cbranch_execz .LBB6_6316
; %bb.6309:                             ;   in Loop: Header=BB6_4897 Depth=2
	v_and_b32_e32 v1, 0x7c000000, v18
	v_bfe_u32 v3, v18, 24, 2
	s_delay_alu instid0(VALU_DEP_2) | instskip(SKIP_1) | instid1(SALU_CYCLE_1)
	v_cmp_ne_u32_e32 vcc_lo, 0x7c000000, v1
                                        ; implicit-def: $vgpr1
	s_and_saveexec_b32 s25, vcc_lo
	s_xor_b32 s25, exec_lo, s25
	s_cbranch_execz .LBB6_6313
; %bb.6310:                             ;   in Loop: Header=BB6_4897 Depth=2
	v_bfe_u32 v1, v18, 26, 5
	s_mov_b32 s26, exec_lo
	s_delay_alu instid0(VALU_DEP_1)
	v_cmpx_eq_u32_e32 0, v1
; %bb.6311:                             ;   in Loop: Header=BB6_4897 Depth=2
	v_clz_i32_u32_e32 v1, v3
	s_delay_alu instid0(VALU_DEP_1) | instskip(NEXT) | instid1(VALU_DEP_1)
	v_min_u32_e32 v3, 32, v1
	v_subrev_nc_u32_e32 v1, 29, v3
	s_delay_alu instid0(VALU_DEP_1) | instskip(NEXT) | instid1(VALU_DEP_1)
	v_lshlrev_b64_e32 v[0:1], v1, v[0:1]
	v_dual_sub_nc_u32 v1, 30, v3 :: v_dual_bitop2_b32 v3, 3, v0 bitop3:0x40
; %bb.6312:                             ;   in Loop: Header=BB6_4897 Depth=2
	s_or_b32 exec_lo, exec_lo, s26
	v_and_b32_e32 v0, 0x80000000, v18
	s_delay_alu instid0(VALU_DEP_1) | instskip(NEXT) | instid1(VALU_DEP_1)
	v_lshl_add_u32 v0, v1, 23, v0
	v_lshl_or_b32 v0, v3, 21, v0
                                        ; implicit-def: $vgpr3
	s_delay_alu instid0(VALU_DEP_1)
	v_add_nc_u32_e32 v1, 0x38000000, v0
.LBB6_6313:                             ;   in Loop: Header=BB6_4897 Depth=2
	s_and_not1_saveexec_b32 s25, s25
; %bb.6314:                             ;   in Loop: Header=BB6_4897 Depth=2
	v_cmp_lt_i32_e32 vcc_lo, -1, v18
	v_cndmask_b32_e32 v0, 0xff800000, v105, vcc_lo
	v_cmp_eq_u32_e32 vcc_lo, 0, v3
	s_delay_alu instid0(VALU_DEP_2)
	v_cndmask_b32_e32 v1, 0x7f800001, v0, vcc_lo
; %bb.6315:                             ;   in Loop: Header=BB6_4897 Depth=2
	s_or_b32 exec_lo, exec_lo, s25
.LBB6_6316:                             ;   in Loop: Header=BB6_4897 Depth=2
	s_delay_alu instid0(SALU_CYCLE_1)
	s_or_b32 exec_lo, exec_lo, s24
.LBB6_6317:                             ;   in Loop: Header=BB6_4897 Depth=2
	s_delay_alu instid0(SALU_CYCLE_1) | instskip(NEXT) | instid1(VALU_DEP_1)
	s_or_b32 exec_lo, exec_lo, s7
	v_dual_mul_f32 v0, v2, v1 :: v_dual_mov_b32 v3, v5
                                        ; implicit-def: $vgpr82
	s_mov_b32 s7, exec_lo
	s_delay_alu instid0(VALU_DEP_1) | instskip(SKIP_2) | instid1(VALU_DEP_3)
	v_and_b32_e32 v2, 0x7f800000, v0
	v_and_b32_e32 v4, 0x7fffff, v0
	v_lshrrev_b32_e32 v1, 24, v0
	v_cmpx_ne_u64_e32 0x7f800000, v[2:3]
	s_xor_b32 s24, exec_lo, s7
	s_cbranch_execz .LBB6_6331
; %bb.6318:                             ;   in Loop: Header=BB6_4897 Depth=2
	v_and_b32_e32 v2, 0x7fffffff, v0
	v_mov_b32_e32 v3, v5
	v_and_b32_e32 v83, 0x80, v1
                                        ; implicit-def: $vgpr82
	s_mov_b32 s7, exec_lo
	s_delay_alu instid0(VALU_DEP_2)
	v_cmpx_gt_u64_e32 0x47600001, v[2:3]
	s_xor_b32 s25, exec_lo, s7
	s_cbranch_execz .LBB6_6328
; %bb.6319:                             ;   in Loop: Header=BB6_4897 Depth=2
	v_mov_b32_e32 v82, 0
	s_mov_b32 s26, exec_lo
	v_cmpx_ne_u32_e32 0, v0
	s_cbranch_execz .LBB6_6327
; %bb.6320:                             ;   in Loop: Header=BB6_4897 Depth=2
	v_bfe_u32 v82, v0, 23, 8
	v_or_b32_e32 v2, 0x800000, v4
	s_mov_b32 s27, exec_lo
	s_delay_alu instid0(VALU_DEP_2) | instskip(SKIP_1) | instid1(VALU_DEP_2)
	v_dual_mov_b32 v3, v5 :: v_dual_sub_nc_u32 v0, 0x71, v82
	v_cmp_gt_u32_e32 vcc_lo, 0x72, v82
	v_cndmask_b32_e32 v0, 0, v0, vcc_lo
	v_cmp_eq_u32_e32 vcc_lo, 0, v82
	s_delay_alu instid0(VALU_DEP_2) | instskip(SKIP_1) | instid1(VALU_DEP_2)
	v_cndmask_b32_e64 v84, v0, 0x70, vcc_lo
	v_cndmask_b32_e32 v2, v2, v4, vcc_lo
	v_dual_add_nc_u32 v0, 21, v84 :: v_dual_add_nc_u32 v85, 20, v84
	s_delay_alu instid0(VALU_DEP_1) | instskip(NEXT) | instid1(VALU_DEP_2)
	v_lshlrev_b64_e64 v[0:1], v0, -1
	v_lshlrev_b64_e64 v[86:87], v85, 1
	s_delay_alu instid0(VALU_DEP_2) | instskip(NEXT) | instid1(VALU_DEP_3)
	v_bfi_b32 v97, v1, 0, 0
	v_bfi_b32 v96, v0, 0, v2
	v_lshrrev_b64 v[0:1], v84, v[2:3]
	s_delay_alu instid0(VALU_DEP_1) | instskip(NEXT) | instid1(VALU_DEP_3)
	v_mov_b64_e32 v[2:3], v[0:1]
	v_cmpx_eq_u64_e64 v[96:97], v[86:87]
; %bb.6321:                             ;   in Loop: Header=BB6_4897 Depth=2
	v_bfe_u32 v2, v0, 21, 1
	v_mov_b32_e32 v3, v5
	s_delay_alu instid0(VALU_DEP_1) | instskip(NEXT) | instid1(VALU_DEP_1)
	v_add_nc_u64_e32 v[2:3], v[0:1], v[2:3]
	v_add_nc_u64_e32 v[2:3], -1, v[2:3]
; %bb.6322:                             ;   in Loop: Header=BB6_4897 Depth=2
	s_or_b32 exec_lo, exec_lo, s27
	v_add_nc_u32_e32 v1, 0xffffff81, v82
	v_lshrrev_b32_e32 v3, 23, v0
	s_mov_b32 s7, exec_lo
	s_delay_alu instid0(VALU_DEP_2) | instskip(NEXT) | instid1(VALU_DEP_1)
	v_cndmask_b32_e64 v1, v1, 0xffffff82, vcc_lo
	v_add3_u32 v3, v84, v1, v3
	v_and_b32_e32 v1, 0x1fffff, v2
                                        ; implicit-def: $vgpr2
	s_delay_alu instid0(VALU_DEP_1) | instskip(NEXT) | instid1(VALU_DEP_1)
	v_dual_add_nc_u32 v82, 14, v3 :: v_dual_add_nc_u32 v4, v1, v0
                                        ; implicit-def: $vgpr0_vgpr1
	v_cmpx_ne_u32_e32 0, v82
	s_xor_b32 s7, exec_lo, s7
; %bb.6323:                             ;   in Loop: Header=BB6_4897 Depth=2
	s_delay_alu instid0(VALU_DEP_2) | instskip(SKIP_1) | instid1(VALU_DEP_1)
	v_cmp_lt_u64_e32 vcc_lo, 0xffffff, v[4:5]
	v_add_nc_u32_e32 v0, 15, v3
	v_cndmask_b32_e32 v2, v82, v0, vcc_lo
	v_cndmask_b32_e64 v0, 0, 1, vcc_lo
	s_delay_alu instid0(VALU_DEP_1)
	v_lshrrev_b64 v[0:1], v0, v[4:5]
; %bb.6324:                             ;   in Loop: Header=BB6_4897 Depth=2
	s_and_not1_saveexec_b32 s7, s7
; %bb.6325:                             ;   in Loop: Header=BB6_4897 Depth=2
	v_mov_b64_e32 v[0:1], v[4:5]
	v_bfe_u32 v2, v4, 23, 1
; %bb.6326:                             ;   in Loop: Header=BB6_4897 Depth=2
	s_or_b32 exec_lo, exec_lo, s7
	s_delay_alu instid0(VALU_DEP_2) | instskip(NEXT) | instid1(VALU_DEP_2)
	v_lshrrev_b64 v[0:1], 21, v[0:1]
	v_cmp_gt_i32_e32 vcc_lo, 32, v2
	v_min_i32_e32 v3, 31, v2
	v_cmp_eq_u32_e64 s7, 0, v2
	s_delay_alu instid0(VALU_DEP_2) | instskip(SKIP_1) | instid1(VALU_DEP_2)
	v_dual_cndmask_b32 v1, 0, v1, vcc_lo :: v_dual_lshlrev_b32 v3, 2, v3
	v_cndmask_b32_e32 v0, 3, v0, vcc_lo
	v_and_b32_e32 v3, 0xfc, v3
	s_delay_alu instid0(VALU_DEP_2) | instskip(NEXT) | instid1(VALU_DEP_2)
	v_cmp_eq_u64_e32 vcc_lo, 0, v[0:1]
	v_and_or_b32 v0, v0, 3, v3
	s_and_b32 s7, s7, vcc_lo
	s_delay_alu instid0(VALU_DEP_1) | instid1(SALU_CYCLE_1)
	v_cndmask_b32_e64 v0, v0, 0, s7
	s_delay_alu instid0(VALU_DEP_1)
	v_or_b32_e32 v82, v0, v83
.LBB6_6327:                             ;   in Loop: Header=BB6_4897 Depth=2
	s_or_b32 exec_lo, exec_lo, s26
                                        ; implicit-def: $vgpr83
.LBB6_6328:                             ;   in Loop: Header=BB6_4897 Depth=2
	s_and_not1_saveexec_b32 s7, s25
; %bb.6329:                             ;   in Loop: Header=BB6_4897 Depth=2
	v_or_b32_e32 v82, 0x7b, v83
; %bb.6330:                             ;   in Loop: Header=BB6_4897 Depth=2
	s_or_b32 exec_lo, exec_lo, s7
                                        ; implicit-def: $vgpr0
                                        ; implicit-def: $vgpr1
.LBB6_6331:                             ;   in Loop: Header=BB6_4897 Depth=2
	s_and_not1_saveexec_b32 s7, s24
	s_cbranch_execz .LBB6_6337
; %bb.6332:                             ;   in Loop: Header=BB6_4897 Depth=2
	s_mov_b32 s24, exec_lo
                                        ; implicit-def: $vgpr82
	v_cmpx_ne_u64_e32 0, v[4:5]
	s_xor_b32 s24, exec_lo, s24
; %bb.6333:                             ;   in Loop: Header=BB6_4897 Depth=2
	v_or_b32_e32 v82, 0x7f, v1
                                        ; implicit-def: $vgpr0
; %bb.6334:                             ;   in Loop: Header=BB6_4897 Depth=2
	s_and_not1_saveexec_b32 s24, s24
; %bb.6335:                             ;   in Loop: Header=BB6_4897 Depth=2
	v_cmp_lt_i32_e32 vcc_lo, -1, v0
	v_cndmask_b32_e32 v82, 0xfc, v104, vcc_lo
; %bb.6336:                             ;   in Loop: Header=BB6_4897 Depth=2
	s_or_b32 exec_lo, exec_lo, s24
.LBB6_6337:                             ;   in Loop: Header=BB6_4897 Depth=2
	s_delay_alu instid0(SALU_CYCLE_1) | instskip(SKIP_4) | instid1(VALU_DEP_3)
	s_or_b32 exec_lo, exec_lo, s7
	v_and_b32_e32 v2, 0xff, v23
	v_dual_mov_b32 v4, v23 :: v_dual_mov_b32 v1, 0
	v_mov_b32_e32 v0, 0
	s_mov_b32 s7, exec_lo
	v_cmpx_ne_u16_e32 0, v2
	s_cbranch_execz .LBB6_6347
; %bb.6338:                             ;   in Loop: Header=BB6_4897 Depth=2
	v_bfrev_b32_e32 v0, 1
	s_mov_b32 s24, exec_lo
	v_cmpx_ne_u16_e32 0x80, v2
	s_cbranch_execz .LBB6_6346
; %bb.6339:                             ;   in Loop: Header=BB6_4897 Depth=2
	v_and_b32_e32 v0, 0x7c, v23
	v_and_b32_e32 v2, 3, v23
	s_delay_alu instid0(VALU_DEP_2) | instskip(SKIP_1) | instid1(SALU_CYCLE_1)
	v_cmp_ne_u32_e32 vcc_lo, 0x7c, v0
                                        ; implicit-def: $vgpr0
	s_and_saveexec_b32 s25, vcc_lo
	s_xor_b32 s25, exec_lo, s25
	s_cbranch_execz .LBB6_6343
; %bb.6340:                             ;   in Loop: Header=BB6_4897 Depth=2
	v_bfe_u32 v0, v23, 2, 5
	s_mov_b32 s26, exec_lo
	s_delay_alu instid0(VALU_DEP_1)
	v_cmpx_eq_u32_e32 0, v0
; %bb.6341:                             ;   in Loop: Header=BB6_4897 Depth=2
	v_clz_i32_u32_e32 v0, v2
	s_delay_alu instid0(VALU_DEP_1) | instskip(NEXT) | instid1(VALU_DEP_1)
	v_min_u32_e32 v0, 32, v0
	v_subrev_nc_u32_e32 v2, 29, v0
	s_delay_alu instid0(VALU_DEP_1) | instskip(NEXT) | instid1(VALU_DEP_1)
	v_lshlrev_b64_e32 v[2:3], v2, v[4:5]
	v_dual_sub_nc_u32 v0, 30, v0 :: v_dual_bitop2_b32 v2, 3, v2 bitop3:0x40
; %bb.6342:                             ;   in Loop: Header=BB6_4897 Depth=2
	s_or_b32 exec_lo, exec_lo, s26
	v_lshlrev_b32_e32 v3, 24, v23
	s_delay_alu instid0(VALU_DEP_1) | instskip(NEXT) | instid1(VALU_DEP_1)
	v_and_b32_e32 v3, 0x80000000, v3
	v_lshl_add_u32 v0, v0, 23, v3
	s_delay_alu instid0(VALU_DEP_1) | instskip(NEXT) | instid1(VALU_DEP_1)
	v_lshl_or_b32 v0, v2, 21, v0
                                        ; implicit-def: $vgpr2
	v_add_nc_u32_e32 v0, 0x38000000, v0
.LBB6_6343:                             ;   in Loop: Header=BB6_4897 Depth=2
	s_and_not1_saveexec_b32 s25, s25
; %bb.6344:                             ;   in Loop: Header=BB6_4897 Depth=2
	v_bfe_i32 v0, v23, 0, 8
	s_delay_alu instid0(VALU_DEP_1) | instskip(SKIP_2) | instid1(VALU_DEP_2)
	v_cmp_lt_i16_e32 vcc_lo, -1, v0
	v_cndmask_b32_e32 v0, 0xff800000, v105, vcc_lo
	v_cmp_eq_u32_e32 vcc_lo, 0, v2
	v_cndmask_b32_e32 v0, 0x7f800001, v0, vcc_lo
; %bb.6345:                             ;   in Loop: Header=BB6_4897 Depth=2
	s_or_b32 exec_lo, exec_lo, s25
.LBB6_6346:                             ;   in Loop: Header=BB6_4897 Depth=2
	s_delay_alu instid0(SALU_CYCLE_1)
	s_or_b32 exec_lo, exec_lo, s24
.LBB6_6347:                             ;   in Loop: Header=BB6_4897 Depth=2
	s_delay_alu instid0(SALU_CYCLE_1) | instskip(SKIP_2) | instid1(VALU_DEP_1)
	s_or_b32 exec_lo, exec_lo, s7
	v_and_b32_e32 v2, 0xff, v19
	s_mov_b32 s7, exec_lo
	v_cmpx_ne_u16_e32 0, v2
	s_cbranch_execz .LBB6_6357
; %bb.6348:                             ;   in Loop: Header=BB6_4897 Depth=2
	v_bfrev_b32_e32 v1, 1
	s_mov_b32 s24, exec_lo
	v_cmpx_ne_u16_e32 0x80, v2
	s_cbranch_execz .LBB6_6356
; %bb.6349:                             ;   in Loop: Header=BB6_4897 Depth=2
	v_and_b32_e32 v1, 0x7c, v19
	v_and_b32_e32 v2, 3, v19
	s_delay_alu instid0(VALU_DEP_2) | instskip(SKIP_1) | instid1(SALU_CYCLE_1)
	v_cmp_ne_u32_e32 vcc_lo, 0x7c, v1
                                        ; implicit-def: $vgpr1
	s_and_saveexec_b32 s25, vcc_lo
	s_xor_b32 s25, exec_lo, s25
	s_cbranch_execz .LBB6_6353
; %bb.6350:                             ;   in Loop: Header=BB6_4897 Depth=2
	v_bfe_u32 v1, v19, 2, 5
	s_mov_b32 s26, exec_lo
	s_delay_alu instid0(VALU_DEP_1)
	v_cmpx_eq_u32_e32 0, v1
; %bb.6351:                             ;   in Loop: Header=BB6_4897 Depth=2
	v_clz_i32_u32_e32 v1, v2
	v_dual_mov_b32 v2, v19 :: v_dual_mov_b32 v3, v5
	s_delay_alu instid0(VALU_DEP_2) | instskip(NEXT) | instid1(VALU_DEP_1)
	v_min_u32_e32 v1, 32, v1
	v_subrev_nc_u32_e32 v83, 29, v1
	s_delay_alu instid0(VALU_DEP_1) | instskip(NEXT) | instid1(VALU_DEP_1)
	v_lshlrev_b64_e32 v[2:3], v83, v[2:3]
	v_dual_sub_nc_u32 v1, 30, v1 :: v_dual_bitop2_b32 v2, 3, v2 bitop3:0x40
; %bb.6352:                             ;   in Loop: Header=BB6_4897 Depth=2
	s_or_b32 exec_lo, exec_lo, s26
	v_lshlrev_b32_e32 v3, 24, v19
	s_delay_alu instid0(VALU_DEP_1) | instskip(NEXT) | instid1(VALU_DEP_1)
	v_and_b32_e32 v3, 0x80000000, v3
	v_lshl_add_u32 v1, v1, 23, v3
	s_delay_alu instid0(VALU_DEP_1) | instskip(NEXT) | instid1(VALU_DEP_1)
	v_lshl_or_b32 v1, v2, 21, v1
                                        ; implicit-def: $vgpr2
	v_add_nc_u32_e32 v1, 0x38000000, v1
.LBB6_6353:                             ;   in Loop: Header=BB6_4897 Depth=2
	s_and_not1_saveexec_b32 s25, s25
; %bb.6354:                             ;   in Loop: Header=BB6_4897 Depth=2
	v_bfe_i32 v1, v19, 0, 8
	s_delay_alu instid0(VALU_DEP_1) | instskip(SKIP_2) | instid1(VALU_DEP_2)
	v_cmp_lt_i16_e32 vcc_lo, -1, v1
	v_cndmask_b32_e32 v1, 0xff800000, v105, vcc_lo
	v_cmp_eq_u32_e32 vcc_lo, 0, v2
	v_cndmask_b32_e32 v1, 0x7f800001, v1, vcc_lo
; %bb.6355:                             ;   in Loop: Header=BB6_4897 Depth=2
	s_or_b32 exec_lo, exec_lo, s25
.LBB6_6356:                             ;   in Loop: Header=BB6_4897 Depth=2
	s_delay_alu instid0(SALU_CYCLE_1)
	s_or_b32 exec_lo, exec_lo, s24
.LBB6_6357:                             ;   in Loop: Header=BB6_4897 Depth=2
	s_delay_alu instid0(SALU_CYCLE_1) | instskip(NEXT) | instid1(VALU_DEP_1)
	s_or_b32 exec_lo, exec_lo, s7
	v_dual_mul_f32 v2, v0, v1 :: v_dual_mov_b32 v85, v5
	v_mov_b32_e32 v1, v5
                                        ; implicit-def: $vgpr83
	s_mov_b32 s7, exec_lo
	s_delay_alu instid0(VALU_DEP_2) | instskip(SKIP_2) | instid1(VALU_DEP_3)
	v_and_b32_e32 v84, 0x7f800000, v2
	v_and_b32_e32 v0, 0x7fffff, v2
	v_lshrrev_b32_e32 v3, 24, v2
	v_cmpx_ne_u64_e32 0x7f800000, v[84:85]
	s_xor_b32 s24, exec_lo, s7
	s_cbranch_execz .LBB6_6371
; %bb.6358:                             ;   in Loop: Header=BB6_4897 Depth=2
	v_and_b32_e32 v84, 0x7fffffff, v2
	v_mov_b32_e32 v85, v5
                                        ; implicit-def: $vgpr83
	s_delay_alu instid0(VALU_DEP_1) | instskip(SKIP_2) | instid1(SALU_CYCLE_1)
	v_cmp_gt_u64_e32 vcc_lo, 0x47600001, v[84:85]
	v_and_b32_e32 v84, 0x80, v3
	s_and_saveexec_b32 s7, vcc_lo
	s_xor_b32 s25, exec_lo, s7
	s_cbranch_execz .LBB6_6368
; %bb.6359:                             ;   in Loop: Header=BB6_4897 Depth=2
	v_mov_b32_e32 v83, 0
	s_mov_b32 s26, exec_lo
	v_cmpx_ne_u32_e32 0, v2
	s_cbranch_execz .LBB6_6367
; %bb.6360:                             ;   in Loop: Header=BB6_4897 Depth=2
	v_bfe_u32 v83, v2, 23, 8
	v_or_b32_e32 v86, 0x800000, v0
	s_delay_alu instid0(VALU_DEP_2) | instskip(SKIP_1) | instid1(VALU_DEP_2)
	v_sub_nc_u32_e32 v2, 0x71, v83
	v_cmp_gt_u32_e32 vcc_lo, 0x72, v83
	v_cndmask_b32_e32 v2, 0, v2, vcc_lo
	v_cmp_eq_u32_e32 vcc_lo, 0, v83
	s_delay_alu instid0(VALU_DEP_2) | instskip(NEXT) | instid1(VALU_DEP_1)
	v_cndmask_b32_e64 v85, v2, 0x70, vcc_lo
	v_dual_cndmask_b32 v0, v86, v0, vcc_lo :: v_dual_add_nc_u32 v2, 21, v85
	v_add_nc_u32_e32 v87, 20, v85
	s_delay_alu instid0(VALU_DEP_2) | instskip(NEXT) | instid1(VALU_DEP_2)
	v_lshlrev_b64_e64 v[2:3], v2, -1
	v_lshlrev_b64_e64 v[86:87], v87, 1
	s_delay_alu instid0(VALU_DEP_2) | instskip(SKIP_1) | instid1(VALU_DEP_4)
	v_bfi_b32 v2, v2, 0, v0
	v_lshrrev_b64 v[0:1], v85, v[0:1]
	v_bfi_b32 v3, v3, 0, 0
	s_delay_alu instid0(VALU_DEP_1) | instskip(NEXT) | instid1(VALU_DEP_3)
	v_cmp_eq_u64_e64 s7, v[2:3], v[86:87]
	v_mov_b64_e32 v[2:3], v[0:1]
	s_and_saveexec_b32 s27, s7
; %bb.6361:                             ;   in Loop: Header=BB6_4897 Depth=2
	v_bfe_u32 v2, v0, 21, 1
	v_mov_b32_e32 v3, v5
	s_delay_alu instid0(VALU_DEP_1) | instskip(NEXT) | instid1(VALU_DEP_1)
	v_add_nc_u64_e32 v[2:3], v[0:1], v[2:3]
	v_add_nc_u64_e32 v[2:3], -1, v[2:3]
; %bb.6362:                             ;   in Loop: Header=BB6_4897 Depth=2
	s_or_b32 exec_lo, exec_lo, s27
	v_add_nc_u32_e32 v1, 0xffffff81, v83
	v_lshrrev_b32_e32 v3, 23, v0
	s_mov_b32 s7, exec_lo
	s_delay_alu instid0(VALU_DEP_2) | instskip(NEXT) | instid1(VALU_DEP_1)
	v_cndmask_b32_e64 v1, v1, 0xffffff82, vcc_lo
	v_add3_u32 v3, v85, v1, v3
	v_and_b32_e32 v1, 0x1fffff, v2
                                        ; implicit-def: $vgpr2
	s_delay_alu instid0(VALU_DEP_1) | instskip(SKIP_1) | instid1(VALU_DEP_2)
	v_dual_add_nc_u32 v83, 14, v3 :: v_dual_add_nc_u32 v0, v1, v0
	v_mov_b32_e32 v1, v5
	v_cmpx_ne_u32_e32 0, v83
	s_xor_b32 s7, exec_lo, s7
; %bb.6363:                             ;   in Loop: Header=BB6_4897 Depth=2
	s_delay_alu instid0(VALU_DEP_2) | instskip(SKIP_2) | instid1(VALU_DEP_2)
	v_cmp_lt_u64_e32 vcc_lo, 0xffffff, v[0:1]
	v_add_nc_u32_e32 v2, 15, v3
	v_cndmask_b32_e64 v3, 0, 1, vcc_lo
	v_cndmask_b32_e32 v2, v83, v2, vcc_lo
	s_delay_alu instid0(VALU_DEP_2)
	v_lshrrev_b64 v[0:1], v3, v[0:1]
; %bb.6364:                             ;   in Loop: Header=BB6_4897 Depth=2
	s_and_not1_saveexec_b32 s7, s7
; %bb.6365:                             ;   in Loop: Header=BB6_4897 Depth=2
	s_delay_alu instid0(VALU_DEP_1)
	v_bfe_u32 v2, v0, 23, 1
; %bb.6366:                             ;   in Loop: Header=BB6_4897 Depth=2
	s_or_b32 exec_lo, exec_lo, s7
	s_delay_alu instid0(VALU_DEP_2) | instskip(NEXT) | instid1(VALU_DEP_2)
	v_lshrrev_b64 v[0:1], 21, v[0:1]
	v_cmp_gt_i32_e32 vcc_lo, 32, v2
	v_min_i32_e32 v3, 31, v2
	v_cmp_eq_u32_e64 s7, 0, v2
	s_delay_alu instid0(VALU_DEP_2) | instskip(SKIP_1) | instid1(VALU_DEP_2)
	v_dual_cndmask_b32 v1, 0, v1, vcc_lo :: v_dual_lshlrev_b32 v3, 2, v3
	v_cndmask_b32_e32 v0, 3, v0, vcc_lo
	v_and_b32_e32 v3, 0xfc, v3
	s_delay_alu instid0(VALU_DEP_2) | instskip(NEXT) | instid1(VALU_DEP_2)
	v_cmp_eq_u64_e32 vcc_lo, 0, v[0:1]
	v_and_or_b32 v0, v0, 3, v3
	s_and_b32 s7, s7, vcc_lo
	s_delay_alu instid0(VALU_DEP_1) | instid1(SALU_CYCLE_1)
	v_cndmask_b32_e64 v0, v0, 0, s7
	s_delay_alu instid0(VALU_DEP_1)
	v_or_b32_e32 v83, v0, v84
.LBB6_6367:                             ;   in Loop: Header=BB6_4897 Depth=2
	s_or_b32 exec_lo, exec_lo, s26
                                        ; implicit-def: $vgpr84
.LBB6_6368:                             ;   in Loop: Header=BB6_4897 Depth=2
	s_and_not1_saveexec_b32 s7, s25
; %bb.6369:                             ;   in Loop: Header=BB6_4897 Depth=2
	v_or_b32_e32 v83, 0x7b, v84
; %bb.6370:                             ;   in Loop: Header=BB6_4897 Depth=2
	s_or_b32 exec_lo, exec_lo, s7
                                        ; implicit-def: $vgpr2
                                        ; implicit-def: $vgpr0_vgpr1
                                        ; implicit-def: $vgpr3
.LBB6_6371:                             ;   in Loop: Header=BB6_4897 Depth=2
	s_and_not1_saveexec_b32 s7, s24
	s_cbranch_execz .LBB6_6377
; %bb.6372:                             ;   in Loop: Header=BB6_4897 Depth=2
	s_mov_b32 s24, exec_lo
                                        ; implicit-def: $vgpr83
	v_cmpx_ne_u64_e32 0, v[0:1]
	s_xor_b32 s24, exec_lo, s24
; %bb.6373:                             ;   in Loop: Header=BB6_4897 Depth=2
	v_or_b32_e32 v83, 0x7f, v3
                                        ; implicit-def: $vgpr2
; %bb.6374:                             ;   in Loop: Header=BB6_4897 Depth=2
	s_and_not1_saveexec_b32 s24, s24
; %bb.6375:                             ;   in Loop: Header=BB6_4897 Depth=2
	v_cmp_lt_i32_e32 vcc_lo, -1, v2
	v_cndmask_b32_e32 v83, 0xfc, v104, vcc_lo
; %bb.6376:                             ;   in Loop: Header=BB6_4897 Depth=2
	s_or_b32 exec_lo, exec_lo, s24
.LBB6_6377:                             ;   in Loop: Header=BB6_4897 Depth=2
	s_delay_alu instid0(SALU_CYCLE_1) | instskip(SKIP_3) | instid1(VALU_DEP_2)
	s_or_b32 exec_lo, exec_lo, s7
	v_lshrrev_b16 v0, 8, v4
	v_dual_mov_b32 v2, 0 :: v_dual_mov_b32 v3, 0
	s_mov_b32 s7, exec_lo
	v_cmpx_ne_u16_e32 0, v0
	s_cbranch_execz .LBB6_6387
; %bb.6378:                             ;   in Loop: Header=BB6_4897 Depth=2
	v_bfrev_b32_e32 v3, 1
	s_mov_b32 s24, exec_lo
	v_cmpx_ne_u16_e32 0x80, v0
	s_cbranch_execz .LBB6_6386
; %bb.6379:                             ;   in Loop: Header=BB6_4897 Depth=2
	v_and_b32_e32 v84, 0xffff, v0
	s_delay_alu instid0(VALU_DEP_1) | instskip(SKIP_1) | instid1(VALU_DEP_2)
	v_and_b32_e32 v3, 0x7c, v84
	v_and_b32_e32 v1, 3, v84
	v_cmp_ne_u32_e32 vcc_lo, 0x7c, v3
                                        ; implicit-def: $vgpr3
	s_and_saveexec_b32 s25, vcc_lo
	s_delay_alu instid0(SALU_CYCLE_1)
	s_xor_b32 s25, exec_lo, s25
	s_cbranch_execz .LBB6_6383
; %bb.6380:                             ;   in Loop: Header=BB6_4897 Depth=2
	v_bfe_u32 v3, v84, 2, 5
	s_mov_b32 s26, exec_lo
	s_delay_alu instid0(VALU_DEP_1)
	v_cmpx_eq_u32_e32 0, v3
	s_cbranch_execz .LBB6_6382
; %bb.6381:                             ;   in Loop: Header=BB6_4897 Depth=2
	v_clz_i32_u32_e32 v1, v1
	s_delay_alu instid0(VALU_DEP_1) | instskip(SKIP_1) | instid1(VALU_DEP_2)
	v_min_u32_e32 v3, 32, v1
	v_mov_b32_e32 v1, v5
	v_subrev_nc_u32_e32 v84, 29, v3
	v_sub_nc_u32_e32 v3, 30, v3
	s_delay_alu instid0(VALU_DEP_2) | instskip(NEXT) | instid1(VALU_DEP_1)
	v_lshlrev_b64_e32 v[0:1], v84, v[0:1]
	v_and_b32_e32 v1, 3, v0
.LBB6_6382:                             ;   in Loop: Header=BB6_4897 Depth=2
	s_or_b32 exec_lo, exec_lo, s26
	v_lshlrev_b32_e32 v0, 16, v4
	s_delay_alu instid0(VALU_DEP_1) | instskip(NEXT) | instid1(VALU_DEP_1)
	v_and_b32_e32 v0, 0x80000000, v0
	v_lshl_add_u32 v0, v3, 23, v0
	s_delay_alu instid0(VALU_DEP_1) | instskip(NEXT) | instid1(VALU_DEP_1)
	v_lshl_or_b32 v0, v1, 21, v0
                                        ; implicit-def: $vgpr1
	v_add_nc_u32_e32 v3, 0x38000000, v0
.LBB6_6383:                             ;   in Loop: Header=BB6_4897 Depth=2
	s_and_not1_saveexec_b32 s25, s25
; %bb.6384:                             ;   in Loop: Header=BB6_4897 Depth=2
	v_cmp_lt_i16_e32 vcc_lo, -1, v4
	v_cndmask_b32_e32 v0, 0xff800000, v105, vcc_lo
	v_cmp_eq_u32_e32 vcc_lo, 0, v1
	s_delay_alu instid0(VALU_DEP_2)
	v_cndmask_b32_e32 v3, 0x7f800001, v0, vcc_lo
; %bb.6385:                             ;   in Loop: Header=BB6_4897 Depth=2
	s_or_b32 exec_lo, exec_lo, s25
.LBB6_6386:                             ;   in Loop: Header=BB6_4897 Depth=2
	s_delay_alu instid0(SALU_CYCLE_1)
	s_or_b32 exec_lo, exec_lo, s24
.LBB6_6387:                             ;   in Loop: Header=BB6_4897 Depth=2
	s_delay_alu instid0(SALU_CYCLE_1) | instskip(SKIP_2) | instid1(VALU_DEP_1)
	s_or_b32 exec_lo, exec_lo, s7
	v_lshrrev_b16 v0, 8, v19
	s_mov_b32 s7, exec_lo
	v_cmpx_ne_u16_e32 0, v0
	s_cbranch_execz .LBB6_6397
; %bb.6388:                             ;   in Loop: Header=BB6_4897 Depth=2
	v_bfrev_b32_e32 v2, 1
	s_mov_b32 s24, exec_lo
	v_cmpx_ne_u16_e32 0x80, v0
	s_cbranch_execz .LBB6_6396
; %bb.6389:                             ;   in Loop: Header=BB6_4897 Depth=2
	v_and_b32_e32 v4, 0xffff, v0
	s_delay_alu instid0(VALU_DEP_1) | instskip(SKIP_1) | instid1(VALU_DEP_2)
	v_and_b32_e32 v2, 0x7c, v4
	v_and_b32_e32 v1, 3, v4
	v_cmp_ne_u32_e32 vcc_lo, 0x7c, v2
                                        ; implicit-def: $vgpr2
	s_and_saveexec_b32 s25, vcc_lo
	s_delay_alu instid0(SALU_CYCLE_1)
	s_xor_b32 s25, exec_lo, s25
	s_cbranch_execz .LBB6_6393
; %bb.6390:                             ;   in Loop: Header=BB6_4897 Depth=2
	v_bfe_u32 v2, v4, 2, 5
	s_mov_b32 s26, exec_lo
	s_delay_alu instid0(VALU_DEP_1)
	v_cmpx_eq_u32_e32 0, v2
	s_cbranch_execz .LBB6_6392
; %bb.6391:                             ;   in Loop: Header=BB6_4897 Depth=2
	v_clz_i32_u32_e32 v1, v1
	s_delay_alu instid0(VALU_DEP_1) | instskip(SKIP_1) | instid1(VALU_DEP_2)
	v_min_u32_e32 v2, 32, v1
	v_mov_b32_e32 v1, v5
	v_subrev_nc_u32_e32 v4, 29, v2
	v_sub_nc_u32_e32 v2, 30, v2
	s_delay_alu instid0(VALU_DEP_2) | instskip(NEXT) | instid1(VALU_DEP_1)
	v_lshlrev_b64_e32 v[0:1], v4, v[0:1]
	v_and_b32_e32 v1, 3, v0
.LBB6_6392:                             ;   in Loop: Header=BB6_4897 Depth=2
	s_or_b32 exec_lo, exec_lo, s26
	v_lshlrev_b32_e32 v0, 16, v19
	s_delay_alu instid0(VALU_DEP_1) | instskip(NEXT) | instid1(VALU_DEP_1)
	v_and_b32_e32 v0, 0x80000000, v0
	v_lshl_add_u32 v0, v2, 23, v0
	s_delay_alu instid0(VALU_DEP_1) | instskip(NEXT) | instid1(VALU_DEP_1)
	v_lshl_or_b32 v0, v1, 21, v0
                                        ; implicit-def: $vgpr1
	v_add_nc_u32_e32 v2, 0x38000000, v0
.LBB6_6393:                             ;   in Loop: Header=BB6_4897 Depth=2
	s_and_not1_saveexec_b32 s25, s25
; %bb.6394:                             ;   in Loop: Header=BB6_4897 Depth=2
	v_cmp_lt_i16_e32 vcc_lo, -1, v19
	v_cndmask_b32_e32 v0, 0xff800000, v105, vcc_lo
	v_cmp_eq_u32_e32 vcc_lo, 0, v1
	s_delay_alu instid0(VALU_DEP_2)
	v_cndmask_b32_e32 v2, 0x7f800001, v0, vcc_lo
; %bb.6395:                             ;   in Loop: Header=BB6_4897 Depth=2
	s_or_b32 exec_lo, exec_lo, s25
.LBB6_6396:                             ;   in Loop: Header=BB6_4897 Depth=2
	s_delay_alu instid0(SALU_CYCLE_1)
	s_or_b32 exec_lo, exec_lo, s24
.LBB6_6397:                             ;   in Loop: Header=BB6_4897 Depth=2
	s_delay_alu instid0(SALU_CYCLE_1) | instskip(NEXT) | instid1(VALU_DEP_1)
	s_or_b32 exec_lo, exec_lo, s7
	v_dual_mul_f32 v0, v3, v2 :: v_dual_mov_b32 v3, v5
                                        ; implicit-def: $vgpr84
	s_mov_b32 s7, exec_lo
	s_delay_alu instid0(VALU_DEP_1) | instskip(SKIP_2) | instid1(VALU_DEP_3)
	v_and_b32_e32 v2, 0x7f800000, v0
	v_and_b32_e32 v4, 0x7fffff, v0
	v_lshrrev_b32_e32 v1, 24, v0
	v_cmpx_ne_u64_e32 0x7f800000, v[2:3]
	s_xor_b32 s24, exec_lo, s7
	s_cbranch_execz .LBB6_6411
; %bb.6398:                             ;   in Loop: Header=BB6_4897 Depth=2
	v_and_b32_e32 v2, 0x7fffffff, v0
	v_mov_b32_e32 v3, v5
	v_and_b32_e32 v85, 0x80, v1
                                        ; implicit-def: $vgpr84
	s_mov_b32 s7, exec_lo
	s_delay_alu instid0(VALU_DEP_2)
	v_cmpx_gt_u64_e32 0x47600001, v[2:3]
	s_xor_b32 s25, exec_lo, s7
	s_cbranch_execz .LBB6_6408
; %bb.6399:                             ;   in Loop: Header=BB6_4897 Depth=2
	v_mov_b32_e32 v84, 0
	s_mov_b32 s26, exec_lo
	v_cmpx_ne_u32_e32 0, v0
	s_cbranch_execz .LBB6_6407
; %bb.6400:                             ;   in Loop: Header=BB6_4897 Depth=2
	v_bfe_u32 v84, v0, 23, 8
	v_or_b32_e32 v2, 0x800000, v4
	s_mov_b32 s27, exec_lo
	s_delay_alu instid0(VALU_DEP_2) | instskip(SKIP_1) | instid1(VALU_DEP_2)
	v_dual_mov_b32 v3, v5 :: v_dual_sub_nc_u32 v0, 0x71, v84
	v_cmp_gt_u32_e32 vcc_lo, 0x72, v84
	v_cndmask_b32_e32 v0, 0, v0, vcc_lo
	v_cmp_eq_u32_e32 vcc_lo, 0, v84
	s_delay_alu instid0(VALU_DEP_2) | instskip(NEXT) | instid1(VALU_DEP_1)
	v_cndmask_b32_e64 v86, v0, 0x70, vcc_lo
	v_dual_cndmask_b32 v2, v2, v4, vcc_lo :: v_dual_add_nc_u32 v0, 21, v86
	v_add_nc_u32_e32 v87, 20, v86
	s_delay_alu instid0(VALU_DEP_2) | instskip(NEXT) | instid1(VALU_DEP_2)
	v_lshlrev_b64_e64 v[0:1], v0, -1
	v_lshlrev_b64_e64 v[96:97], v87, 1
	s_delay_alu instid0(VALU_DEP_2) | instskip(NEXT) | instid1(VALU_DEP_3)
	v_bfi_b32 v99, v1, 0, 0
	v_bfi_b32 v98, v0, 0, v2
	v_lshrrev_b64 v[0:1], v86, v[2:3]
	s_delay_alu instid0(VALU_DEP_1) | instskip(NEXT) | instid1(VALU_DEP_3)
	v_mov_b64_e32 v[2:3], v[0:1]
	v_cmpx_eq_u64_e64 v[98:99], v[96:97]
; %bb.6401:                             ;   in Loop: Header=BB6_4897 Depth=2
	v_bfe_u32 v2, v0, 21, 1
	v_mov_b32_e32 v3, v5
	s_delay_alu instid0(VALU_DEP_1) | instskip(NEXT) | instid1(VALU_DEP_1)
	v_add_nc_u64_e32 v[2:3], v[0:1], v[2:3]
	v_add_nc_u64_e32 v[2:3], -1, v[2:3]
; %bb.6402:                             ;   in Loop: Header=BB6_4897 Depth=2
	s_or_b32 exec_lo, exec_lo, s27
	v_add_nc_u32_e32 v1, 0xffffff81, v84
	v_lshrrev_b32_e32 v3, 23, v0
	s_mov_b32 s7, exec_lo
	s_delay_alu instid0(VALU_DEP_2) | instskip(NEXT) | instid1(VALU_DEP_1)
	v_cndmask_b32_e64 v1, v1, 0xffffff82, vcc_lo
	v_add3_u32 v3, v86, v1, v3
	v_and_b32_e32 v1, 0x1fffff, v2
                                        ; implicit-def: $vgpr2
	s_delay_alu instid0(VALU_DEP_1) | instskip(NEXT) | instid1(VALU_DEP_1)
	v_dual_add_nc_u32 v84, 14, v3 :: v_dual_add_nc_u32 v4, v1, v0
                                        ; implicit-def: $vgpr0_vgpr1
	v_cmpx_ne_u32_e32 0, v84
	s_xor_b32 s7, exec_lo, s7
; %bb.6403:                             ;   in Loop: Header=BB6_4897 Depth=2
	s_delay_alu instid0(VALU_DEP_2) | instskip(SKIP_1) | instid1(VALU_DEP_1)
	v_cmp_lt_u64_e32 vcc_lo, 0xffffff, v[4:5]
	v_add_nc_u32_e32 v0, 15, v3
	v_cndmask_b32_e32 v2, v84, v0, vcc_lo
	v_cndmask_b32_e64 v0, 0, 1, vcc_lo
	s_delay_alu instid0(VALU_DEP_1)
	v_lshrrev_b64 v[0:1], v0, v[4:5]
; %bb.6404:                             ;   in Loop: Header=BB6_4897 Depth=2
	s_and_not1_saveexec_b32 s7, s7
; %bb.6405:                             ;   in Loop: Header=BB6_4897 Depth=2
	v_mov_b64_e32 v[0:1], v[4:5]
	v_bfe_u32 v2, v4, 23, 1
; %bb.6406:                             ;   in Loop: Header=BB6_4897 Depth=2
	s_or_b32 exec_lo, exec_lo, s7
	s_delay_alu instid0(VALU_DEP_2) | instskip(NEXT) | instid1(VALU_DEP_2)
	v_lshrrev_b64 v[0:1], 21, v[0:1]
	v_cmp_gt_i32_e32 vcc_lo, 32, v2
	v_min_i32_e32 v3, 31, v2
	v_cmp_eq_u32_e64 s7, 0, v2
	s_delay_alu instid0(VALU_DEP_2) | instskip(SKIP_1) | instid1(VALU_DEP_2)
	v_dual_cndmask_b32 v1, 0, v1, vcc_lo :: v_dual_lshlrev_b32 v3, 2, v3
	v_cndmask_b32_e32 v0, 3, v0, vcc_lo
	v_and_b32_e32 v3, 0xfc, v3
	s_delay_alu instid0(VALU_DEP_2) | instskip(NEXT) | instid1(VALU_DEP_2)
	v_cmp_eq_u64_e32 vcc_lo, 0, v[0:1]
	v_and_or_b32 v0, v0, 3, v3
	s_and_b32 s7, s7, vcc_lo
	s_delay_alu instid0(VALU_DEP_1) | instid1(SALU_CYCLE_1)
	v_cndmask_b32_e64 v0, v0, 0, s7
	s_delay_alu instid0(VALU_DEP_1)
	v_or_b32_e32 v84, v0, v85
.LBB6_6407:                             ;   in Loop: Header=BB6_4897 Depth=2
	s_or_b32 exec_lo, exec_lo, s26
                                        ; implicit-def: $vgpr85
.LBB6_6408:                             ;   in Loop: Header=BB6_4897 Depth=2
	s_and_not1_saveexec_b32 s7, s25
; %bb.6409:                             ;   in Loop: Header=BB6_4897 Depth=2
	v_or_b32_e32 v84, 0x7b, v85
; %bb.6410:                             ;   in Loop: Header=BB6_4897 Depth=2
	s_or_b32 exec_lo, exec_lo, s7
                                        ; implicit-def: $vgpr0
                                        ; implicit-def: $vgpr1
.LBB6_6411:                             ;   in Loop: Header=BB6_4897 Depth=2
	s_and_not1_saveexec_b32 s7, s24
	s_cbranch_execz .LBB6_6417
; %bb.6412:                             ;   in Loop: Header=BB6_4897 Depth=2
	s_mov_b32 s24, exec_lo
                                        ; implicit-def: $vgpr84
	v_cmpx_ne_u64_e32 0, v[4:5]
	s_xor_b32 s24, exec_lo, s24
; %bb.6413:                             ;   in Loop: Header=BB6_4897 Depth=2
	v_or_b32_e32 v84, 0x7f, v1
                                        ; implicit-def: $vgpr0
; %bb.6414:                             ;   in Loop: Header=BB6_4897 Depth=2
	s_and_not1_saveexec_b32 s24, s24
; %bb.6415:                             ;   in Loop: Header=BB6_4897 Depth=2
	v_cmp_lt_i32_e32 vcc_lo, -1, v0
	v_cndmask_b32_e32 v84, 0xfc, v104, vcc_lo
; %bb.6416:                             ;   in Loop: Header=BB6_4897 Depth=2
	s_or_b32 exec_lo, exec_lo, s24
.LBB6_6417:                             ;   in Loop: Header=BB6_4897 Depth=2
	s_delay_alu instid0(SALU_CYCLE_1) | instskip(SKIP_3) | instid1(VALU_DEP_2)
	s_or_b32 exec_lo, exec_lo, s7
	v_dual_mov_b32 v1, 0 :: v_dual_lshrrev_b32 v0, 16, v23
	v_mov_b32_e32 v2, 0
	s_mov_b32 s7, exec_lo
	v_and_b32_e32 v3, 0xff, v0
	s_delay_alu instid0(VALU_DEP_1)
	v_cmpx_ne_u16_e32 0, v3
	s_cbranch_execz .LBB6_6427
; %bb.6418:                             ;   in Loop: Header=BB6_4897 Depth=2
	v_bfrev_b32_e32 v2, 1
	s_mov_b32 s24, exec_lo
	v_cmpx_ne_u16_e32 0x80, v3
	s_cbranch_execz .LBB6_6426
; %bb.6419:                             ;   in Loop: Header=BB6_4897 Depth=2
	v_and_b32_e32 v2, 0x7c0000, v23
	v_bfe_u32 v3, v23, 16, 2
	s_delay_alu instid0(VALU_DEP_2) | instskip(SKIP_1) | instid1(SALU_CYCLE_1)
	v_cmp_ne_u32_e32 vcc_lo, 0x7c0000, v2
                                        ; implicit-def: $vgpr2
	s_and_saveexec_b32 s25, vcc_lo
	s_xor_b32 s25, exec_lo, s25
	s_cbranch_execz .LBB6_6423
; %bb.6420:                             ;   in Loop: Header=BB6_4897 Depth=2
	v_bfe_u32 v2, v23, 18, 5
	s_mov_b32 s26, exec_lo
	s_delay_alu instid0(VALU_DEP_1)
	v_cmpx_eq_u32_e32 0, v2
; %bb.6421:                             ;   in Loop: Header=BB6_4897 Depth=2
	v_clz_i32_u32_e32 v2, v3
	s_delay_alu instid0(VALU_DEP_1) | instskip(NEXT) | instid1(VALU_DEP_1)
	v_min_u32_e32 v2, 32, v2
	v_subrev_nc_u32_e32 v3, 29, v2
	v_sub_nc_u32_e32 v2, 30, v2
	s_delay_alu instid0(VALU_DEP_2) | instskip(NEXT) | instid1(VALU_DEP_1)
	v_lshlrev_b64_e32 v[86:87], v3, v[0:1]
	v_and_b32_e32 v3, 3, v86
; %bb.6422:                             ;   in Loop: Header=BB6_4897 Depth=2
	s_or_b32 exec_lo, exec_lo, s26
	v_lshlrev_b32_e32 v0, 24, v0
	s_delay_alu instid0(VALU_DEP_1) | instskip(NEXT) | instid1(VALU_DEP_1)
	v_and_b32_e32 v0, 0x80000000, v0
	v_lshl_add_u32 v0, v2, 23, v0
	s_delay_alu instid0(VALU_DEP_1) | instskip(NEXT) | instid1(VALU_DEP_1)
	v_lshl_or_b32 v0, v3, 21, v0
                                        ; implicit-def: $vgpr3
	v_add_nc_u32_e32 v2, 0x38000000, v0
                                        ; implicit-def: $vgpr0
.LBB6_6423:                             ;   in Loop: Header=BB6_4897 Depth=2
	s_and_not1_saveexec_b32 s25, s25
; %bb.6424:                             ;   in Loop: Header=BB6_4897 Depth=2
	v_bfe_i32 v0, v0, 0, 8
	s_delay_alu instid0(VALU_DEP_1) | instskip(SKIP_2) | instid1(VALU_DEP_2)
	v_cmp_lt_i16_e32 vcc_lo, -1, v0
	v_cndmask_b32_e32 v0, 0xff800000, v105, vcc_lo
	v_cmp_eq_u32_e32 vcc_lo, 0, v3
	v_cndmask_b32_e32 v2, 0x7f800001, v0, vcc_lo
; %bb.6425:                             ;   in Loop: Header=BB6_4897 Depth=2
	s_or_b32 exec_lo, exec_lo, s25
.LBB6_6426:                             ;   in Loop: Header=BB6_4897 Depth=2
	s_delay_alu instid0(SALU_CYCLE_1)
	s_or_b32 exec_lo, exec_lo, s24
.LBB6_6427:                             ;   in Loop: Header=BB6_4897 Depth=2
	s_delay_alu instid0(SALU_CYCLE_1) | instskip(SKIP_2) | instid1(VALU_DEP_1)
	s_or_b32 exec_lo, exec_lo, s7
	v_lshrrev_b32_e32 v0, 16, v19
	s_mov_b32 s7, exec_lo
	v_and_b32_e32 v3, 0xff, v0
	s_delay_alu instid0(VALU_DEP_1)
	v_cmpx_ne_u16_e32 0, v3
	s_cbranch_execz .LBB6_6437
; %bb.6428:                             ;   in Loop: Header=BB6_4897 Depth=2
	v_bfrev_b32_e32 v1, 1
	s_mov_b32 s24, exec_lo
	v_cmpx_ne_u16_e32 0x80, v3
	s_cbranch_execz .LBB6_6436
; %bb.6429:                             ;   in Loop: Header=BB6_4897 Depth=2
	v_and_b32_e32 v1, 0x7c0000, v19
	v_bfe_u32 v3, v19, 16, 2
	s_delay_alu instid0(VALU_DEP_2) | instskip(SKIP_1) | instid1(SALU_CYCLE_1)
	v_cmp_ne_u32_e32 vcc_lo, 0x7c0000, v1
                                        ; implicit-def: $vgpr1
	s_and_saveexec_b32 s25, vcc_lo
	s_xor_b32 s25, exec_lo, s25
	s_cbranch_execz .LBB6_6433
; %bb.6430:                             ;   in Loop: Header=BB6_4897 Depth=2
	v_bfe_u32 v1, v19, 18, 5
	s_mov_b32 s26, exec_lo
	s_delay_alu instid0(VALU_DEP_1)
	v_cmpx_eq_u32_e32 0, v1
; %bb.6431:                             ;   in Loop: Header=BB6_4897 Depth=2
	v_clz_i32_u32_e32 v1, v3
	s_delay_alu instid0(VALU_DEP_1) | instskip(NEXT) | instid1(VALU_DEP_1)
	v_min_u32_e32 v1, 32, v1
	v_subrev_nc_u32_e32 v3, 29, v1
	s_delay_alu instid0(VALU_DEP_1) | instskip(NEXT) | instid1(VALU_DEP_1)
	v_lshlrev_b64_e32 v[86:87], v3, v[0:1]
	v_dual_sub_nc_u32 v1, 30, v1 :: v_dual_bitop2_b32 v3, 3, v86 bitop3:0x40
; %bb.6432:                             ;   in Loop: Header=BB6_4897 Depth=2
	s_or_b32 exec_lo, exec_lo, s26
	v_lshlrev_b32_e32 v0, 24, v0
	s_delay_alu instid0(VALU_DEP_1) | instskip(NEXT) | instid1(VALU_DEP_1)
	v_and_b32_e32 v0, 0x80000000, v0
	v_lshl_add_u32 v0, v1, 23, v0
	s_delay_alu instid0(VALU_DEP_1) | instskip(NEXT) | instid1(VALU_DEP_1)
	v_lshl_or_b32 v0, v3, 21, v0
                                        ; implicit-def: $vgpr3
	v_add_nc_u32_e32 v1, 0x38000000, v0
                                        ; implicit-def: $vgpr0
.LBB6_6433:                             ;   in Loop: Header=BB6_4897 Depth=2
	s_and_not1_saveexec_b32 s25, s25
; %bb.6434:                             ;   in Loop: Header=BB6_4897 Depth=2
	v_bfe_i32 v0, v0, 0, 8
	s_delay_alu instid0(VALU_DEP_1) | instskip(SKIP_2) | instid1(VALU_DEP_2)
	v_cmp_lt_i16_e32 vcc_lo, -1, v0
	v_cndmask_b32_e32 v0, 0xff800000, v105, vcc_lo
	v_cmp_eq_u32_e32 vcc_lo, 0, v3
	v_cndmask_b32_e32 v1, 0x7f800001, v0, vcc_lo
; %bb.6435:                             ;   in Loop: Header=BB6_4897 Depth=2
	s_or_b32 exec_lo, exec_lo, s25
.LBB6_6436:                             ;   in Loop: Header=BB6_4897 Depth=2
	s_delay_alu instid0(SALU_CYCLE_1)
	s_or_b32 exec_lo, exec_lo, s24
.LBB6_6437:                             ;   in Loop: Header=BB6_4897 Depth=2
	s_delay_alu instid0(SALU_CYCLE_1) | instskip(NEXT) | instid1(VALU_DEP_1)
	s_or_b32 exec_lo, exec_lo, s7
	v_dual_mul_f32 v0, v2, v1 :: v_dual_mov_b32 v3, v5
                                        ; implicit-def: $vgpr85
	s_mov_b32 s7, exec_lo
	s_delay_alu instid0(VALU_DEP_1) | instskip(SKIP_2) | instid1(VALU_DEP_3)
	v_and_b32_e32 v2, 0x7f800000, v0
	v_and_b32_e32 v4, 0x7fffff, v0
	v_lshrrev_b32_e32 v1, 24, v0
	v_cmpx_ne_u64_e32 0x7f800000, v[2:3]
	s_xor_b32 s24, exec_lo, s7
	s_cbranch_execz .LBB6_6451
; %bb.6438:                             ;   in Loop: Header=BB6_4897 Depth=2
	v_and_b32_e32 v2, 0x7fffffff, v0
	v_mov_b32_e32 v3, v5
	v_and_b32_e32 v86, 0x80, v1
                                        ; implicit-def: $vgpr85
	s_mov_b32 s7, exec_lo
	s_delay_alu instid0(VALU_DEP_2)
	v_cmpx_gt_u64_e32 0x47600001, v[2:3]
	s_xor_b32 s25, exec_lo, s7
	s_cbranch_execz .LBB6_6448
; %bb.6439:                             ;   in Loop: Header=BB6_4897 Depth=2
	v_mov_b32_e32 v85, 0
	s_mov_b32 s26, exec_lo
	v_cmpx_ne_u32_e32 0, v0
	s_cbranch_execz .LBB6_6447
; %bb.6440:                             ;   in Loop: Header=BB6_4897 Depth=2
	v_bfe_u32 v85, v0, 23, 8
	v_or_b32_e32 v2, 0x800000, v4
	s_mov_b32 s27, exec_lo
	s_delay_alu instid0(VALU_DEP_2) | instskip(SKIP_1) | instid1(VALU_DEP_2)
	v_dual_mov_b32 v3, v5 :: v_dual_sub_nc_u32 v0, 0x71, v85
	v_cmp_gt_u32_e32 vcc_lo, 0x72, v85
	v_cndmask_b32_e32 v0, 0, v0, vcc_lo
	v_cmp_eq_u32_e32 vcc_lo, 0, v85
	s_delay_alu instid0(VALU_DEP_2) | instskip(NEXT) | instid1(VALU_DEP_1)
	v_cndmask_b32_e64 v87, v0, 0x70, vcc_lo
	v_dual_cndmask_b32 v2, v2, v4, vcc_lo :: v_dual_add_nc_u32 v0, 21, v87
	v_add_nc_u32_e32 v96, 20, v87
	s_delay_alu instid0(VALU_DEP_2) | instskip(NEXT) | instid1(VALU_DEP_2)
	v_lshlrev_b64_e64 v[0:1], v0, -1
	v_lshlrev_b64_e64 v[96:97], v96, 1
	s_delay_alu instid0(VALU_DEP_2) | instskip(NEXT) | instid1(VALU_DEP_3)
	v_bfi_b32 v99, v1, 0, 0
	v_bfi_b32 v98, v0, 0, v2
	v_lshrrev_b64 v[0:1], v87, v[2:3]
	s_delay_alu instid0(VALU_DEP_1) | instskip(NEXT) | instid1(VALU_DEP_3)
	v_mov_b64_e32 v[2:3], v[0:1]
	v_cmpx_eq_u64_e64 v[98:99], v[96:97]
; %bb.6441:                             ;   in Loop: Header=BB6_4897 Depth=2
	v_bfe_u32 v2, v0, 21, 1
	v_mov_b32_e32 v3, v5
	s_delay_alu instid0(VALU_DEP_1) | instskip(NEXT) | instid1(VALU_DEP_1)
	v_add_nc_u64_e32 v[2:3], v[0:1], v[2:3]
	v_add_nc_u64_e32 v[2:3], -1, v[2:3]
; %bb.6442:                             ;   in Loop: Header=BB6_4897 Depth=2
	s_or_b32 exec_lo, exec_lo, s27
	v_add_nc_u32_e32 v1, 0xffffff81, v85
	v_lshrrev_b32_e32 v3, 23, v0
	s_mov_b32 s7, exec_lo
	s_delay_alu instid0(VALU_DEP_2) | instskip(NEXT) | instid1(VALU_DEP_1)
	v_cndmask_b32_e64 v1, v1, 0xffffff82, vcc_lo
	v_add3_u32 v3, v87, v1, v3
	v_and_b32_e32 v1, 0x1fffff, v2
                                        ; implicit-def: $vgpr2
	s_delay_alu instid0(VALU_DEP_1) | instskip(NEXT) | instid1(VALU_DEP_1)
	v_dual_add_nc_u32 v85, 14, v3 :: v_dual_add_nc_u32 v4, v1, v0
                                        ; implicit-def: $vgpr0_vgpr1
	v_cmpx_ne_u32_e32 0, v85
	s_xor_b32 s7, exec_lo, s7
; %bb.6443:                             ;   in Loop: Header=BB6_4897 Depth=2
	s_delay_alu instid0(VALU_DEP_2) | instskip(SKIP_1) | instid1(VALU_DEP_1)
	v_cmp_lt_u64_e32 vcc_lo, 0xffffff, v[4:5]
	v_add_nc_u32_e32 v0, 15, v3
	v_cndmask_b32_e32 v2, v85, v0, vcc_lo
	v_cndmask_b32_e64 v0, 0, 1, vcc_lo
	s_delay_alu instid0(VALU_DEP_1)
	v_lshrrev_b64 v[0:1], v0, v[4:5]
; %bb.6444:                             ;   in Loop: Header=BB6_4897 Depth=2
	s_and_not1_saveexec_b32 s7, s7
; %bb.6445:                             ;   in Loop: Header=BB6_4897 Depth=2
	v_mov_b64_e32 v[0:1], v[4:5]
	v_bfe_u32 v2, v4, 23, 1
; %bb.6446:                             ;   in Loop: Header=BB6_4897 Depth=2
	s_or_b32 exec_lo, exec_lo, s7
	s_delay_alu instid0(VALU_DEP_2) | instskip(NEXT) | instid1(VALU_DEP_2)
	v_lshrrev_b64 v[0:1], 21, v[0:1]
	v_cmp_gt_i32_e32 vcc_lo, 32, v2
	v_min_i32_e32 v3, 31, v2
	v_cmp_eq_u32_e64 s7, 0, v2
	s_delay_alu instid0(VALU_DEP_2) | instskip(SKIP_1) | instid1(VALU_DEP_2)
	v_dual_cndmask_b32 v1, 0, v1, vcc_lo :: v_dual_lshlrev_b32 v3, 2, v3
	v_cndmask_b32_e32 v0, 3, v0, vcc_lo
	v_and_b32_e32 v3, 0xfc, v3
	s_delay_alu instid0(VALU_DEP_2) | instskip(NEXT) | instid1(VALU_DEP_2)
	v_cmp_eq_u64_e32 vcc_lo, 0, v[0:1]
	v_and_or_b32 v0, v0, 3, v3
	s_and_b32 s7, s7, vcc_lo
	s_delay_alu instid0(VALU_DEP_1) | instid1(SALU_CYCLE_1)
	v_cndmask_b32_e64 v0, v0, 0, s7
	s_delay_alu instid0(VALU_DEP_1)
	v_or_b32_e32 v85, v0, v86
.LBB6_6447:                             ;   in Loop: Header=BB6_4897 Depth=2
	s_or_b32 exec_lo, exec_lo, s26
                                        ; implicit-def: $vgpr86
.LBB6_6448:                             ;   in Loop: Header=BB6_4897 Depth=2
	s_and_not1_saveexec_b32 s7, s25
; %bb.6449:                             ;   in Loop: Header=BB6_4897 Depth=2
	v_or_b32_e32 v85, 0x7b, v86
; %bb.6450:                             ;   in Loop: Header=BB6_4897 Depth=2
	s_or_b32 exec_lo, exec_lo, s7
                                        ; implicit-def: $vgpr0
                                        ; implicit-def: $vgpr1
.LBB6_6451:                             ;   in Loop: Header=BB6_4897 Depth=2
	s_and_not1_saveexec_b32 s7, s24
	s_cbranch_execz .LBB6_6457
; %bb.6452:                             ;   in Loop: Header=BB6_4897 Depth=2
	s_mov_b32 s24, exec_lo
                                        ; implicit-def: $vgpr85
	v_cmpx_ne_u64_e32 0, v[4:5]
	s_xor_b32 s24, exec_lo, s24
; %bb.6453:                             ;   in Loop: Header=BB6_4897 Depth=2
	v_or_b32_e32 v85, 0x7f, v1
                                        ; implicit-def: $vgpr0
; %bb.6454:                             ;   in Loop: Header=BB6_4897 Depth=2
	s_and_not1_saveexec_b32 s24, s24
; %bb.6455:                             ;   in Loop: Header=BB6_4897 Depth=2
	v_cmp_lt_i32_e32 vcc_lo, -1, v0
	v_cndmask_b32_e32 v85, 0xfc, v104, vcc_lo
; %bb.6456:                             ;   in Loop: Header=BB6_4897 Depth=2
	s_or_b32 exec_lo, exec_lo, s24
.LBB6_6457:                             ;   in Loop: Header=BB6_4897 Depth=2
	s_delay_alu instid0(SALU_CYCLE_1)
	s_or_b32 exec_lo, exec_lo, s7
	v_dual_mov_b32 v1, 0 :: v_dual_mov_b32 v2, 0
	s_mov_b32 s7, exec_lo
	v_cmpx_lt_u64_e64 s[12:13], v[22:23]
	s_cbranch_execz .LBB6_6467
; %bb.6458:                             ;   in Loop: Header=BB6_4897 Depth=2
	v_lshrrev_b32_e32 v0, 24, v23
	v_bfrev_b32_e32 v2, 1
	s_mov_b32 s24, exec_lo
	s_delay_alu instid0(VALU_DEP_2)
	v_cmpx_ne_u32_e32 0x80, v0
	s_cbranch_execz .LBB6_6466
; %bb.6459:                             ;   in Loop: Header=BB6_4897 Depth=2
	v_and_b32_e32 v2, 0x7c000000, v23
	v_bfe_u32 v3, v23, 24, 2
	s_delay_alu instid0(VALU_DEP_2) | instskip(SKIP_1) | instid1(SALU_CYCLE_1)
	v_cmp_ne_u32_e32 vcc_lo, 0x7c000000, v2
                                        ; implicit-def: $vgpr2
	s_and_saveexec_b32 s25, vcc_lo
	s_xor_b32 s25, exec_lo, s25
	s_cbranch_execz .LBB6_6463
; %bb.6460:                             ;   in Loop: Header=BB6_4897 Depth=2
	v_bfe_u32 v2, v23, 26, 5
	s_mov_b32 s26, exec_lo
	s_delay_alu instid0(VALU_DEP_1)
	v_cmpx_eq_u32_e32 0, v2
; %bb.6461:                             ;   in Loop: Header=BB6_4897 Depth=2
	v_clz_i32_u32_e32 v2, v3
	s_delay_alu instid0(VALU_DEP_1) | instskip(NEXT) | instid1(VALU_DEP_1)
	v_min_u32_e32 v2, 32, v2
	v_subrev_nc_u32_e32 v3, 29, v2
	v_sub_nc_u32_e32 v2, 30, v2
	s_delay_alu instid0(VALU_DEP_2) | instskip(NEXT) | instid1(VALU_DEP_1)
	v_lshlrev_b64_e32 v[86:87], v3, v[0:1]
	v_and_b32_e32 v3, 3, v86
; %bb.6462:                             ;   in Loop: Header=BB6_4897 Depth=2
	s_or_b32 exec_lo, exec_lo, s26
	v_and_b32_e32 v0, 0x80000000, v23
	s_delay_alu instid0(VALU_DEP_1) | instskip(NEXT) | instid1(VALU_DEP_1)
	v_lshl_add_u32 v0, v2, 23, v0
	v_lshl_or_b32 v0, v3, 21, v0
                                        ; implicit-def: $vgpr3
	s_delay_alu instid0(VALU_DEP_1)
	v_add_nc_u32_e32 v2, 0x38000000, v0
.LBB6_6463:                             ;   in Loop: Header=BB6_4897 Depth=2
	s_and_not1_saveexec_b32 s25, s25
; %bb.6464:                             ;   in Loop: Header=BB6_4897 Depth=2
	v_cmp_lt_i64_e32 vcc_lo, -1, v[22:23]
	v_cndmask_b32_e32 v0, 0xff800000, v105, vcc_lo
	v_cmp_eq_u32_e32 vcc_lo, 0, v3
	s_delay_alu instid0(VALU_DEP_2)
	v_cndmask_b32_e32 v2, 0x7f800001, v0, vcc_lo
; %bb.6465:                             ;   in Loop: Header=BB6_4897 Depth=2
	s_or_b32 exec_lo, exec_lo, s25
.LBB6_6466:                             ;   in Loop: Header=BB6_4897 Depth=2
	s_delay_alu instid0(SALU_CYCLE_1)
	s_or_b32 exec_lo, exec_lo, s24
.LBB6_6467:                             ;   in Loop: Header=BB6_4897 Depth=2
	s_delay_alu instid0(SALU_CYCLE_1) | instskip(NEXT) | instid1(SALU_CYCLE_1)
	s_or_b32 exec_lo, exec_lo, s7
	s_mov_b32 s7, exec_lo
	v_cmpx_lt_u64_e64 s[12:13], v[18:19]
	s_cbranch_execz .LBB6_6477
; %bb.6468:                             ;   in Loop: Header=BB6_4897 Depth=2
	v_lshrrev_b32_e32 v0, 24, v19
	v_bfrev_b32_e32 v1, 1
	s_mov_b32 s24, exec_lo
	s_delay_alu instid0(VALU_DEP_2)
	v_cmpx_ne_u32_e32 0x80, v0
	s_cbranch_execz .LBB6_6476
; %bb.6469:                             ;   in Loop: Header=BB6_4897 Depth=2
	v_and_b32_e32 v1, 0x7c000000, v19
	v_bfe_u32 v3, v19, 24, 2
	s_delay_alu instid0(VALU_DEP_2) | instskip(SKIP_1) | instid1(SALU_CYCLE_1)
	v_cmp_ne_u32_e32 vcc_lo, 0x7c000000, v1
                                        ; implicit-def: $vgpr1
	s_and_saveexec_b32 s25, vcc_lo
	s_xor_b32 s25, exec_lo, s25
	s_cbranch_execz .LBB6_6473
; %bb.6470:                             ;   in Loop: Header=BB6_4897 Depth=2
	v_bfe_u32 v1, v19, 26, 5
	s_mov_b32 s26, exec_lo
	s_delay_alu instid0(VALU_DEP_1)
	v_cmpx_eq_u32_e32 0, v1
; %bb.6471:                             ;   in Loop: Header=BB6_4897 Depth=2
	v_clz_i32_u32_e32 v1, v3
	s_delay_alu instid0(VALU_DEP_1) | instskip(NEXT) | instid1(VALU_DEP_1)
	v_min_u32_e32 v3, 32, v1
	v_subrev_nc_u32_e32 v1, 29, v3
	s_delay_alu instid0(VALU_DEP_1) | instskip(NEXT) | instid1(VALU_DEP_1)
	v_lshlrev_b64_e32 v[0:1], v1, v[0:1]
	v_dual_sub_nc_u32 v1, 30, v3 :: v_dual_bitop2_b32 v3, 3, v0 bitop3:0x40
; %bb.6472:                             ;   in Loop: Header=BB6_4897 Depth=2
	s_or_b32 exec_lo, exec_lo, s26
	v_and_b32_e32 v0, 0x80000000, v19
	s_delay_alu instid0(VALU_DEP_1) | instskip(NEXT) | instid1(VALU_DEP_1)
	v_lshl_add_u32 v0, v1, 23, v0
	v_lshl_or_b32 v0, v3, 21, v0
                                        ; implicit-def: $vgpr3
	s_delay_alu instid0(VALU_DEP_1)
	v_add_nc_u32_e32 v1, 0x38000000, v0
.LBB6_6473:                             ;   in Loop: Header=BB6_4897 Depth=2
	s_and_not1_saveexec_b32 s25, s25
; %bb.6474:                             ;   in Loop: Header=BB6_4897 Depth=2
	v_cmp_lt_i64_e32 vcc_lo, -1, v[18:19]
	v_cndmask_b32_e32 v0, 0xff800000, v105, vcc_lo
	v_cmp_eq_u32_e32 vcc_lo, 0, v3
	s_delay_alu instid0(VALU_DEP_2)
	v_cndmask_b32_e32 v1, 0x7f800001, v0, vcc_lo
; %bb.6475:                             ;   in Loop: Header=BB6_4897 Depth=2
	s_or_b32 exec_lo, exec_lo, s25
.LBB6_6476:                             ;   in Loop: Header=BB6_4897 Depth=2
	s_delay_alu instid0(SALU_CYCLE_1)
	s_or_b32 exec_lo, exec_lo, s24
.LBB6_6477:                             ;   in Loop: Header=BB6_4897 Depth=2
	s_delay_alu instid0(SALU_CYCLE_1) | instskip(NEXT) | instid1(VALU_DEP_1)
	s_or_b32 exec_lo, exec_lo, s7
	v_dual_mul_f32 v0, v2, v1 :: v_dual_mov_b32 v3, v5
                                        ; implicit-def: $vgpr18
	s_mov_b32 s7, exec_lo
	s_delay_alu instid0(VALU_DEP_1) | instskip(SKIP_2) | instid1(VALU_DEP_3)
	v_and_b32_e32 v2, 0x7f800000, v0
	v_and_b32_e32 v4, 0x7fffff, v0
	v_lshrrev_b32_e32 v1, 24, v0
	v_cmpx_ne_u64_e32 0x7f800000, v[2:3]
	s_xor_b32 s24, exec_lo, s7
	s_cbranch_execz .LBB6_6491
; %bb.6478:                             ;   in Loop: Header=BB6_4897 Depth=2
	v_and_b32_e32 v2, 0x7fffffff, v0
	v_mov_b32_e32 v3, v5
	v_and_b32_e32 v19, 0x80, v1
                                        ; implicit-def: $vgpr18
	s_mov_b32 s7, exec_lo
	s_delay_alu instid0(VALU_DEP_2)
	v_cmpx_gt_u64_e32 0x47600001, v[2:3]
	s_xor_b32 s25, exec_lo, s7
	s_cbranch_execz .LBB6_6488
; %bb.6479:                             ;   in Loop: Header=BB6_4897 Depth=2
	v_mov_b32_e32 v18, 0
	s_mov_b32 s26, exec_lo
	v_cmpx_ne_u32_e32 0, v0
	s_cbranch_execz .LBB6_6487
; %bb.6480:                             ;   in Loop: Header=BB6_4897 Depth=2
	v_bfe_u32 v18, v0, 23, 8
	v_or_b32_e32 v2, 0x800000, v4
	s_mov_b32 s27, exec_lo
	s_delay_alu instid0(VALU_DEP_2) | instskip(SKIP_1) | instid1(VALU_DEP_2)
	v_dual_mov_b32 v3, v5 :: v_dual_sub_nc_u32 v0, 0x71, v18
	v_cmp_gt_u32_e32 vcc_lo, 0x72, v18
	v_cndmask_b32_e32 v0, 0, v0, vcc_lo
	v_cmp_eq_u32_e32 vcc_lo, 0, v18
	s_delay_alu instid0(VALU_DEP_2) | instskip(NEXT) | instid1(VALU_DEP_1)
	v_cndmask_b32_e64 v22, v0, 0x70, vcc_lo
	v_dual_cndmask_b32 v2, v2, v4, vcc_lo :: v_dual_add_nc_u32 v0, 21, v22
	v_add_nc_u32_e32 v23, 20, v22
	s_delay_alu instid0(VALU_DEP_2) | instskip(NEXT) | instid1(VALU_DEP_2)
	v_lshlrev_b64_e64 v[0:1], v0, -1
	v_lshlrev_b64_e64 v[86:87], v23, 1
	s_delay_alu instid0(VALU_DEP_2) | instskip(NEXT) | instid1(VALU_DEP_3)
	v_bfi_b32 v97, v1, 0, 0
	v_bfi_b32 v96, v0, 0, v2
	v_lshrrev_b64 v[0:1], v22, v[2:3]
	s_delay_alu instid0(VALU_DEP_1) | instskip(NEXT) | instid1(VALU_DEP_3)
	v_mov_b64_e32 v[2:3], v[0:1]
	v_cmpx_eq_u64_e64 v[96:97], v[86:87]
; %bb.6481:                             ;   in Loop: Header=BB6_4897 Depth=2
	v_bfe_u32 v2, v0, 21, 1
	v_mov_b32_e32 v3, v5
	s_delay_alu instid0(VALU_DEP_1) | instskip(NEXT) | instid1(VALU_DEP_1)
	v_add_nc_u64_e32 v[2:3], v[0:1], v[2:3]
	v_add_nc_u64_e32 v[2:3], -1, v[2:3]
; %bb.6482:                             ;   in Loop: Header=BB6_4897 Depth=2
	s_or_b32 exec_lo, exec_lo, s27
	v_add_nc_u32_e32 v1, 0xffffff81, v18
	v_lshrrev_b32_e32 v3, 23, v0
	s_mov_b32 s7, exec_lo
	s_delay_alu instid0(VALU_DEP_2) | instskip(NEXT) | instid1(VALU_DEP_1)
	v_cndmask_b32_e64 v1, v1, 0xffffff82, vcc_lo
	v_add3_u32 v3, v22, v1, v3
	v_and_b32_e32 v1, 0x1fffff, v2
                                        ; implicit-def: $vgpr2
	s_delay_alu instid0(VALU_DEP_1) | instskip(NEXT) | instid1(VALU_DEP_1)
	v_dual_add_nc_u32 v18, 14, v3 :: v_dual_add_nc_u32 v4, v1, v0
                                        ; implicit-def: $vgpr0_vgpr1
	v_cmpx_ne_u32_e32 0, v18
	s_xor_b32 s7, exec_lo, s7
; %bb.6483:                             ;   in Loop: Header=BB6_4897 Depth=2
	s_delay_alu instid0(VALU_DEP_2) | instskip(SKIP_1) | instid1(VALU_DEP_1)
	v_cmp_lt_u64_e32 vcc_lo, 0xffffff, v[4:5]
	v_add_nc_u32_e32 v0, 15, v3
	v_cndmask_b32_e32 v2, v18, v0, vcc_lo
	v_cndmask_b32_e64 v0, 0, 1, vcc_lo
	s_delay_alu instid0(VALU_DEP_1)
	v_lshrrev_b64 v[0:1], v0, v[4:5]
; %bb.6484:                             ;   in Loop: Header=BB6_4897 Depth=2
	s_and_not1_saveexec_b32 s7, s7
; %bb.6485:                             ;   in Loop: Header=BB6_4897 Depth=2
	v_mov_b64_e32 v[0:1], v[4:5]
	v_bfe_u32 v2, v4, 23, 1
; %bb.6486:                             ;   in Loop: Header=BB6_4897 Depth=2
	s_or_b32 exec_lo, exec_lo, s7
	s_delay_alu instid0(VALU_DEP_2) | instskip(NEXT) | instid1(VALU_DEP_2)
	v_lshrrev_b64 v[0:1], 21, v[0:1]
	v_cmp_gt_i32_e32 vcc_lo, 32, v2
	v_min_i32_e32 v3, 31, v2
	v_cmp_eq_u32_e64 s7, 0, v2
	s_delay_alu instid0(VALU_DEP_2) | instskip(SKIP_1) | instid1(VALU_DEP_2)
	v_dual_cndmask_b32 v1, 0, v1, vcc_lo :: v_dual_lshlrev_b32 v3, 2, v3
	v_cndmask_b32_e32 v0, 3, v0, vcc_lo
	v_and_b32_e32 v3, 0xfc, v3
	s_delay_alu instid0(VALU_DEP_2) | instskip(NEXT) | instid1(VALU_DEP_2)
	v_cmp_eq_u64_e32 vcc_lo, 0, v[0:1]
	v_and_or_b32 v0, v0, 3, v3
	s_and_b32 s7, s7, vcc_lo
	s_delay_alu instid0(VALU_DEP_1) | instid1(SALU_CYCLE_1)
	v_cndmask_b32_e64 v0, v0, 0, s7
	s_delay_alu instid0(VALU_DEP_1)
	v_or_b32_e32 v18, v0, v19
.LBB6_6487:                             ;   in Loop: Header=BB6_4897 Depth=2
	s_or_b32 exec_lo, exec_lo, s26
                                        ; implicit-def: $vgpr19
.LBB6_6488:                             ;   in Loop: Header=BB6_4897 Depth=2
	s_and_not1_saveexec_b32 s7, s25
; %bb.6489:                             ;   in Loop: Header=BB6_4897 Depth=2
	v_or_b32_e32 v18, 0x7b, v19
; %bb.6490:                             ;   in Loop: Header=BB6_4897 Depth=2
	s_or_b32 exec_lo, exec_lo, s7
                                        ; implicit-def: $vgpr0
                                        ; implicit-def: $vgpr1
.LBB6_6491:                             ;   in Loop: Header=BB6_4897 Depth=2
	s_and_not1_saveexec_b32 s7, s24
	s_cbranch_execz .LBB6_6497
; %bb.6492:                             ;   in Loop: Header=BB6_4897 Depth=2
	s_mov_b32 s24, exec_lo
                                        ; implicit-def: $vgpr18
	v_cmpx_ne_u64_e32 0, v[4:5]
	s_xor_b32 s24, exec_lo, s24
; %bb.6493:                             ;   in Loop: Header=BB6_4897 Depth=2
	v_or_b32_e32 v18, 0x7f, v1
                                        ; implicit-def: $vgpr0
; %bb.6494:                             ;   in Loop: Header=BB6_4897 Depth=2
	s_and_not1_saveexec_b32 s24, s24
; %bb.6495:                             ;   in Loop: Header=BB6_4897 Depth=2
	v_cmp_lt_i32_e32 vcc_lo, -1, v0
	v_cndmask_b32_e32 v18, 0xfc, v104, vcc_lo
; %bb.6496:                             ;   in Loop: Header=BB6_4897 Depth=2
	s_or_b32 exec_lo, exec_lo, s24
.LBB6_6497:                             ;   in Loop: Header=BB6_4897 Depth=2
	s_delay_alu instid0(SALU_CYCLE_1) | instskip(SKIP_2) | instid1(VALU_DEP_2)
	s_or_b32 exec_lo, exec_lo, s7
	v_and_b32_e32 v1, 0xff, v24
	v_mov_b32_e32 v0, 0
	v_cmp_ne_u16_e32 vcc_lo, 0, v1
	v_mov_b32_e32 v1, 0
	s_and_saveexec_b32 s7, vcc_lo
	s_cbranch_execz .LBB6_6507
; %bb.6498:                             ;   in Loop: Header=BB6_4897 Depth=2
	v_bfe_i32 v3, v24, 0, 8
	v_bfrev_b32_e32 v1, 1
	s_mov_b32 s24, exec_lo
	s_delay_alu instid0(VALU_DEP_2)
	v_cmpx_ne_u16_e32 0xff80, v3
	s_cbranch_execz .LBB6_6506
; %bb.6499:                             ;   in Loop: Header=BB6_4897 Depth=2
	v_and_b32_e32 v1, 0x7c, v24
	v_and_b32_e32 v2, 3, v24
	s_delay_alu instid0(VALU_DEP_2) | instskip(SKIP_1) | instid1(SALU_CYCLE_1)
	v_cmp_ne_u32_e32 vcc_lo, 0x7c, v1
                                        ; implicit-def: $vgpr1
	s_and_saveexec_b32 s25, vcc_lo
	s_xor_b32 s25, exec_lo, s25
	s_cbranch_execz .LBB6_6503
; %bb.6500:                             ;   in Loop: Header=BB6_4897 Depth=2
	v_bfe_u32 v1, v24, 2, 5
	s_mov_b32 s26, exec_lo
	s_delay_alu instid0(VALU_DEP_1)
	v_cmpx_eq_u32_e32 0, v1
; %bb.6501:                             ;   in Loop: Header=BB6_4897 Depth=2
	v_clz_i32_u32_e32 v1, v2
	s_delay_alu instid0(VALU_DEP_1) | instskip(NEXT) | instid1(VALU_DEP_1)
	v_min_u32_e32 v1, 32, v1
	v_subrev_nc_u32_e32 v2, 29, v1
	s_delay_alu instid0(VALU_DEP_1) | instskip(NEXT) | instid1(VALU_DEP_1)
	v_lshlrev_b64_e32 v[2:3], v2, v[24:25]
	v_dual_sub_nc_u32 v1, 30, v1 :: v_dual_bitop2_b32 v2, 3, v2 bitop3:0x40
; %bb.6502:                             ;   in Loop: Header=BB6_4897 Depth=2
	s_or_b32 exec_lo, exec_lo, s26
	v_lshlrev_b32_e32 v3, 24, v24
	s_delay_alu instid0(VALU_DEP_1) | instskip(NEXT) | instid1(VALU_DEP_1)
	v_and_b32_e32 v3, 0x80000000, v3
	v_lshl_add_u32 v1, v1, 23, v3
                                        ; implicit-def: $vgpr3
	s_delay_alu instid0(VALU_DEP_1) | instskip(NEXT) | instid1(VALU_DEP_1)
	v_lshl_or_b32 v1, v2, 21, v1
                                        ; implicit-def: $vgpr2
	v_add_nc_u32_e32 v1, 0x38000000, v1
.LBB6_6503:                             ;   in Loop: Header=BB6_4897 Depth=2
	s_and_not1_saveexec_b32 s25, s25
; %bb.6504:                             ;   in Loop: Header=BB6_4897 Depth=2
	v_cmp_lt_i16_e32 vcc_lo, -1, v3
	v_cndmask_b32_e32 v1, 0xff800000, v105, vcc_lo
	v_cmp_eq_u32_e32 vcc_lo, 0, v2
	s_delay_alu instid0(VALU_DEP_2)
	v_cndmask_b32_e32 v1, 0x7f800001, v1, vcc_lo
; %bb.6505:                             ;   in Loop: Header=BB6_4897 Depth=2
	s_or_b32 exec_lo, exec_lo, s25
.LBB6_6506:                             ;   in Loop: Header=BB6_4897 Depth=2
	s_delay_alu instid0(SALU_CYCLE_1)
	s_or_b32 exec_lo, exec_lo, s24
.LBB6_6507:                             ;   in Loop: Header=BB6_4897 Depth=2
	s_delay_alu instid0(SALU_CYCLE_1) | instskip(SKIP_2) | instid1(VALU_DEP_1)
	s_or_b32 exec_lo, exec_lo, s7
	v_and_b32_e32 v2, 0xff, v20
	s_mov_b32 s7, exec_lo
	v_cmpx_ne_u16_e32 0, v2
	s_cbranch_execz .LBB6_6517
; %bb.6508:                             ;   in Loop: Header=BB6_4897 Depth=2
	v_bfe_i32 v3, v20, 0, 8
	v_bfrev_b32_e32 v0, 1
	s_mov_b32 s24, exec_lo
	s_delay_alu instid0(VALU_DEP_2)
	v_cmpx_ne_u16_e32 0xff80, v3
	s_cbranch_execz .LBB6_6516
; %bb.6509:                             ;   in Loop: Header=BB6_4897 Depth=2
	v_and_b32_e32 v0, 0x7c, v20
	v_and_b32_e32 v2, 3, v20
	s_delay_alu instid0(VALU_DEP_2) | instskip(SKIP_1) | instid1(SALU_CYCLE_1)
	v_cmp_ne_u32_e32 vcc_lo, 0x7c, v0
                                        ; implicit-def: $vgpr0
	s_and_saveexec_b32 s25, vcc_lo
	s_xor_b32 s25, exec_lo, s25
	s_cbranch_execz .LBB6_6513
; %bb.6510:                             ;   in Loop: Header=BB6_4897 Depth=2
	v_bfe_u32 v0, v20, 2, 5
	s_mov_b32 s26, exec_lo
	s_delay_alu instid0(VALU_DEP_1)
	v_cmpx_eq_u32_e32 0, v0
; %bb.6511:                             ;   in Loop: Header=BB6_4897 Depth=2
	v_clz_i32_u32_e32 v0, v2
	s_delay_alu instid0(VALU_DEP_1) | instskip(NEXT) | instid1(VALU_DEP_1)
	v_min_u32_e32 v0, 32, v0
	v_subrev_nc_u32_e32 v2, 29, v0
	s_delay_alu instid0(VALU_DEP_1) | instskip(NEXT) | instid1(VALU_DEP_1)
	v_lshlrev_b64_e32 v[2:3], v2, v[20:21]
	v_dual_sub_nc_u32 v0, 30, v0 :: v_dual_bitop2_b32 v2, 3, v2 bitop3:0x40
; %bb.6512:                             ;   in Loop: Header=BB6_4897 Depth=2
	s_or_b32 exec_lo, exec_lo, s26
	v_lshlrev_b32_e32 v3, 24, v20
	s_delay_alu instid0(VALU_DEP_1) | instskip(NEXT) | instid1(VALU_DEP_1)
	v_and_b32_e32 v3, 0x80000000, v3
	v_lshl_add_u32 v0, v0, 23, v3
                                        ; implicit-def: $vgpr3
	s_delay_alu instid0(VALU_DEP_1) | instskip(NEXT) | instid1(VALU_DEP_1)
	v_lshl_or_b32 v0, v2, 21, v0
                                        ; implicit-def: $vgpr2
	v_add_nc_u32_e32 v0, 0x38000000, v0
.LBB6_6513:                             ;   in Loop: Header=BB6_4897 Depth=2
	s_and_not1_saveexec_b32 s25, s25
; %bb.6514:                             ;   in Loop: Header=BB6_4897 Depth=2
	v_cmp_lt_i16_e32 vcc_lo, -1, v3
	v_cndmask_b32_e32 v0, 0xff800000, v105, vcc_lo
	v_cmp_eq_u32_e32 vcc_lo, 0, v2
	s_delay_alu instid0(VALU_DEP_2)
	v_cndmask_b32_e32 v0, 0x7f800001, v0, vcc_lo
; %bb.6515:                             ;   in Loop: Header=BB6_4897 Depth=2
	s_or_b32 exec_lo, exec_lo, s25
.LBB6_6516:                             ;   in Loop: Header=BB6_4897 Depth=2
	s_delay_alu instid0(SALU_CYCLE_1)
	s_or_b32 exec_lo, exec_lo, s24
.LBB6_6517:                             ;   in Loop: Header=BB6_4897 Depth=2
	s_delay_alu instid0(SALU_CYCLE_1) | instskip(NEXT) | instid1(VALU_DEP_1)
	s_or_b32 exec_lo, exec_lo, s7
	v_mul_f32_e32 v0, v1, v0
	v_mov_b32_e32 v3, v5
                                        ; implicit-def: $vgpr19
	s_mov_b32 s7, exec_lo
	s_delay_alu instid0(VALU_DEP_2) | instskip(SKIP_2) | instid1(VALU_DEP_3)
	v_and_b32_e32 v2, 0x7f800000, v0
	v_and_b32_e32 v4, 0x7fffff, v0
	v_lshrrev_b32_e32 v1, 24, v0
	v_cmpx_ne_u64_e32 0x7f800000, v[2:3]
	s_xor_b32 s24, exec_lo, s7
	s_cbranch_execz .LBB6_6531
; %bb.6518:                             ;   in Loop: Header=BB6_4897 Depth=2
	v_and_b32_e32 v2, 0x7fffffff, v0
	v_mov_b32_e32 v3, v5
	v_and_b32_e32 v22, 0x80, v1
                                        ; implicit-def: $vgpr19
	s_mov_b32 s7, exec_lo
	s_delay_alu instid0(VALU_DEP_2)
	v_cmpx_gt_u64_e32 0x47600001, v[2:3]
	s_xor_b32 s25, exec_lo, s7
	s_cbranch_execz .LBB6_6528
; %bb.6519:                             ;   in Loop: Header=BB6_4897 Depth=2
	v_mov_b32_e32 v19, 0
	s_mov_b32 s26, exec_lo
	v_cmpx_ne_u32_e32 0, v0
	s_cbranch_execz .LBB6_6527
; %bb.6520:                             ;   in Loop: Header=BB6_4897 Depth=2
	v_bfe_u32 v19, v0, 23, 8
	v_or_b32_e32 v2, 0x800000, v4
	s_mov_b32 s27, exec_lo
	s_delay_alu instid0(VALU_DEP_2) | instskip(SKIP_1) | instid1(VALU_DEP_2)
	v_dual_mov_b32 v3, v5 :: v_dual_sub_nc_u32 v0, 0x71, v19
	v_cmp_gt_u32_e32 vcc_lo, 0x72, v19
	v_cndmask_b32_e32 v0, 0, v0, vcc_lo
	v_cmp_eq_u32_e32 vcc_lo, 0, v19
	s_delay_alu instid0(VALU_DEP_2) | instskip(NEXT) | instid1(VALU_DEP_1)
	v_cndmask_b32_e64 v23, v0, 0x70, vcc_lo
	v_dual_cndmask_b32 v2, v2, v4, vcc_lo :: v_dual_add_nc_u32 v0, 21, v23
	v_add_nc_u32_e32 v86, 20, v23
	s_delay_alu instid0(VALU_DEP_2) | instskip(NEXT) | instid1(VALU_DEP_2)
	v_lshlrev_b64_e64 v[0:1], v0, -1
	v_lshlrev_b64_e64 v[86:87], v86, 1
	s_delay_alu instid0(VALU_DEP_2) | instskip(NEXT) | instid1(VALU_DEP_3)
	v_bfi_b32 v97, v1, 0, 0
	v_bfi_b32 v96, v0, 0, v2
	v_lshrrev_b64 v[0:1], v23, v[2:3]
	s_delay_alu instid0(VALU_DEP_1) | instskip(NEXT) | instid1(VALU_DEP_3)
	v_mov_b64_e32 v[2:3], v[0:1]
	v_cmpx_eq_u64_e64 v[96:97], v[86:87]
; %bb.6521:                             ;   in Loop: Header=BB6_4897 Depth=2
	v_bfe_u32 v2, v0, 21, 1
	v_mov_b32_e32 v3, v5
	s_delay_alu instid0(VALU_DEP_1) | instskip(NEXT) | instid1(VALU_DEP_1)
	v_add_nc_u64_e32 v[2:3], v[0:1], v[2:3]
	v_add_nc_u64_e32 v[2:3], -1, v[2:3]
; %bb.6522:                             ;   in Loop: Header=BB6_4897 Depth=2
	s_or_b32 exec_lo, exec_lo, s27
	v_add_nc_u32_e32 v1, 0xffffff81, v19
	v_lshrrev_b32_e32 v3, 23, v0
	s_mov_b32 s7, exec_lo
	s_delay_alu instid0(VALU_DEP_2) | instskip(NEXT) | instid1(VALU_DEP_1)
	v_cndmask_b32_e64 v1, v1, 0xffffff82, vcc_lo
	v_add3_u32 v3, v23, v1, v3
	v_and_b32_e32 v1, 0x1fffff, v2
                                        ; implicit-def: $vgpr2
	s_delay_alu instid0(VALU_DEP_1) | instskip(NEXT) | instid1(VALU_DEP_1)
	v_dual_add_nc_u32 v19, 14, v3 :: v_dual_add_nc_u32 v4, v1, v0
                                        ; implicit-def: $vgpr0_vgpr1
	v_cmpx_ne_u32_e32 0, v19
	s_xor_b32 s7, exec_lo, s7
; %bb.6523:                             ;   in Loop: Header=BB6_4897 Depth=2
	s_delay_alu instid0(VALU_DEP_2) | instskip(SKIP_1) | instid1(VALU_DEP_1)
	v_cmp_lt_u64_e32 vcc_lo, 0xffffff, v[4:5]
	v_add_nc_u32_e32 v0, 15, v3
	v_cndmask_b32_e32 v2, v19, v0, vcc_lo
	v_cndmask_b32_e64 v0, 0, 1, vcc_lo
	s_delay_alu instid0(VALU_DEP_1)
	v_lshrrev_b64 v[0:1], v0, v[4:5]
; %bb.6524:                             ;   in Loop: Header=BB6_4897 Depth=2
	s_and_not1_saveexec_b32 s7, s7
; %bb.6525:                             ;   in Loop: Header=BB6_4897 Depth=2
	v_mov_b64_e32 v[0:1], v[4:5]
	v_bfe_u32 v2, v4, 23, 1
; %bb.6526:                             ;   in Loop: Header=BB6_4897 Depth=2
	s_or_b32 exec_lo, exec_lo, s7
	s_delay_alu instid0(VALU_DEP_2) | instskip(NEXT) | instid1(VALU_DEP_2)
	v_lshrrev_b64 v[0:1], 21, v[0:1]
	v_cmp_gt_i32_e32 vcc_lo, 32, v2
	v_min_i32_e32 v3, 31, v2
	v_cmp_eq_u32_e64 s7, 0, v2
	s_delay_alu instid0(VALU_DEP_2) | instskip(SKIP_1) | instid1(VALU_DEP_2)
	v_dual_cndmask_b32 v1, 0, v1, vcc_lo :: v_dual_lshlrev_b32 v3, 2, v3
	v_cndmask_b32_e32 v0, 3, v0, vcc_lo
	v_and_b32_e32 v3, 0xfc, v3
	s_delay_alu instid0(VALU_DEP_2) | instskip(NEXT) | instid1(VALU_DEP_2)
	v_cmp_eq_u64_e32 vcc_lo, 0, v[0:1]
	v_and_or_b32 v0, v0, 3, v3
	s_and_b32 s7, s7, vcc_lo
	s_delay_alu instid0(VALU_DEP_1) | instid1(SALU_CYCLE_1)
	v_cndmask_b32_e64 v0, v0, 0, s7
	s_delay_alu instid0(VALU_DEP_1)
	v_or_b32_e32 v19, v0, v22
.LBB6_6527:                             ;   in Loop: Header=BB6_4897 Depth=2
	s_or_b32 exec_lo, exec_lo, s26
                                        ; implicit-def: $vgpr22
.LBB6_6528:                             ;   in Loop: Header=BB6_4897 Depth=2
	s_and_not1_saveexec_b32 s7, s25
; %bb.6529:                             ;   in Loop: Header=BB6_4897 Depth=2
	v_or_b32_e32 v19, 0x7b, v22
; %bb.6530:                             ;   in Loop: Header=BB6_4897 Depth=2
	s_or_b32 exec_lo, exec_lo, s7
                                        ; implicit-def: $vgpr0
                                        ; implicit-def: $vgpr1
.LBB6_6531:                             ;   in Loop: Header=BB6_4897 Depth=2
	s_and_not1_saveexec_b32 s7, s24
	s_cbranch_execz .LBB6_6537
; %bb.6532:                             ;   in Loop: Header=BB6_4897 Depth=2
	s_mov_b32 s24, exec_lo
                                        ; implicit-def: $vgpr19
	v_cmpx_ne_u64_e32 0, v[4:5]
	s_xor_b32 s24, exec_lo, s24
; %bb.6533:                             ;   in Loop: Header=BB6_4897 Depth=2
	v_or_b32_e32 v19, 0x7f, v1
                                        ; implicit-def: $vgpr0
; %bb.6534:                             ;   in Loop: Header=BB6_4897 Depth=2
	s_and_not1_saveexec_b32 s24, s24
; %bb.6535:                             ;   in Loop: Header=BB6_4897 Depth=2
	v_cmp_lt_i32_e32 vcc_lo, -1, v0
	v_cndmask_b32_e32 v19, 0xfc, v104, vcc_lo
; %bb.6536:                             ;   in Loop: Header=BB6_4897 Depth=2
	s_or_b32 exec_lo, exec_lo, s24
.LBB6_6537:                             ;   in Loop: Header=BB6_4897 Depth=2
	s_delay_alu instid0(SALU_CYCLE_1) | instskip(SKIP_3) | instid1(VALU_DEP_2)
	s_or_b32 exec_lo, exec_lo, s7
	v_lshrrev_b16 v0, 8, v24
	v_dual_mov_b32 v2, 0 :: v_dual_mov_b32 v3, 0
	s_mov_b32 s7, exec_lo
	v_cmpx_ne_u16_e32 0, v0
	s_cbranch_execz .LBB6_6547
; %bb.6538:                             ;   in Loop: Header=BB6_4897 Depth=2
	v_bfrev_b32_e32 v3, 1
	s_mov_b32 s24, exec_lo
	v_cmpx_ne_u16_e32 0x80, v0
	s_cbranch_execz .LBB6_6546
; %bb.6539:                             ;   in Loop: Header=BB6_4897 Depth=2
	v_and_b32_e32 v4, 0xffff, v0
	s_delay_alu instid0(VALU_DEP_1) | instskip(SKIP_1) | instid1(VALU_DEP_2)
	v_and_b32_e32 v3, 0x7c, v4
	v_and_b32_e32 v1, 3, v4
	v_cmp_ne_u32_e32 vcc_lo, 0x7c, v3
                                        ; implicit-def: $vgpr3
	s_and_saveexec_b32 s25, vcc_lo
	s_delay_alu instid0(SALU_CYCLE_1)
	s_xor_b32 s25, exec_lo, s25
	s_cbranch_execz .LBB6_6543
; %bb.6540:                             ;   in Loop: Header=BB6_4897 Depth=2
	v_bfe_u32 v3, v4, 2, 5
	s_mov_b32 s26, exec_lo
	s_delay_alu instid0(VALU_DEP_1)
	v_cmpx_eq_u32_e32 0, v3
	s_cbranch_execz .LBB6_6542
; %bb.6541:                             ;   in Loop: Header=BB6_4897 Depth=2
	v_clz_i32_u32_e32 v1, v1
	s_delay_alu instid0(VALU_DEP_1) | instskip(SKIP_1) | instid1(VALU_DEP_2)
	v_min_u32_e32 v3, 32, v1
	v_mov_b32_e32 v1, v5
	v_subrev_nc_u32_e32 v4, 29, v3
	v_sub_nc_u32_e32 v3, 30, v3
	s_delay_alu instid0(VALU_DEP_2) | instskip(NEXT) | instid1(VALU_DEP_1)
	v_lshlrev_b64_e32 v[0:1], v4, v[0:1]
	v_and_b32_e32 v1, 3, v0
.LBB6_6542:                             ;   in Loop: Header=BB6_4897 Depth=2
	s_or_b32 exec_lo, exec_lo, s26
	v_lshlrev_b32_e32 v0, 16, v24
	s_delay_alu instid0(VALU_DEP_1) | instskip(NEXT) | instid1(VALU_DEP_1)
	v_and_b32_e32 v0, 0x80000000, v0
	v_lshl_add_u32 v0, v3, 23, v0
	s_delay_alu instid0(VALU_DEP_1) | instskip(NEXT) | instid1(VALU_DEP_1)
	v_lshl_or_b32 v0, v1, 21, v0
                                        ; implicit-def: $vgpr1
	v_add_nc_u32_e32 v3, 0x38000000, v0
.LBB6_6543:                             ;   in Loop: Header=BB6_4897 Depth=2
	s_and_not1_saveexec_b32 s25, s25
; %bb.6544:                             ;   in Loop: Header=BB6_4897 Depth=2
	v_cmp_lt_i16_e32 vcc_lo, -1, v24
	v_cndmask_b32_e32 v0, 0xff800000, v105, vcc_lo
	v_cmp_eq_u32_e32 vcc_lo, 0, v1
	s_delay_alu instid0(VALU_DEP_2)
	v_cndmask_b32_e32 v3, 0x7f800001, v0, vcc_lo
; %bb.6545:                             ;   in Loop: Header=BB6_4897 Depth=2
	s_or_b32 exec_lo, exec_lo, s25
.LBB6_6546:                             ;   in Loop: Header=BB6_4897 Depth=2
	s_delay_alu instid0(SALU_CYCLE_1)
	s_or_b32 exec_lo, exec_lo, s24
.LBB6_6547:                             ;   in Loop: Header=BB6_4897 Depth=2
	s_delay_alu instid0(SALU_CYCLE_1) | instskip(SKIP_2) | instid1(VALU_DEP_1)
	s_or_b32 exec_lo, exec_lo, s7
	v_lshrrev_b16 v0, 8, v20
	s_mov_b32 s7, exec_lo
	v_cmpx_ne_u16_e32 0, v0
	s_cbranch_execz .LBB6_6557
; %bb.6548:                             ;   in Loop: Header=BB6_4897 Depth=2
	v_bfrev_b32_e32 v2, 1
	s_mov_b32 s24, exec_lo
	v_cmpx_ne_u16_e32 0x80, v0
	s_cbranch_execz .LBB6_6556
; %bb.6549:                             ;   in Loop: Header=BB6_4897 Depth=2
	v_and_b32_e32 v4, 0xffff, v0
	s_delay_alu instid0(VALU_DEP_1) | instskip(SKIP_1) | instid1(VALU_DEP_2)
	v_and_b32_e32 v2, 0x7c, v4
	v_and_b32_e32 v1, 3, v4
	v_cmp_ne_u32_e32 vcc_lo, 0x7c, v2
                                        ; implicit-def: $vgpr2
	s_and_saveexec_b32 s25, vcc_lo
	s_delay_alu instid0(SALU_CYCLE_1)
	s_xor_b32 s25, exec_lo, s25
	s_cbranch_execz .LBB6_6553
; %bb.6550:                             ;   in Loop: Header=BB6_4897 Depth=2
	v_bfe_u32 v2, v4, 2, 5
	s_mov_b32 s26, exec_lo
	s_delay_alu instid0(VALU_DEP_1)
	v_cmpx_eq_u32_e32 0, v2
	s_cbranch_execz .LBB6_6552
; %bb.6551:                             ;   in Loop: Header=BB6_4897 Depth=2
	v_clz_i32_u32_e32 v1, v1
	s_delay_alu instid0(VALU_DEP_1) | instskip(SKIP_1) | instid1(VALU_DEP_2)
	v_min_u32_e32 v2, 32, v1
	v_mov_b32_e32 v1, v5
	v_subrev_nc_u32_e32 v4, 29, v2
	v_sub_nc_u32_e32 v2, 30, v2
	s_delay_alu instid0(VALU_DEP_2) | instskip(NEXT) | instid1(VALU_DEP_1)
	v_lshlrev_b64_e32 v[0:1], v4, v[0:1]
	v_and_b32_e32 v1, 3, v0
.LBB6_6552:                             ;   in Loop: Header=BB6_4897 Depth=2
	s_or_b32 exec_lo, exec_lo, s26
	v_lshlrev_b32_e32 v0, 16, v20
	s_delay_alu instid0(VALU_DEP_1) | instskip(NEXT) | instid1(VALU_DEP_1)
	v_and_b32_e32 v0, 0x80000000, v0
	v_lshl_add_u32 v0, v2, 23, v0
	s_delay_alu instid0(VALU_DEP_1) | instskip(NEXT) | instid1(VALU_DEP_1)
	v_lshl_or_b32 v0, v1, 21, v0
                                        ; implicit-def: $vgpr1
	v_add_nc_u32_e32 v2, 0x38000000, v0
.LBB6_6553:                             ;   in Loop: Header=BB6_4897 Depth=2
	s_and_not1_saveexec_b32 s25, s25
; %bb.6554:                             ;   in Loop: Header=BB6_4897 Depth=2
	v_cmp_lt_i16_e32 vcc_lo, -1, v20
	v_cndmask_b32_e32 v0, 0xff800000, v105, vcc_lo
	v_cmp_eq_u32_e32 vcc_lo, 0, v1
	s_delay_alu instid0(VALU_DEP_2)
	v_cndmask_b32_e32 v2, 0x7f800001, v0, vcc_lo
; %bb.6555:                             ;   in Loop: Header=BB6_4897 Depth=2
	s_or_b32 exec_lo, exec_lo, s25
.LBB6_6556:                             ;   in Loop: Header=BB6_4897 Depth=2
	s_delay_alu instid0(SALU_CYCLE_1)
	s_or_b32 exec_lo, exec_lo, s24
.LBB6_6557:                             ;   in Loop: Header=BB6_4897 Depth=2
	s_delay_alu instid0(SALU_CYCLE_1) | instskip(NEXT) | instid1(VALU_DEP_1)
	s_or_b32 exec_lo, exec_lo, s7
	v_dual_mul_f32 v0, v3, v2 :: v_dual_mov_b32 v3, v5
                                        ; implicit-def: $vgpr22
	s_mov_b32 s7, exec_lo
	s_delay_alu instid0(VALU_DEP_1) | instskip(SKIP_2) | instid1(VALU_DEP_3)
	v_and_b32_e32 v2, 0x7f800000, v0
	v_and_b32_e32 v4, 0x7fffff, v0
	v_lshrrev_b32_e32 v1, 24, v0
	v_cmpx_ne_u64_e32 0x7f800000, v[2:3]
	s_xor_b32 s24, exec_lo, s7
	s_cbranch_execz .LBB6_6571
; %bb.6558:                             ;   in Loop: Header=BB6_4897 Depth=2
	v_and_b32_e32 v2, 0x7fffffff, v0
	v_mov_b32_e32 v3, v5
	v_and_b32_e32 v23, 0x80, v1
                                        ; implicit-def: $vgpr22
	s_mov_b32 s7, exec_lo
	s_delay_alu instid0(VALU_DEP_2)
	v_cmpx_gt_u64_e32 0x47600001, v[2:3]
	s_xor_b32 s25, exec_lo, s7
	s_cbranch_execz .LBB6_6568
; %bb.6559:                             ;   in Loop: Header=BB6_4897 Depth=2
	v_mov_b32_e32 v22, 0
	s_mov_b32 s26, exec_lo
	v_cmpx_ne_u32_e32 0, v0
	s_cbranch_execz .LBB6_6567
; %bb.6560:                             ;   in Loop: Header=BB6_4897 Depth=2
	v_bfe_u32 v22, v0, 23, 8
	v_or_b32_e32 v2, 0x800000, v4
	s_mov_b32 s27, exec_lo
	s_delay_alu instid0(VALU_DEP_2) | instskip(SKIP_1) | instid1(VALU_DEP_2)
	v_dual_mov_b32 v3, v5 :: v_dual_sub_nc_u32 v0, 0x71, v22
	v_cmp_gt_u32_e32 vcc_lo, 0x72, v22
	v_cndmask_b32_e32 v0, 0, v0, vcc_lo
	v_cmp_eq_u32_e32 vcc_lo, 0, v22
	s_delay_alu instid0(VALU_DEP_2) | instskip(NEXT) | instid1(VALU_DEP_1)
	v_cndmask_b32_e64 v86, v0, 0x70, vcc_lo
	v_dual_cndmask_b32 v2, v2, v4, vcc_lo :: v_dual_add_nc_u32 v0, 21, v86
	v_add_nc_u32_e32 v87, 20, v86
	s_delay_alu instid0(VALU_DEP_2) | instskip(NEXT) | instid1(VALU_DEP_2)
	v_lshlrev_b64_e64 v[0:1], v0, -1
	v_lshlrev_b64_e64 v[96:97], v87, 1
	s_delay_alu instid0(VALU_DEP_2) | instskip(NEXT) | instid1(VALU_DEP_3)
	v_bfi_b32 v99, v1, 0, 0
	v_bfi_b32 v98, v0, 0, v2
	v_lshrrev_b64 v[0:1], v86, v[2:3]
	s_delay_alu instid0(VALU_DEP_1) | instskip(NEXT) | instid1(VALU_DEP_3)
	v_mov_b64_e32 v[2:3], v[0:1]
	v_cmpx_eq_u64_e64 v[98:99], v[96:97]
; %bb.6561:                             ;   in Loop: Header=BB6_4897 Depth=2
	v_bfe_u32 v2, v0, 21, 1
	v_mov_b32_e32 v3, v5
	s_delay_alu instid0(VALU_DEP_1) | instskip(NEXT) | instid1(VALU_DEP_1)
	v_add_nc_u64_e32 v[2:3], v[0:1], v[2:3]
	v_add_nc_u64_e32 v[2:3], -1, v[2:3]
; %bb.6562:                             ;   in Loop: Header=BB6_4897 Depth=2
	s_or_b32 exec_lo, exec_lo, s27
	v_add_nc_u32_e32 v1, 0xffffff81, v22
	v_lshrrev_b32_e32 v3, 23, v0
	s_mov_b32 s7, exec_lo
	s_delay_alu instid0(VALU_DEP_2) | instskip(NEXT) | instid1(VALU_DEP_1)
	v_cndmask_b32_e64 v1, v1, 0xffffff82, vcc_lo
	v_add3_u32 v3, v86, v1, v3
	v_and_b32_e32 v1, 0x1fffff, v2
                                        ; implicit-def: $vgpr2
	s_delay_alu instid0(VALU_DEP_1) | instskip(NEXT) | instid1(VALU_DEP_1)
	v_dual_add_nc_u32 v22, 14, v3 :: v_dual_add_nc_u32 v4, v1, v0
                                        ; implicit-def: $vgpr0_vgpr1
	v_cmpx_ne_u32_e32 0, v22
	s_xor_b32 s7, exec_lo, s7
; %bb.6563:                             ;   in Loop: Header=BB6_4897 Depth=2
	s_delay_alu instid0(VALU_DEP_2) | instskip(SKIP_1) | instid1(VALU_DEP_1)
	v_cmp_lt_u64_e32 vcc_lo, 0xffffff, v[4:5]
	v_add_nc_u32_e32 v0, 15, v3
	v_cndmask_b32_e32 v2, v22, v0, vcc_lo
	v_cndmask_b32_e64 v0, 0, 1, vcc_lo
	s_delay_alu instid0(VALU_DEP_1)
	v_lshrrev_b64 v[0:1], v0, v[4:5]
; %bb.6564:                             ;   in Loop: Header=BB6_4897 Depth=2
	s_and_not1_saveexec_b32 s7, s7
; %bb.6565:                             ;   in Loop: Header=BB6_4897 Depth=2
	v_mov_b64_e32 v[0:1], v[4:5]
	v_bfe_u32 v2, v4, 23, 1
; %bb.6566:                             ;   in Loop: Header=BB6_4897 Depth=2
	s_or_b32 exec_lo, exec_lo, s7
	s_delay_alu instid0(VALU_DEP_2) | instskip(NEXT) | instid1(VALU_DEP_2)
	v_lshrrev_b64 v[0:1], 21, v[0:1]
	v_cmp_gt_i32_e32 vcc_lo, 32, v2
	v_min_i32_e32 v3, 31, v2
	v_cmp_eq_u32_e64 s7, 0, v2
	s_delay_alu instid0(VALU_DEP_2) | instskip(SKIP_1) | instid1(VALU_DEP_2)
	v_dual_cndmask_b32 v1, 0, v1, vcc_lo :: v_dual_lshlrev_b32 v3, 2, v3
	v_cndmask_b32_e32 v0, 3, v0, vcc_lo
	v_and_b32_e32 v3, 0xfc, v3
	s_delay_alu instid0(VALU_DEP_2) | instskip(NEXT) | instid1(VALU_DEP_2)
	v_cmp_eq_u64_e32 vcc_lo, 0, v[0:1]
	v_and_or_b32 v0, v0, 3, v3
	s_and_b32 s7, s7, vcc_lo
	s_delay_alu instid0(VALU_DEP_1) | instid1(SALU_CYCLE_1)
	v_cndmask_b32_e64 v0, v0, 0, s7
	s_delay_alu instid0(VALU_DEP_1)
	v_or_b32_e32 v22, v0, v23
.LBB6_6567:                             ;   in Loop: Header=BB6_4897 Depth=2
	s_or_b32 exec_lo, exec_lo, s26
                                        ; implicit-def: $vgpr23
.LBB6_6568:                             ;   in Loop: Header=BB6_4897 Depth=2
	s_and_not1_saveexec_b32 s7, s25
; %bb.6569:                             ;   in Loop: Header=BB6_4897 Depth=2
	v_or_b32_e32 v22, 0x7b, v23
; %bb.6570:                             ;   in Loop: Header=BB6_4897 Depth=2
	s_or_b32 exec_lo, exec_lo, s7
                                        ; implicit-def: $vgpr0
                                        ; implicit-def: $vgpr1
.LBB6_6571:                             ;   in Loop: Header=BB6_4897 Depth=2
	s_and_not1_saveexec_b32 s7, s24
	s_cbranch_execz .LBB6_6577
; %bb.6572:                             ;   in Loop: Header=BB6_4897 Depth=2
	s_mov_b32 s24, exec_lo
                                        ; implicit-def: $vgpr22
	v_cmpx_ne_u64_e32 0, v[4:5]
	s_xor_b32 s24, exec_lo, s24
; %bb.6573:                             ;   in Loop: Header=BB6_4897 Depth=2
	v_or_b32_e32 v22, 0x7f, v1
                                        ; implicit-def: $vgpr0
; %bb.6574:                             ;   in Loop: Header=BB6_4897 Depth=2
	s_and_not1_saveexec_b32 s24, s24
; %bb.6575:                             ;   in Loop: Header=BB6_4897 Depth=2
	v_cmp_lt_i32_e32 vcc_lo, -1, v0
	v_cndmask_b32_e32 v22, 0xfc, v104, vcc_lo
; %bb.6576:                             ;   in Loop: Header=BB6_4897 Depth=2
	s_or_b32 exec_lo, exec_lo, s24
.LBB6_6577:                             ;   in Loop: Header=BB6_4897 Depth=2
	s_delay_alu instid0(SALU_CYCLE_1) | instskip(SKIP_3) | instid1(VALU_DEP_2)
	s_or_b32 exec_lo, exec_lo, s7
	v_dual_mov_b32 v1, 0 :: v_dual_lshrrev_b32 v0, 16, v24
	v_mov_b32_e32 v2, 0
	s_mov_b32 s7, exec_lo
	v_and_b32_e32 v3, 0xff, v0
	s_delay_alu instid0(VALU_DEP_1)
	v_cmpx_ne_u16_e32 0, v3
	s_cbranch_execz .LBB6_6587
; %bb.6578:                             ;   in Loop: Header=BB6_4897 Depth=2
	v_bfrev_b32_e32 v2, 1
	s_mov_b32 s24, exec_lo
	v_cmpx_ne_u16_e32 0x80, v3
	s_cbranch_execz .LBB6_6586
; %bb.6579:                             ;   in Loop: Header=BB6_4897 Depth=2
	v_and_b32_e32 v2, 0x7c0000, v24
	v_bfe_u32 v3, v24, 16, 2
	s_delay_alu instid0(VALU_DEP_2) | instskip(SKIP_1) | instid1(SALU_CYCLE_1)
	v_cmp_ne_u32_e32 vcc_lo, 0x7c0000, v2
                                        ; implicit-def: $vgpr2
	s_and_saveexec_b32 s25, vcc_lo
	s_xor_b32 s25, exec_lo, s25
	s_cbranch_execz .LBB6_6583
; %bb.6580:                             ;   in Loop: Header=BB6_4897 Depth=2
	v_bfe_u32 v2, v24, 18, 5
	s_mov_b32 s26, exec_lo
	s_delay_alu instid0(VALU_DEP_1)
	v_cmpx_eq_u32_e32 0, v2
; %bb.6581:                             ;   in Loop: Header=BB6_4897 Depth=2
	v_clz_i32_u32_e32 v2, v3
	s_delay_alu instid0(VALU_DEP_1) | instskip(NEXT) | instid1(VALU_DEP_1)
	v_min_u32_e32 v2, 32, v2
	v_subrev_nc_u32_e32 v3, 29, v2
	v_sub_nc_u32_e32 v2, 30, v2
	s_delay_alu instid0(VALU_DEP_2) | instskip(NEXT) | instid1(VALU_DEP_1)
	v_lshlrev_b64_e32 v[86:87], v3, v[0:1]
	v_and_b32_e32 v3, 3, v86
; %bb.6582:                             ;   in Loop: Header=BB6_4897 Depth=2
	s_or_b32 exec_lo, exec_lo, s26
	v_lshlrev_b32_e32 v0, 24, v0
	s_delay_alu instid0(VALU_DEP_1) | instskip(NEXT) | instid1(VALU_DEP_1)
	v_and_b32_e32 v0, 0x80000000, v0
	v_lshl_add_u32 v0, v2, 23, v0
	s_delay_alu instid0(VALU_DEP_1) | instskip(NEXT) | instid1(VALU_DEP_1)
	v_lshl_or_b32 v0, v3, 21, v0
                                        ; implicit-def: $vgpr3
	v_add_nc_u32_e32 v2, 0x38000000, v0
                                        ; implicit-def: $vgpr0
.LBB6_6583:                             ;   in Loop: Header=BB6_4897 Depth=2
	s_and_not1_saveexec_b32 s25, s25
; %bb.6584:                             ;   in Loop: Header=BB6_4897 Depth=2
	v_bfe_i32 v0, v0, 0, 8
	s_delay_alu instid0(VALU_DEP_1) | instskip(SKIP_2) | instid1(VALU_DEP_2)
	v_cmp_lt_i16_e32 vcc_lo, -1, v0
	v_cndmask_b32_e32 v0, 0xff800000, v105, vcc_lo
	v_cmp_eq_u32_e32 vcc_lo, 0, v3
	v_cndmask_b32_e32 v2, 0x7f800001, v0, vcc_lo
; %bb.6585:                             ;   in Loop: Header=BB6_4897 Depth=2
	s_or_b32 exec_lo, exec_lo, s25
.LBB6_6586:                             ;   in Loop: Header=BB6_4897 Depth=2
	s_delay_alu instid0(SALU_CYCLE_1)
	s_or_b32 exec_lo, exec_lo, s24
.LBB6_6587:                             ;   in Loop: Header=BB6_4897 Depth=2
	s_delay_alu instid0(SALU_CYCLE_1) | instskip(SKIP_2) | instid1(VALU_DEP_1)
	s_or_b32 exec_lo, exec_lo, s7
	v_lshrrev_b32_e32 v0, 16, v20
	s_mov_b32 s7, exec_lo
	v_and_b32_e32 v3, 0xff, v0
	s_delay_alu instid0(VALU_DEP_1)
	v_cmpx_ne_u16_e32 0, v3
	s_cbranch_execz .LBB6_6597
; %bb.6588:                             ;   in Loop: Header=BB6_4897 Depth=2
	v_bfrev_b32_e32 v1, 1
	s_mov_b32 s24, exec_lo
	v_cmpx_ne_u16_e32 0x80, v3
	s_cbranch_execz .LBB6_6596
; %bb.6589:                             ;   in Loop: Header=BB6_4897 Depth=2
	v_and_b32_e32 v1, 0x7c0000, v20
	v_bfe_u32 v3, v20, 16, 2
	s_delay_alu instid0(VALU_DEP_2) | instskip(SKIP_1) | instid1(SALU_CYCLE_1)
	v_cmp_ne_u32_e32 vcc_lo, 0x7c0000, v1
                                        ; implicit-def: $vgpr1
	s_and_saveexec_b32 s25, vcc_lo
	s_xor_b32 s25, exec_lo, s25
	s_cbranch_execz .LBB6_6593
; %bb.6590:                             ;   in Loop: Header=BB6_4897 Depth=2
	v_bfe_u32 v1, v20, 18, 5
	s_mov_b32 s26, exec_lo
	s_delay_alu instid0(VALU_DEP_1)
	v_cmpx_eq_u32_e32 0, v1
; %bb.6591:                             ;   in Loop: Header=BB6_4897 Depth=2
	v_clz_i32_u32_e32 v1, v3
	s_delay_alu instid0(VALU_DEP_1) | instskip(NEXT) | instid1(VALU_DEP_1)
	v_min_u32_e32 v1, 32, v1
	v_subrev_nc_u32_e32 v3, 29, v1
	s_delay_alu instid0(VALU_DEP_1) | instskip(NEXT) | instid1(VALU_DEP_1)
	v_lshlrev_b64_e32 v[86:87], v3, v[0:1]
	v_dual_sub_nc_u32 v1, 30, v1 :: v_dual_bitop2_b32 v3, 3, v86 bitop3:0x40
; %bb.6592:                             ;   in Loop: Header=BB6_4897 Depth=2
	s_or_b32 exec_lo, exec_lo, s26
	v_lshlrev_b32_e32 v0, 24, v0
	s_delay_alu instid0(VALU_DEP_1) | instskip(NEXT) | instid1(VALU_DEP_1)
	v_and_b32_e32 v0, 0x80000000, v0
	v_lshl_add_u32 v0, v1, 23, v0
	s_delay_alu instid0(VALU_DEP_1) | instskip(NEXT) | instid1(VALU_DEP_1)
	v_lshl_or_b32 v0, v3, 21, v0
                                        ; implicit-def: $vgpr3
	v_add_nc_u32_e32 v1, 0x38000000, v0
                                        ; implicit-def: $vgpr0
.LBB6_6593:                             ;   in Loop: Header=BB6_4897 Depth=2
	s_and_not1_saveexec_b32 s25, s25
; %bb.6594:                             ;   in Loop: Header=BB6_4897 Depth=2
	v_bfe_i32 v0, v0, 0, 8
	s_delay_alu instid0(VALU_DEP_1) | instskip(SKIP_2) | instid1(VALU_DEP_2)
	v_cmp_lt_i16_e32 vcc_lo, -1, v0
	v_cndmask_b32_e32 v0, 0xff800000, v105, vcc_lo
	v_cmp_eq_u32_e32 vcc_lo, 0, v3
	v_cndmask_b32_e32 v1, 0x7f800001, v0, vcc_lo
; %bb.6595:                             ;   in Loop: Header=BB6_4897 Depth=2
	s_or_b32 exec_lo, exec_lo, s25
.LBB6_6596:                             ;   in Loop: Header=BB6_4897 Depth=2
	s_delay_alu instid0(SALU_CYCLE_1)
	s_or_b32 exec_lo, exec_lo, s24
.LBB6_6597:                             ;   in Loop: Header=BB6_4897 Depth=2
	s_delay_alu instid0(SALU_CYCLE_1) | instskip(NEXT) | instid1(VALU_DEP_1)
	s_or_b32 exec_lo, exec_lo, s7
	v_dual_mul_f32 v0, v2, v1 :: v_dual_mov_b32 v3, v5
                                        ; implicit-def: $vgpr23
	s_mov_b32 s7, exec_lo
	s_delay_alu instid0(VALU_DEP_1) | instskip(SKIP_2) | instid1(VALU_DEP_3)
	v_and_b32_e32 v2, 0x7f800000, v0
	v_and_b32_e32 v4, 0x7fffff, v0
	v_lshrrev_b32_e32 v1, 24, v0
	v_cmpx_ne_u64_e32 0x7f800000, v[2:3]
	s_xor_b32 s24, exec_lo, s7
	s_cbranch_execz .LBB6_6611
; %bb.6598:                             ;   in Loop: Header=BB6_4897 Depth=2
	v_and_b32_e32 v2, 0x7fffffff, v0
	v_mov_b32_e32 v3, v5
	v_and_b32_e32 v86, 0x80, v1
                                        ; implicit-def: $vgpr23
	s_mov_b32 s7, exec_lo
	s_delay_alu instid0(VALU_DEP_2)
	v_cmpx_gt_u64_e32 0x47600001, v[2:3]
	s_xor_b32 s25, exec_lo, s7
	s_cbranch_execz .LBB6_6608
; %bb.6599:                             ;   in Loop: Header=BB6_4897 Depth=2
	v_mov_b32_e32 v23, 0
	s_mov_b32 s26, exec_lo
	v_cmpx_ne_u32_e32 0, v0
	s_cbranch_execz .LBB6_6607
; %bb.6600:                             ;   in Loop: Header=BB6_4897 Depth=2
	v_bfe_u32 v23, v0, 23, 8
	v_or_b32_e32 v2, 0x800000, v4
	s_mov_b32 s27, exec_lo
	s_delay_alu instid0(VALU_DEP_2) | instskip(SKIP_1) | instid1(VALU_DEP_2)
	v_dual_mov_b32 v3, v5 :: v_dual_sub_nc_u32 v0, 0x71, v23
	v_cmp_gt_u32_e32 vcc_lo, 0x72, v23
	v_cndmask_b32_e32 v0, 0, v0, vcc_lo
	v_cmp_eq_u32_e32 vcc_lo, 0, v23
	s_delay_alu instid0(VALU_DEP_2) | instskip(NEXT) | instid1(VALU_DEP_1)
	v_cndmask_b32_e64 v87, v0, 0x70, vcc_lo
	v_dual_cndmask_b32 v2, v2, v4, vcc_lo :: v_dual_add_nc_u32 v0, 21, v87
	v_add_nc_u32_e32 v96, 20, v87
	s_delay_alu instid0(VALU_DEP_2) | instskip(NEXT) | instid1(VALU_DEP_2)
	v_lshlrev_b64_e64 v[0:1], v0, -1
	v_lshlrev_b64_e64 v[96:97], v96, 1
	s_delay_alu instid0(VALU_DEP_2) | instskip(NEXT) | instid1(VALU_DEP_3)
	v_bfi_b32 v99, v1, 0, 0
	v_bfi_b32 v98, v0, 0, v2
	v_lshrrev_b64 v[0:1], v87, v[2:3]
	s_delay_alu instid0(VALU_DEP_1) | instskip(NEXT) | instid1(VALU_DEP_3)
	v_mov_b64_e32 v[2:3], v[0:1]
	v_cmpx_eq_u64_e64 v[98:99], v[96:97]
; %bb.6601:                             ;   in Loop: Header=BB6_4897 Depth=2
	v_bfe_u32 v2, v0, 21, 1
	v_mov_b32_e32 v3, v5
	s_delay_alu instid0(VALU_DEP_1) | instskip(NEXT) | instid1(VALU_DEP_1)
	v_add_nc_u64_e32 v[2:3], v[0:1], v[2:3]
	v_add_nc_u64_e32 v[2:3], -1, v[2:3]
; %bb.6602:                             ;   in Loop: Header=BB6_4897 Depth=2
	s_or_b32 exec_lo, exec_lo, s27
	v_add_nc_u32_e32 v1, 0xffffff81, v23
	v_lshrrev_b32_e32 v3, 23, v0
	s_mov_b32 s7, exec_lo
	s_delay_alu instid0(VALU_DEP_2) | instskip(NEXT) | instid1(VALU_DEP_1)
	v_cndmask_b32_e64 v1, v1, 0xffffff82, vcc_lo
	v_add3_u32 v3, v87, v1, v3
	v_and_b32_e32 v1, 0x1fffff, v2
                                        ; implicit-def: $vgpr2
	s_delay_alu instid0(VALU_DEP_1) | instskip(NEXT) | instid1(VALU_DEP_1)
	v_dual_add_nc_u32 v23, 14, v3 :: v_dual_add_nc_u32 v4, v1, v0
                                        ; implicit-def: $vgpr0_vgpr1
	v_cmpx_ne_u32_e32 0, v23
	s_xor_b32 s7, exec_lo, s7
; %bb.6603:                             ;   in Loop: Header=BB6_4897 Depth=2
	s_delay_alu instid0(VALU_DEP_2) | instskip(SKIP_1) | instid1(VALU_DEP_1)
	v_cmp_lt_u64_e32 vcc_lo, 0xffffff, v[4:5]
	v_add_nc_u32_e32 v0, 15, v3
	v_cndmask_b32_e32 v2, v23, v0, vcc_lo
	v_cndmask_b32_e64 v0, 0, 1, vcc_lo
	s_delay_alu instid0(VALU_DEP_1)
	v_lshrrev_b64 v[0:1], v0, v[4:5]
; %bb.6604:                             ;   in Loop: Header=BB6_4897 Depth=2
	s_and_not1_saveexec_b32 s7, s7
; %bb.6605:                             ;   in Loop: Header=BB6_4897 Depth=2
	v_mov_b64_e32 v[0:1], v[4:5]
	v_bfe_u32 v2, v4, 23, 1
; %bb.6606:                             ;   in Loop: Header=BB6_4897 Depth=2
	s_or_b32 exec_lo, exec_lo, s7
	s_delay_alu instid0(VALU_DEP_2) | instskip(NEXT) | instid1(VALU_DEP_2)
	v_lshrrev_b64 v[0:1], 21, v[0:1]
	v_cmp_gt_i32_e32 vcc_lo, 32, v2
	v_min_i32_e32 v3, 31, v2
	v_cmp_eq_u32_e64 s7, 0, v2
	s_delay_alu instid0(VALU_DEP_2) | instskip(SKIP_1) | instid1(VALU_DEP_2)
	v_dual_cndmask_b32 v1, 0, v1, vcc_lo :: v_dual_lshlrev_b32 v3, 2, v3
	v_cndmask_b32_e32 v0, 3, v0, vcc_lo
	v_and_b32_e32 v3, 0xfc, v3
	s_delay_alu instid0(VALU_DEP_2) | instskip(NEXT) | instid1(VALU_DEP_2)
	v_cmp_eq_u64_e32 vcc_lo, 0, v[0:1]
	v_and_or_b32 v0, v0, 3, v3
	s_and_b32 s7, s7, vcc_lo
	s_delay_alu instid0(VALU_DEP_1) | instid1(SALU_CYCLE_1)
	v_cndmask_b32_e64 v0, v0, 0, s7
	s_delay_alu instid0(VALU_DEP_1)
	v_or_b32_e32 v23, v0, v86
.LBB6_6607:                             ;   in Loop: Header=BB6_4897 Depth=2
	s_or_b32 exec_lo, exec_lo, s26
                                        ; implicit-def: $vgpr86
.LBB6_6608:                             ;   in Loop: Header=BB6_4897 Depth=2
	s_and_not1_saveexec_b32 s7, s25
; %bb.6609:                             ;   in Loop: Header=BB6_4897 Depth=2
	v_or_b32_e32 v23, 0x7b, v86
; %bb.6610:                             ;   in Loop: Header=BB6_4897 Depth=2
	s_or_b32 exec_lo, exec_lo, s7
                                        ; implicit-def: $vgpr0
                                        ; implicit-def: $vgpr1
.LBB6_6611:                             ;   in Loop: Header=BB6_4897 Depth=2
	s_and_not1_saveexec_b32 s7, s24
	s_cbranch_execz .LBB6_6617
; %bb.6612:                             ;   in Loop: Header=BB6_4897 Depth=2
	s_mov_b32 s24, exec_lo
                                        ; implicit-def: $vgpr23
	v_cmpx_ne_u64_e32 0, v[4:5]
	s_xor_b32 s24, exec_lo, s24
; %bb.6613:                             ;   in Loop: Header=BB6_4897 Depth=2
	v_or_b32_e32 v23, 0x7f, v1
                                        ; implicit-def: $vgpr0
; %bb.6614:                             ;   in Loop: Header=BB6_4897 Depth=2
	s_and_not1_saveexec_b32 s24, s24
; %bb.6615:                             ;   in Loop: Header=BB6_4897 Depth=2
	v_cmp_lt_i32_e32 vcc_lo, -1, v0
	v_cndmask_b32_e32 v23, 0xfc, v104, vcc_lo
; %bb.6616:                             ;   in Loop: Header=BB6_4897 Depth=2
	s_or_b32 exec_lo, exec_lo, s24
.LBB6_6617:                             ;   in Loop: Header=BB6_4897 Depth=2
	s_delay_alu instid0(SALU_CYCLE_1)
	s_or_b32 exec_lo, exec_lo, s7
	v_dual_mov_b32 v1, 0 :: v_dual_mov_b32 v2, 0
	s_mov_b32 s7, exec_lo
	v_cmpx_lt_u32_e32 0xffffff, v24
	s_cbranch_execz .LBB6_6627
; %bb.6618:                             ;   in Loop: Header=BB6_4897 Depth=2
	v_lshrrev_b32_e32 v0, 24, v24
	v_bfrev_b32_e32 v2, 1
	s_mov_b32 s24, exec_lo
	s_delay_alu instid0(VALU_DEP_2)
	v_cmpx_ne_u32_e32 0x80, v0
	s_cbranch_execz .LBB6_6626
; %bb.6619:                             ;   in Loop: Header=BB6_4897 Depth=2
	v_and_b32_e32 v2, 0x7c000000, v24
	v_bfe_u32 v3, v24, 24, 2
	s_delay_alu instid0(VALU_DEP_2) | instskip(SKIP_1) | instid1(SALU_CYCLE_1)
	v_cmp_ne_u32_e32 vcc_lo, 0x7c000000, v2
                                        ; implicit-def: $vgpr2
	s_and_saveexec_b32 s25, vcc_lo
	s_xor_b32 s25, exec_lo, s25
	s_cbranch_execz .LBB6_6623
; %bb.6620:                             ;   in Loop: Header=BB6_4897 Depth=2
	v_bfe_u32 v2, v24, 26, 5
	s_mov_b32 s26, exec_lo
	s_delay_alu instid0(VALU_DEP_1)
	v_cmpx_eq_u32_e32 0, v2
; %bb.6621:                             ;   in Loop: Header=BB6_4897 Depth=2
	v_clz_i32_u32_e32 v2, v3
	s_delay_alu instid0(VALU_DEP_1) | instskip(NEXT) | instid1(VALU_DEP_1)
	v_min_u32_e32 v2, 32, v2
	v_subrev_nc_u32_e32 v3, 29, v2
	v_sub_nc_u32_e32 v2, 30, v2
	s_delay_alu instid0(VALU_DEP_2) | instskip(NEXT) | instid1(VALU_DEP_1)
	v_lshlrev_b64_e32 v[86:87], v3, v[0:1]
	v_and_b32_e32 v3, 3, v86
; %bb.6622:                             ;   in Loop: Header=BB6_4897 Depth=2
	s_or_b32 exec_lo, exec_lo, s26
	v_and_b32_e32 v0, 0x80000000, v24
	s_delay_alu instid0(VALU_DEP_1) | instskip(NEXT) | instid1(VALU_DEP_1)
	v_lshl_add_u32 v0, v2, 23, v0
	v_lshl_or_b32 v0, v3, 21, v0
                                        ; implicit-def: $vgpr3
	s_delay_alu instid0(VALU_DEP_1)
	v_add_nc_u32_e32 v2, 0x38000000, v0
.LBB6_6623:                             ;   in Loop: Header=BB6_4897 Depth=2
	s_and_not1_saveexec_b32 s25, s25
; %bb.6624:                             ;   in Loop: Header=BB6_4897 Depth=2
	v_cmp_lt_i32_e32 vcc_lo, -1, v24
	v_cndmask_b32_e32 v0, 0xff800000, v105, vcc_lo
	v_cmp_eq_u32_e32 vcc_lo, 0, v3
	s_delay_alu instid0(VALU_DEP_2)
	v_cndmask_b32_e32 v2, 0x7f800001, v0, vcc_lo
; %bb.6625:                             ;   in Loop: Header=BB6_4897 Depth=2
	s_or_b32 exec_lo, exec_lo, s25
.LBB6_6626:                             ;   in Loop: Header=BB6_4897 Depth=2
	s_delay_alu instid0(SALU_CYCLE_1)
	s_or_b32 exec_lo, exec_lo, s24
.LBB6_6627:                             ;   in Loop: Header=BB6_4897 Depth=2
	s_delay_alu instid0(SALU_CYCLE_1) | instskip(NEXT) | instid1(SALU_CYCLE_1)
	s_or_b32 exec_lo, exec_lo, s7
	s_mov_b32 s7, exec_lo
	v_cmpx_lt_u32_e32 0xffffff, v20
	s_cbranch_execz .LBB6_6637
; %bb.6628:                             ;   in Loop: Header=BB6_4897 Depth=2
	v_lshrrev_b32_e32 v0, 24, v20
	v_bfrev_b32_e32 v1, 1
	s_mov_b32 s24, exec_lo
	s_delay_alu instid0(VALU_DEP_2)
	v_cmpx_ne_u32_e32 0x80, v0
	s_cbranch_execz .LBB6_6636
; %bb.6629:                             ;   in Loop: Header=BB6_4897 Depth=2
	v_and_b32_e32 v1, 0x7c000000, v20
	v_bfe_u32 v3, v20, 24, 2
	s_delay_alu instid0(VALU_DEP_2) | instskip(SKIP_1) | instid1(SALU_CYCLE_1)
	v_cmp_ne_u32_e32 vcc_lo, 0x7c000000, v1
                                        ; implicit-def: $vgpr1
	s_and_saveexec_b32 s25, vcc_lo
	s_xor_b32 s25, exec_lo, s25
	s_cbranch_execz .LBB6_6633
; %bb.6630:                             ;   in Loop: Header=BB6_4897 Depth=2
	v_bfe_u32 v1, v20, 26, 5
	s_mov_b32 s26, exec_lo
	s_delay_alu instid0(VALU_DEP_1)
	v_cmpx_eq_u32_e32 0, v1
; %bb.6631:                             ;   in Loop: Header=BB6_4897 Depth=2
	v_clz_i32_u32_e32 v1, v3
	s_delay_alu instid0(VALU_DEP_1) | instskip(NEXT) | instid1(VALU_DEP_1)
	v_min_u32_e32 v3, 32, v1
	v_subrev_nc_u32_e32 v1, 29, v3
	s_delay_alu instid0(VALU_DEP_1) | instskip(NEXT) | instid1(VALU_DEP_1)
	v_lshlrev_b64_e32 v[0:1], v1, v[0:1]
	v_dual_sub_nc_u32 v1, 30, v3 :: v_dual_bitop2_b32 v3, 3, v0 bitop3:0x40
; %bb.6632:                             ;   in Loop: Header=BB6_4897 Depth=2
	s_or_b32 exec_lo, exec_lo, s26
	v_and_b32_e32 v0, 0x80000000, v20
	s_delay_alu instid0(VALU_DEP_1) | instskip(NEXT) | instid1(VALU_DEP_1)
	v_lshl_add_u32 v0, v1, 23, v0
	v_lshl_or_b32 v0, v3, 21, v0
                                        ; implicit-def: $vgpr3
	s_delay_alu instid0(VALU_DEP_1)
	v_add_nc_u32_e32 v1, 0x38000000, v0
.LBB6_6633:                             ;   in Loop: Header=BB6_4897 Depth=2
	s_and_not1_saveexec_b32 s25, s25
; %bb.6634:                             ;   in Loop: Header=BB6_4897 Depth=2
	v_cmp_lt_i32_e32 vcc_lo, -1, v20
	v_cndmask_b32_e32 v0, 0xff800000, v105, vcc_lo
	v_cmp_eq_u32_e32 vcc_lo, 0, v3
	s_delay_alu instid0(VALU_DEP_2)
	v_cndmask_b32_e32 v1, 0x7f800001, v0, vcc_lo
; %bb.6635:                             ;   in Loop: Header=BB6_4897 Depth=2
	s_or_b32 exec_lo, exec_lo, s25
.LBB6_6636:                             ;   in Loop: Header=BB6_4897 Depth=2
	s_delay_alu instid0(SALU_CYCLE_1)
	s_or_b32 exec_lo, exec_lo, s24
.LBB6_6637:                             ;   in Loop: Header=BB6_4897 Depth=2
	s_delay_alu instid0(SALU_CYCLE_1) | instskip(NEXT) | instid1(VALU_DEP_1)
	s_or_b32 exec_lo, exec_lo, s7
	v_dual_mul_f32 v0, v2, v1 :: v_dual_mov_b32 v3, v5
                                        ; implicit-def: $vgpr86
	s_mov_b32 s7, exec_lo
	s_delay_alu instid0(VALU_DEP_1) | instskip(SKIP_2) | instid1(VALU_DEP_3)
	v_and_b32_e32 v2, 0x7f800000, v0
	v_and_b32_e32 v4, 0x7fffff, v0
	v_lshrrev_b32_e32 v1, 24, v0
	v_cmpx_ne_u64_e32 0x7f800000, v[2:3]
	s_xor_b32 s24, exec_lo, s7
	s_cbranch_execz .LBB6_6651
; %bb.6638:                             ;   in Loop: Header=BB6_4897 Depth=2
	v_and_b32_e32 v2, 0x7fffffff, v0
	v_mov_b32_e32 v3, v5
	v_and_b32_e32 v87, 0x80, v1
                                        ; implicit-def: $vgpr86
	s_mov_b32 s7, exec_lo
	s_delay_alu instid0(VALU_DEP_2)
	v_cmpx_gt_u64_e32 0x47600001, v[2:3]
	s_xor_b32 s25, exec_lo, s7
	s_cbranch_execz .LBB6_6648
; %bb.6639:                             ;   in Loop: Header=BB6_4897 Depth=2
	v_mov_b32_e32 v86, 0
	s_mov_b32 s26, exec_lo
	v_cmpx_ne_u32_e32 0, v0
	s_cbranch_execz .LBB6_6647
; %bb.6640:                             ;   in Loop: Header=BB6_4897 Depth=2
	v_bfe_u32 v86, v0, 23, 8
	v_or_b32_e32 v1, 0x800000, v4
	s_delay_alu instid0(VALU_DEP_2) | instskip(SKIP_2) | instid1(VALU_DEP_2)
	v_cmp_gt_u32_e64 s7, 0x72, v86
	v_sub_nc_u32_e32 v0, 0x71, v86
	v_cmp_eq_u32_e32 vcc_lo, 0, v86
	v_cndmask_b32_e64 v0, 0, v0, s7
	s_delay_alu instid0(VALU_DEP_1) | instskip(SKIP_1) | instid1(VALU_DEP_2)
	v_cndmask_b32_e64 v96, v0, 0x70, vcc_lo
	v_cndmask_b32_e32 v0, v1, v4, vcc_lo
	v_dual_mov_b32 v1, v5 :: v_dual_add_nc_u32 v2, 21, v96
	v_add_nc_u32_e32 v4, 20, v96
	s_delay_alu instid0(VALU_DEP_2) | instskip(NEXT) | instid1(VALU_DEP_2)
	v_lshlrev_b64_e64 v[2:3], v2, -1
	v_lshlrev_b64_e64 v[98:99], v4, 1
	s_delay_alu instid0(VALU_DEP_2) | instskip(SKIP_1) | instid1(VALU_DEP_4)
	v_bfi_b32 v2, v2, 0, v0
	v_lshrrev_b64 v[0:1], v96, v[0:1]
	v_bfi_b32 v3, v3, 0, 0
	s_delay_alu instid0(VALU_DEP_1) | instskip(NEXT) | instid1(VALU_DEP_3)
	v_cmp_eq_u64_e64 s7, v[2:3], v[98:99]
	v_mov_b64_e32 v[2:3], v[0:1]
	s_and_saveexec_b32 s27, s7
; %bb.6641:                             ;   in Loop: Header=BB6_4897 Depth=2
	v_bfe_u32 v2, v0, 21, 1
	v_mov_b32_e32 v3, v5
	s_delay_alu instid0(VALU_DEP_1) | instskip(NEXT) | instid1(VALU_DEP_1)
	v_add_nc_u64_e32 v[2:3], v[0:1], v[2:3]
	v_add_nc_u64_e32 v[2:3], -1, v[2:3]
; %bb.6642:                             ;   in Loop: Header=BB6_4897 Depth=2
	s_or_b32 exec_lo, exec_lo, s27
	v_add_nc_u32_e32 v1, 0xffffff81, v86
	v_lshrrev_b32_e32 v3, 23, v0
	s_mov_b32 s7, exec_lo
	s_delay_alu instid0(VALU_DEP_2) | instskip(NEXT) | instid1(VALU_DEP_1)
	v_cndmask_b32_e64 v1, v1, 0xffffff82, vcc_lo
	v_add3_u32 v3, v96, v1, v3
	v_and_b32_e32 v1, 0x1fffff, v2
                                        ; implicit-def: $vgpr2
	s_delay_alu instid0(VALU_DEP_1) | instskip(NEXT) | instid1(VALU_DEP_1)
	v_dual_add_nc_u32 v86, 14, v3 :: v_dual_add_nc_u32 v4, v1, v0
                                        ; implicit-def: $vgpr0_vgpr1
	v_cmpx_ne_u32_e32 0, v86
	s_xor_b32 s7, exec_lo, s7
; %bb.6643:                             ;   in Loop: Header=BB6_4897 Depth=2
	s_delay_alu instid0(VALU_DEP_2) | instskip(SKIP_1) | instid1(VALU_DEP_1)
	v_cmp_lt_u64_e32 vcc_lo, 0xffffff, v[4:5]
	v_add_nc_u32_e32 v0, 15, v3
	v_cndmask_b32_e32 v2, v86, v0, vcc_lo
	v_cndmask_b32_e64 v0, 0, 1, vcc_lo
	s_delay_alu instid0(VALU_DEP_1)
	v_lshrrev_b64 v[0:1], v0, v[4:5]
; %bb.6644:                             ;   in Loop: Header=BB6_4897 Depth=2
	s_and_not1_saveexec_b32 s7, s7
; %bb.6645:                             ;   in Loop: Header=BB6_4897 Depth=2
	v_mov_b64_e32 v[0:1], v[4:5]
	v_bfe_u32 v2, v4, 23, 1
; %bb.6646:                             ;   in Loop: Header=BB6_4897 Depth=2
	s_or_b32 exec_lo, exec_lo, s7
	s_delay_alu instid0(VALU_DEP_2) | instskip(NEXT) | instid1(VALU_DEP_2)
	v_lshrrev_b64 v[0:1], 21, v[0:1]
	v_cmp_gt_i32_e32 vcc_lo, 32, v2
	v_min_i32_e32 v3, 31, v2
	v_cmp_eq_u32_e64 s7, 0, v2
	s_delay_alu instid0(VALU_DEP_2) | instskip(SKIP_1) | instid1(VALU_DEP_2)
	v_dual_cndmask_b32 v1, 0, v1, vcc_lo :: v_dual_lshlrev_b32 v3, 2, v3
	v_cndmask_b32_e32 v0, 3, v0, vcc_lo
	v_and_b32_e32 v3, 0xfc, v3
	s_delay_alu instid0(VALU_DEP_2) | instskip(NEXT) | instid1(VALU_DEP_2)
	v_cmp_eq_u64_e32 vcc_lo, 0, v[0:1]
	v_and_or_b32 v0, v0, 3, v3
	s_and_b32 s7, s7, vcc_lo
	s_delay_alu instid0(VALU_DEP_1) | instid1(SALU_CYCLE_1)
	v_cndmask_b32_e64 v0, v0, 0, s7
	s_delay_alu instid0(VALU_DEP_1)
	v_or_b32_e32 v86, v0, v87
.LBB6_6647:                             ;   in Loop: Header=BB6_4897 Depth=2
	s_or_b32 exec_lo, exec_lo, s26
                                        ; implicit-def: $vgpr87
.LBB6_6648:                             ;   in Loop: Header=BB6_4897 Depth=2
	s_and_not1_saveexec_b32 s7, s25
; %bb.6649:                             ;   in Loop: Header=BB6_4897 Depth=2
	v_or_b32_e32 v86, 0x7b, v87
; %bb.6650:                             ;   in Loop: Header=BB6_4897 Depth=2
	s_or_b32 exec_lo, exec_lo, s7
                                        ; implicit-def: $vgpr0
                                        ; implicit-def: $vgpr1
.LBB6_6651:                             ;   in Loop: Header=BB6_4897 Depth=2
	s_and_not1_saveexec_b32 s7, s24
	s_cbranch_execz .LBB6_6657
; %bb.6652:                             ;   in Loop: Header=BB6_4897 Depth=2
	s_mov_b32 s24, exec_lo
                                        ; implicit-def: $vgpr86
	v_cmpx_ne_u64_e32 0, v[4:5]
	s_xor_b32 s24, exec_lo, s24
; %bb.6653:                             ;   in Loop: Header=BB6_4897 Depth=2
	v_or_b32_e32 v86, 0x7f, v1
                                        ; implicit-def: $vgpr0
; %bb.6654:                             ;   in Loop: Header=BB6_4897 Depth=2
	s_and_not1_saveexec_b32 s24, s24
; %bb.6655:                             ;   in Loop: Header=BB6_4897 Depth=2
	v_cmp_lt_i32_e32 vcc_lo, -1, v0
	v_cndmask_b32_e32 v86, 0xfc, v104, vcc_lo
; %bb.6656:                             ;   in Loop: Header=BB6_4897 Depth=2
	s_or_b32 exec_lo, exec_lo, s24
.LBB6_6657:                             ;   in Loop: Header=BB6_4897 Depth=2
	s_delay_alu instid0(SALU_CYCLE_1) | instskip(SKIP_4) | instid1(VALU_DEP_3)
	s_or_b32 exec_lo, exec_lo, s7
	v_and_b32_e32 v2, 0xff, v25
	v_dual_mov_b32 v4, v25 :: v_dual_mov_b32 v1, 0
	v_mov_b32_e32 v0, 0
	s_mov_b32 s7, exec_lo
	v_cmpx_ne_u16_e32 0, v2
	s_cbranch_execz .LBB6_6667
; %bb.6658:                             ;   in Loop: Header=BB6_4897 Depth=2
	v_bfrev_b32_e32 v0, 1
	s_mov_b32 s24, exec_lo
	v_cmpx_ne_u16_e32 0x80, v2
	s_cbranch_execz .LBB6_6666
; %bb.6659:                             ;   in Loop: Header=BB6_4897 Depth=2
	v_and_b32_e32 v0, 0x7c, v25
	v_and_b32_e32 v2, 3, v25
	s_delay_alu instid0(VALU_DEP_2) | instskip(SKIP_1) | instid1(SALU_CYCLE_1)
	v_cmp_ne_u32_e32 vcc_lo, 0x7c, v0
                                        ; implicit-def: $vgpr0
	s_and_saveexec_b32 s25, vcc_lo
	s_xor_b32 s25, exec_lo, s25
	s_cbranch_execz .LBB6_6663
; %bb.6660:                             ;   in Loop: Header=BB6_4897 Depth=2
	v_bfe_u32 v0, v25, 2, 5
	s_mov_b32 s26, exec_lo
	s_delay_alu instid0(VALU_DEP_1)
	v_cmpx_eq_u32_e32 0, v0
; %bb.6661:                             ;   in Loop: Header=BB6_4897 Depth=2
	v_clz_i32_u32_e32 v0, v2
	s_delay_alu instid0(VALU_DEP_1) | instskip(NEXT) | instid1(VALU_DEP_1)
	v_min_u32_e32 v0, 32, v0
	v_subrev_nc_u32_e32 v2, 29, v0
	s_delay_alu instid0(VALU_DEP_1) | instskip(NEXT) | instid1(VALU_DEP_1)
	v_lshlrev_b64_e32 v[2:3], v2, v[4:5]
	v_dual_sub_nc_u32 v0, 30, v0 :: v_dual_bitop2_b32 v2, 3, v2 bitop3:0x40
; %bb.6662:                             ;   in Loop: Header=BB6_4897 Depth=2
	s_or_b32 exec_lo, exec_lo, s26
	v_lshlrev_b32_e32 v3, 24, v25
	s_delay_alu instid0(VALU_DEP_1) | instskip(NEXT) | instid1(VALU_DEP_1)
	v_and_b32_e32 v3, 0x80000000, v3
	v_lshl_add_u32 v0, v0, 23, v3
	s_delay_alu instid0(VALU_DEP_1) | instskip(NEXT) | instid1(VALU_DEP_1)
	v_lshl_or_b32 v0, v2, 21, v0
                                        ; implicit-def: $vgpr2
	v_add_nc_u32_e32 v0, 0x38000000, v0
.LBB6_6663:                             ;   in Loop: Header=BB6_4897 Depth=2
	s_and_not1_saveexec_b32 s25, s25
; %bb.6664:                             ;   in Loop: Header=BB6_4897 Depth=2
	v_bfe_i32 v0, v25, 0, 8
	s_delay_alu instid0(VALU_DEP_1) | instskip(SKIP_2) | instid1(VALU_DEP_2)
	v_cmp_lt_i16_e32 vcc_lo, -1, v0
	v_cndmask_b32_e32 v0, 0xff800000, v105, vcc_lo
	v_cmp_eq_u32_e32 vcc_lo, 0, v2
	v_cndmask_b32_e32 v0, 0x7f800001, v0, vcc_lo
; %bb.6665:                             ;   in Loop: Header=BB6_4897 Depth=2
	s_or_b32 exec_lo, exec_lo, s25
.LBB6_6666:                             ;   in Loop: Header=BB6_4897 Depth=2
	s_delay_alu instid0(SALU_CYCLE_1)
	s_or_b32 exec_lo, exec_lo, s24
.LBB6_6667:                             ;   in Loop: Header=BB6_4897 Depth=2
	s_delay_alu instid0(SALU_CYCLE_1) | instskip(SKIP_2) | instid1(VALU_DEP_1)
	s_or_b32 exec_lo, exec_lo, s7
	v_and_b32_e32 v2, 0xff, v21
	s_mov_b32 s7, exec_lo
	v_cmpx_ne_u16_e32 0, v2
	s_cbranch_execz .LBB6_6677
; %bb.6668:                             ;   in Loop: Header=BB6_4897 Depth=2
	v_bfrev_b32_e32 v1, 1
	s_mov_b32 s24, exec_lo
	v_cmpx_ne_u16_e32 0x80, v2
	s_cbranch_execz .LBB6_6676
; %bb.6669:                             ;   in Loop: Header=BB6_4897 Depth=2
	v_and_b32_e32 v1, 0x7c, v21
	v_and_b32_e32 v2, 3, v21
	s_delay_alu instid0(VALU_DEP_2) | instskip(SKIP_1) | instid1(SALU_CYCLE_1)
	v_cmp_ne_u32_e32 vcc_lo, 0x7c, v1
                                        ; implicit-def: $vgpr1
	s_and_saveexec_b32 s25, vcc_lo
	s_xor_b32 s25, exec_lo, s25
	s_cbranch_execz .LBB6_6673
; %bb.6670:                             ;   in Loop: Header=BB6_4897 Depth=2
	v_bfe_u32 v1, v21, 2, 5
	s_mov_b32 s26, exec_lo
	s_delay_alu instid0(VALU_DEP_1)
	v_cmpx_eq_u32_e32 0, v1
; %bb.6671:                             ;   in Loop: Header=BB6_4897 Depth=2
	v_clz_i32_u32_e32 v1, v2
	v_dual_mov_b32 v2, v21 :: v_dual_mov_b32 v3, v5
	s_delay_alu instid0(VALU_DEP_2) | instskip(NEXT) | instid1(VALU_DEP_1)
	v_min_u32_e32 v1, 32, v1
	v_subrev_nc_u32_e32 v87, 29, v1
	s_delay_alu instid0(VALU_DEP_1) | instskip(NEXT) | instid1(VALU_DEP_1)
	v_lshlrev_b64_e32 v[2:3], v87, v[2:3]
	v_dual_sub_nc_u32 v1, 30, v1 :: v_dual_bitop2_b32 v2, 3, v2 bitop3:0x40
; %bb.6672:                             ;   in Loop: Header=BB6_4897 Depth=2
	s_or_b32 exec_lo, exec_lo, s26
	v_lshlrev_b32_e32 v3, 24, v21
	s_delay_alu instid0(VALU_DEP_1) | instskip(NEXT) | instid1(VALU_DEP_1)
	v_and_b32_e32 v3, 0x80000000, v3
	v_lshl_add_u32 v1, v1, 23, v3
	s_delay_alu instid0(VALU_DEP_1) | instskip(NEXT) | instid1(VALU_DEP_1)
	v_lshl_or_b32 v1, v2, 21, v1
                                        ; implicit-def: $vgpr2
	v_add_nc_u32_e32 v1, 0x38000000, v1
.LBB6_6673:                             ;   in Loop: Header=BB6_4897 Depth=2
	s_and_not1_saveexec_b32 s25, s25
; %bb.6674:                             ;   in Loop: Header=BB6_4897 Depth=2
	v_bfe_i32 v1, v21, 0, 8
	s_delay_alu instid0(VALU_DEP_1) | instskip(SKIP_2) | instid1(VALU_DEP_2)
	v_cmp_lt_i16_e32 vcc_lo, -1, v1
	v_cndmask_b32_e32 v1, 0xff800000, v105, vcc_lo
	v_cmp_eq_u32_e32 vcc_lo, 0, v2
	v_cndmask_b32_e32 v1, 0x7f800001, v1, vcc_lo
; %bb.6675:                             ;   in Loop: Header=BB6_4897 Depth=2
	s_or_b32 exec_lo, exec_lo, s25
.LBB6_6676:                             ;   in Loop: Header=BB6_4897 Depth=2
	s_delay_alu instid0(SALU_CYCLE_1)
	s_or_b32 exec_lo, exec_lo, s24
.LBB6_6677:                             ;   in Loop: Header=BB6_4897 Depth=2
	s_delay_alu instid0(SALU_CYCLE_1) | instskip(NEXT) | instid1(VALU_DEP_1)
	s_or_b32 exec_lo, exec_lo, s7
	v_dual_mul_f32 v2, v0, v1 :: v_dual_mov_b32 v97, v5
	v_mov_b32_e32 v1, v5
                                        ; implicit-def: $vgpr87
	s_mov_b32 s7, exec_lo
	s_delay_alu instid0(VALU_DEP_2) | instskip(SKIP_2) | instid1(VALU_DEP_3)
	v_and_b32_e32 v96, 0x7f800000, v2
	v_and_b32_e32 v0, 0x7fffff, v2
	v_lshrrev_b32_e32 v3, 24, v2
	v_cmpx_ne_u64_e32 0x7f800000, v[96:97]
	s_xor_b32 s24, exec_lo, s7
	s_cbranch_execz .LBB6_6691
; %bb.6678:                             ;   in Loop: Header=BB6_4897 Depth=2
	v_and_b32_e32 v96, 0x7fffffff, v2
	v_mov_b32_e32 v97, v5
                                        ; implicit-def: $vgpr87
	s_delay_alu instid0(VALU_DEP_1) | instskip(SKIP_2) | instid1(SALU_CYCLE_1)
	v_cmp_gt_u64_e32 vcc_lo, 0x47600001, v[96:97]
	v_and_b32_e32 v96, 0x80, v3
	s_and_saveexec_b32 s7, vcc_lo
	s_xor_b32 s25, exec_lo, s7
	s_cbranch_execz .LBB6_6688
; %bb.6679:                             ;   in Loop: Header=BB6_4897 Depth=2
	v_mov_b32_e32 v87, 0
	s_mov_b32 s26, exec_lo
	v_cmpx_ne_u32_e32 0, v2
	s_cbranch_execz .LBB6_6687
; %bb.6680:                             ;   in Loop: Header=BB6_4897 Depth=2
	v_bfe_u32 v87, v2, 23, 8
	v_or_b32_e32 v3, 0x800000, v0
	s_delay_alu instid0(VALU_DEP_2) | instskip(SKIP_2) | instid1(VALU_DEP_2)
	v_cmp_gt_u32_e64 s7, 0x72, v87
	v_sub_nc_u32_e32 v2, 0x71, v87
	v_cmp_eq_u32_e32 vcc_lo, 0, v87
	v_dual_cndmask_b32 v2, 0, v2, s7 :: v_dual_cndmask_b32 v0, v3, v0, vcc_lo
	s_delay_alu instid0(VALU_DEP_1) | instskip(NEXT) | instid1(VALU_DEP_1)
	v_cndmask_b32_e64 v97, v2, 0x70, vcc_lo
	v_dual_add_nc_u32 v2, 21, v97 :: v_dual_add_nc_u32 v98, 20, v97
	s_delay_alu instid0(VALU_DEP_1) | instskip(NEXT) | instid1(VALU_DEP_2)
	v_lshlrev_b64_e64 v[2:3], v2, -1
	v_lshlrev_b64_e64 v[98:99], v98, 1
	s_delay_alu instid0(VALU_DEP_2) | instskip(SKIP_1) | instid1(VALU_DEP_4)
	v_bfi_b32 v2, v2, 0, v0
	v_lshrrev_b64 v[0:1], v97, v[0:1]
	v_bfi_b32 v3, v3, 0, 0
	s_delay_alu instid0(VALU_DEP_1) | instskip(NEXT) | instid1(VALU_DEP_3)
	v_cmp_eq_u64_e64 s7, v[2:3], v[98:99]
	v_mov_b64_e32 v[2:3], v[0:1]
	s_and_saveexec_b32 s27, s7
; %bb.6681:                             ;   in Loop: Header=BB6_4897 Depth=2
	v_bfe_u32 v2, v0, 21, 1
	v_mov_b32_e32 v3, v5
	s_delay_alu instid0(VALU_DEP_1) | instskip(NEXT) | instid1(VALU_DEP_1)
	v_add_nc_u64_e32 v[2:3], v[0:1], v[2:3]
	v_add_nc_u64_e32 v[2:3], -1, v[2:3]
; %bb.6682:                             ;   in Loop: Header=BB6_4897 Depth=2
	s_or_b32 exec_lo, exec_lo, s27
	v_add_nc_u32_e32 v1, 0xffffff81, v87
	v_lshrrev_b32_e32 v3, 23, v0
	s_mov_b32 s7, exec_lo
	s_delay_alu instid0(VALU_DEP_2) | instskip(NEXT) | instid1(VALU_DEP_1)
	v_cndmask_b32_e64 v1, v1, 0xffffff82, vcc_lo
	v_add3_u32 v3, v97, v1, v3
	v_and_b32_e32 v1, 0x1fffff, v2
                                        ; implicit-def: $vgpr2
	s_delay_alu instid0(VALU_DEP_1) | instskip(SKIP_1) | instid1(VALU_DEP_2)
	v_dual_add_nc_u32 v87, 14, v3 :: v_dual_add_nc_u32 v0, v1, v0
	v_mov_b32_e32 v1, v5
	v_cmpx_ne_u32_e32 0, v87
	s_xor_b32 s7, exec_lo, s7
; %bb.6683:                             ;   in Loop: Header=BB6_4897 Depth=2
	s_delay_alu instid0(VALU_DEP_2) | instskip(SKIP_2) | instid1(VALU_DEP_2)
	v_cmp_lt_u64_e32 vcc_lo, 0xffffff, v[0:1]
	v_add_nc_u32_e32 v2, 15, v3
	v_cndmask_b32_e64 v3, 0, 1, vcc_lo
	v_cndmask_b32_e32 v2, v87, v2, vcc_lo
	s_delay_alu instid0(VALU_DEP_2)
	v_lshrrev_b64 v[0:1], v3, v[0:1]
; %bb.6684:                             ;   in Loop: Header=BB6_4897 Depth=2
	s_and_not1_saveexec_b32 s7, s7
; %bb.6685:                             ;   in Loop: Header=BB6_4897 Depth=2
	s_delay_alu instid0(VALU_DEP_1)
	v_bfe_u32 v2, v0, 23, 1
; %bb.6686:                             ;   in Loop: Header=BB6_4897 Depth=2
	s_or_b32 exec_lo, exec_lo, s7
	s_delay_alu instid0(VALU_DEP_2) | instskip(NEXT) | instid1(VALU_DEP_2)
	v_lshrrev_b64 v[0:1], 21, v[0:1]
	v_cmp_gt_i32_e32 vcc_lo, 32, v2
	v_min_i32_e32 v3, 31, v2
	v_cmp_eq_u32_e64 s7, 0, v2
	s_delay_alu instid0(VALU_DEP_2) | instskip(SKIP_1) | instid1(VALU_DEP_2)
	v_dual_cndmask_b32 v1, 0, v1, vcc_lo :: v_dual_lshlrev_b32 v3, 2, v3
	v_cndmask_b32_e32 v0, 3, v0, vcc_lo
	v_and_b32_e32 v3, 0xfc, v3
	s_delay_alu instid0(VALU_DEP_2) | instskip(NEXT) | instid1(VALU_DEP_2)
	v_cmp_eq_u64_e32 vcc_lo, 0, v[0:1]
	v_and_or_b32 v0, v0, 3, v3
	s_and_b32 s7, s7, vcc_lo
	s_delay_alu instid0(VALU_DEP_1) | instid1(SALU_CYCLE_1)
	v_cndmask_b32_e64 v0, v0, 0, s7
	s_delay_alu instid0(VALU_DEP_1)
	v_or_b32_e32 v87, v0, v96
.LBB6_6687:                             ;   in Loop: Header=BB6_4897 Depth=2
	s_or_b32 exec_lo, exec_lo, s26
                                        ; implicit-def: $vgpr96
.LBB6_6688:                             ;   in Loop: Header=BB6_4897 Depth=2
	s_and_not1_saveexec_b32 s7, s25
; %bb.6689:                             ;   in Loop: Header=BB6_4897 Depth=2
	v_or_b32_e32 v87, 0x7b, v96
; %bb.6690:                             ;   in Loop: Header=BB6_4897 Depth=2
	s_or_b32 exec_lo, exec_lo, s7
                                        ; implicit-def: $vgpr2
                                        ; implicit-def: $vgpr0_vgpr1
                                        ; implicit-def: $vgpr3
.LBB6_6691:                             ;   in Loop: Header=BB6_4897 Depth=2
	s_and_not1_saveexec_b32 s7, s24
	s_cbranch_execz .LBB6_6697
; %bb.6692:                             ;   in Loop: Header=BB6_4897 Depth=2
	s_mov_b32 s24, exec_lo
                                        ; implicit-def: $vgpr87
	v_cmpx_ne_u64_e32 0, v[0:1]
	s_xor_b32 s24, exec_lo, s24
; %bb.6693:                             ;   in Loop: Header=BB6_4897 Depth=2
	v_or_b32_e32 v87, 0x7f, v3
                                        ; implicit-def: $vgpr2
; %bb.6694:                             ;   in Loop: Header=BB6_4897 Depth=2
	s_and_not1_saveexec_b32 s24, s24
; %bb.6695:                             ;   in Loop: Header=BB6_4897 Depth=2
	v_cmp_lt_i32_e32 vcc_lo, -1, v2
	v_cndmask_b32_e32 v87, 0xfc, v104, vcc_lo
; %bb.6696:                             ;   in Loop: Header=BB6_4897 Depth=2
	s_or_b32 exec_lo, exec_lo, s24
.LBB6_6697:                             ;   in Loop: Header=BB6_4897 Depth=2
	s_delay_alu instid0(SALU_CYCLE_1) | instskip(SKIP_3) | instid1(VALU_DEP_2)
	s_or_b32 exec_lo, exec_lo, s7
	v_lshrrev_b16 v0, 8, v4
	v_dual_mov_b32 v2, 0 :: v_dual_mov_b32 v3, 0
	s_mov_b32 s7, exec_lo
	v_cmpx_ne_u16_e32 0, v0
	s_cbranch_execz .LBB6_6707
; %bb.6698:                             ;   in Loop: Header=BB6_4897 Depth=2
	v_bfrev_b32_e32 v3, 1
	s_mov_b32 s24, exec_lo
	v_cmpx_ne_u16_e32 0x80, v0
	s_cbranch_execz .LBB6_6706
; %bb.6699:                             ;   in Loop: Header=BB6_4897 Depth=2
	v_and_b32_e32 v96, 0xffff, v0
	s_delay_alu instid0(VALU_DEP_1) | instskip(SKIP_1) | instid1(VALU_DEP_2)
	v_and_b32_e32 v3, 0x7c, v96
	v_and_b32_e32 v1, 3, v96
	v_cmp_ne_u32_e32 vcc_lo, 0x7c, v3
                                        ; implicit-def: $vgpr3
	s_and_saveexec_b32 s25, vcc_lo
	s_delay_alu instid0(SALU_CYCLE_1)
	s_xor_b32 s25, exec_lo, s25
	s_cbranch_execz .LBB6_6703
; %bb.6700:                             ;   in Loop: Header=BB6_4897 Depth=2
	v_bfe_u32 v3, v96, 2, 5
	s_mov_b32 s26, exec_lo
	s_delay_alu instid0(VALU_DEP_1)
	v_cmpx_eq_u32_e32 0, v3
	s_cbranch_execz .LBB6_6702
; %bb.6701:                             ;   in Loop: Header=BB6_4897 Depth=2
	v_clz_i32_u32_e32 v1, v1
	s_delay_alu instid0(VALU_DEP_1) | instskip(SKIP_1) | instid1(VALU_DEP_2)
	v_min_u32_e32 v3, 32, v1
	v_mov_b32_e32 v1, v5
	v_subrev_nc_u32_e32 v96, 29, v3
	v_sub_nc_u32_e32 v3, 30, v3
	s_delay_alu instid0(VALU_DEP_2) | instskip(NEXT) | instid1(VALU_DEP_1)
	v_lshlrev_b64_e32 v[0:1], v96, v[0:1]
	v_and_b32_e32 v1, 3, v0
.LBB6_6702:                             ;   in Loop: Header=BB6_4897 Depth=2
	s_or_b32 exec_lo, exec_lo, s26
	v_lshlrev_b32_e32 v0, 16, v4
	s_delay_alu instid0(VALU_DEP_1) | instskip(NEXT) | instid1(VALU_DEP_1)
	v_and_b32_e32 v0, 0x80000000, v0
	v_lshl_add_u32 v0, v3, 23, v0
	s_delay_alu instid0(VALU_DEP_1) | instskip(NEXT) | instid1(VALU_DEP_1)
	v_lshl_or_b32 v0, v1, 21, v0
                                        ; implicit-def: $vgpr1
	v_add_nc_u32_e32 v3, 0x38000000, v0
.LBB6_6703:                             ;   in Loop: Header=BB6_4897 Depth=2
	s_and_not1_saveexec_b32 s25, s25
; %bb.6704:                             ;   in Loop: Header=BB6_4897 Depth=2
	v_cmp_lt_i16_e32 vcc_lo, -1, v4
	v_cndmask_b32_e32 v0, 0xff800000, v105, vcc_lo
	v_cmp_eq_u32_e32 vcc_lo, 0, v1
	s_delay_alu instid0(VALU_DEP_2)
	v_cndmask_b32_e32 v3, 0x7f800001, v0, vcc_lo
; %bb.6705:                             ;   in Loop: Header=BB6_4897 Depth=2
	s_or_b32 exec_lo, exec_lo, s25
.LBB6_6706:                             ;   in Loop: Header=BB6_4897 Depth=2
	s_delay_alu instid0(SALU_CYCLE_1)
	s_or_b32 exec_lo, exec_lo, s24
.LBB6_6707:                             ;   in Loop: Header=BB6_4897 Depth=2
	s_delay_alu instid0(SALU_CYCLE_1) | instskip(SKIP_2) | instid1(VALU_DEP_1)
	s_or_b32 exec_lo, exec_lo, s7
	v_lshrrev_b16 v0, 8, v21
	s_mov_b32 s7, exec_lo
	v_cmpx_ne_u16_e32 0, v0
	s_cbranch_execz .LBB6_6717
; %bb.6708:                             ;   in Loop: Header=BB6_4897 Depth=2
	v_bfrev_b32_e32 v2, 1
	s_mov_b32 s24, exec_lo
	v_cmpx_ne_u16_e32 0x80, v0
	s_cbranch_execz .LBB6_6716
; %bb.6709:                             ;   in Loop: Header=BB6_4897 Depth=2
	v_and_b32_e32 v4, 0xffff, v0
	s_delay_alu instid0(VALU_DEP_1) | instskip(SKIP_1) | instid1(VALU_DEP_2)
	v_and_b32_e32 v2, 0x7c, v4
	v_and_b32_e32 v1, 3, v4
	v_cmp_ne_u32_e32 vcc_lo, 0x7c, v2
                                        ; implicit-def: $vgpr2
	s_and_saveexec_b32 s25, vcc_lo
	s_delay_alu instid0(SALU_CYCLE_1)
	s_xor_b32 s25, exec_lo, s25
	s_cbranch_execz .LBB6_6713
; %bb.6710:                             ;   in Loop: Header=BB6_4897 Depth=2
	v_bfe_u32 v2, v4, 2, 5
	s_mov_b32 s26, exec_lo
	s_delay_alu instid0(VALU_DEP_1)
	v_cmpx_eq_u32_e32 0, v2
	s_cbranch_execz .LBB6_6712
; %bb.6711:                             ;   in Loop: Header=BB6_4897 Depth=2
	v_clz_i32_u32_e32 v1, v1
	s_delay_alu instid0(VALU_DEP_1) | instskip(SKIP_1) | instid1(VALU_DEP_2)
	v_min_u32_e32 v2, 32, v1
	v_mov_b32_e32 v1, v5
	v_subrev_nc_u32_e32 v4, 29, v2
	v_sub_nc_u32_e32 v2, 30, v2
	s_delay_alu instid0(VALU_DEP_2) | instskip(NEXT) | instid1(VALU_DEP_1)
	v_lshlrev_b64_e32 v[0:1], v4, v[0:1]
	v_and_b32_e32 v1, 3, v0
.LBB6_6712:                             ;   in Loop: Header=BB6_4897 Depth=2
	s_or_b32 exec_lo, exec_lo, s26
	v_lshlrev_b32_e32 v0, 16, v21
	s_delay_alu instid0(VALU_DEP_1) | instskip(NEXT) | instid1(VALU_DEP_1)
	v_and_b32_e32 v0, 0x80000000, v0
	v_lshl_add_u32 v0, v2, 23, v0
	s_delay_alu instid0(VALU_DEP_1) | instskip(NEXT) | instid1(VALU_DEP_1)
	v_lshl_or_b32 v0, v1, 21, v0
                                        ; implicit-def: $vgpr1
	v_add_nc_u32_e32 v2, 0x38000000, v0
.LBB6_6713:                             ;   in Loop: Header=BB6_4897 Depth=2
	s_and_not1_saveexec_b32 s25, s25
; %bb.6714:                             ;   in Loop: Header=BB6_4897 Depth=2
	v_cmp_lt_i16_e32 vcc_lo, -1, v21
	v_cndmask_b32_e32 v0, 0xff800000, v105, vcc_lo
	v_cmp_eq_u32_e32 vcc_lo, 0, v1
	s_delay_alu instid0(VALU_DEP_2)
	v_cndmask_b32_e32 v2, 0x7f800001, v0, vcc_lo
; %bb.6715:                             ;   in Loop: Header=BB6_4897 Depth=2
	s_or_b32 exec_lo, exec_lo, s25
.LBB6_6716:                             ;   in Loop: Header=BB6_4897 Depth=2
	s_delay_alu instid0(SALU_CYCLE_1)
	s_or_b32 exec_lo, exec_lo, s24
.LBB6_6717:                             ;   in Loop: Header=BB6_4897 Depth=2
	s_delay_alu instid0(SALU_CYCLE_1) | instskip(NEXT) | instid1(VALU_DEP_1)
	s_or_b32 exec_lo, exec_lo, s7
	v_dual_mul_f32 v0, v3, v2 :: v_dual_mov_b32 v3, v5
                                        ; implicit-def: $vgpr96
	s_mov_b32 s7, exec_lo
	s_delay_alu instid0(VALU_DEP_1) | instskip(SKIP_2) | instid1(VALU_DEP_3)
	v_and_b32_e32 v2, 0x7f800000, v0
	v_and_b32_e32 v4, 0x7fffff, v0
	v_lshrrev_b32_e32 v1, 24, v0
	v_cmpx_ne_u64_e32 0x7f800000, v[2:3]
	s_xor_b32 s24, exec_lo, s7
	s_cbranch_execz .LBB6_6731
; %bb.6718:                             ;   in Loop: Header=BB6_4897 Depth=2
	v_and_b32_e32 v2, 0x7fffffff, v0
	v_mov_b32_e32 v3, v5
	v_and_b32_e32 v97, 0x80, v1
                                        ; implicit-def: $vgpr96
	s_mov_b32 s7, exec_lo
	s_delay_alu instid0(VALU_DEP_2)
	v_cmpx_gt_u64_e32 0x47600001, v[2:3]
	s_xor_b32 s25, exec_lo, s7
	s_cbranch_execz .LBB6_6728
; %bb.6719:                             ;   in Loop: Header=BB6_4897 Depth=2
	v_mov_b32_e32 v96, 0
	s_mov_b32 s26, exec_lo
	v_cmpx_ne_u32_e32 0, v0
	s_cbranch_execz .LBB6_6727
; %bb.6720:                             ;   in Loop: Header=BB6_4897 Depth=2
	v_bfe_u32 v96, v0, 23, 8
	v_or_b32_e32 v1, 0x800000, v4
	s_delay_alu instid0(VALU_DEP_2) | instskip(SKIP_2) | instid1(VALU_DEP_2)
	v_cmp_gt_u32_e64 s7, 0x72, v96
	v_sub_nc_u32_e32 v0, 0x71, v96
	v_cmp_eq_u32_e32 vcc_lo, 0, v96
	v_cndmask_b32_e64 v0, 0, v0, s7
	s_delay_alu instid0(VALU_DEP_1) | instskip(SKIP_1) | instid1(VALU_DEP_2)
	v_cndmask_b32_e64 v98, v0, 0x70, vcc_lo
	v_cndmask_b32_e32 v0, v1, v4, vcc_lo
	v_dual_mov_b32 v1, v5 :: v_dual_add_nc_u32 v2, 21, v98
	v_add_nc_u32_e32 v4, 20, v98
	s_delay_alu instid0(VALU_DEP_2) | instskip(NEXT) | instid1(VALU_DEP_2)
	v_lshlrev_b64_e64 v[2:3], v2, -1
	v_lshlrev_b64_e64 v[100:101], v4, 1
	s_delay_alu instid0(VALU_DEP_2) | instskip(SKIP_1) | instid1(VALU_DEP_4)
	v_bfi_b32 v2, v2, 0, v0
	v_lshrrev_b64 v[0:1], v98, v[0:1]
	v_bfi_b32 v3, v3, 0, 0
	s_delay_alu instid0(VALU_DEP_1) | instskip(NEXT) | instid1(VALU_DEP_3)
	v_cmp_eq_u64_e64 s7, v[2:3], v[100:101]
	v_mov_b64_e32 v[2:3], v[0:1]
	s_and_saveexec_b32 s27, s7
; %bb.6721:                             ;   in Loop: Header=BB6_4897 Depth=2
	v_bfe_u32 v2, v0, 21, 1
	v_mov_b32_e32 v3, v5
	s_delay_alu instid0(VALU_DEP_1) | instskip(NEXT) | instid1(VALU_DEP_1)
	v_add_nc_u64_e32 v[2:3], v[0:1], v[2:3]
	v_add_nc_u64_e32 v[2:3], -1, v[2:3]
; %bb.6722:                             ;   in Loop: Header=BB6_4897 Depth=2
	s_or_b32 exec_lo, exec_lo, s27
	v_add_nc_u32_e32 v1, 0xffffff81, v96
	v_lshrrev_b32_e32 v3, 23, v0
	s_mov_b32 s7, exec_lo
	s_delay_alu instid0(VALU_DEP_2) | instskip(NEXT) | instid1(VALU_DEP_1)
	v_cndmask_b32_e64 v1, v1, 0xffffff82, vcc_lo
	v_add3_u32 v3, v98, v1, v3
	v_and_b32_e32 v1, 0x1fffff, v2
                                        ; implicit-def: $vgpr2
	s_delay_alu instid0(VALU_DEP_1) | instskip(NEXT) | instid1(VALU_DEP_1)
	v_dual_add_nc_u32 v96, 14, v3 :: v_dual_add_nc_u32 v4, v1, v0
                                        ; implicit-def: $vgpr0_vgpr1
	v_cmpx_ne_u32_e32 0, v96
	s_xor_b32 s7, exec_lo, s7
; %bb.6723:                             ;   in Loop: Header=BB6_4897 Depth=2
	s_delay_alu instid0(VALU_DEP_2) | instskip(SKIP_1) | instid1(VALU_DEP_1)
	v_cmp_lt_u64_e32 vcc_lo, 0xffffff, v[4:5]
	v_add_nc_u32_e32 v0, 15, v3
	v_cndmask_b32_e32 v2, v96, v0, vcc_lo
	v_cndmask_b32_e64 v0, 0, 1, vcc_lo
	s_delay_alu instid0(VALU_DEP_1)
	v_lshrrev_b64 v[0:1], v0, v[4:5]
; %bb.6724:                             ;   in Loop: Header=BB6_4897 Depth=2
	s_and_not1_saveexec_b32 s7, s7
; %bb.6725:                             ;   in Loop: Header=BB6_4897 Depth=2
	v_mov_b64_e32 v[0:1], v[4:5]
	v_bfe_u32 v2, v4, 23, 1
; %bb.6726:                             ;   in Loop: Header=BB6_4897 Depth=2
	s_or_b32 exec_lo, exec_lo, s7
	s_delay_alu instid0(VALU_DEP_2) | instskip(NEXT) | instid1(VALU_DEP_2)
	v_lshrrev_b64 v[0:1], 21, v[0:1]
	v_cmp_gt_i32_e32 vcc_lo, 32, v2
	v_min_i32_e32 v3, 31, v2
	v_cmp_eq_u32_e64 s7, 0, v2
	s_delay_alu instid0(VALU_DEP_2) | instskip(SKIP_1) | instid1(VALU_DEP_2)
	v_dual_cndmask_b32 v1, 0, v1, vcc_lo :: v_dual_lshlrev_b32 v3, 2, v3
	v_cndmask_b32_e32 v0, 3, v0, vcc_lo
	v_and_b32_e32 v3, 0xfc, v3
	s_delay_alu instid0(VALU_DEP_2) | instskip(NEXT) | instid1(VALU_DEP_2)
	v_cmp_eq_u64_e32 vcc_lo, 0, v[0:1]
	v_and_or_b32 v0, v0, 3, v3
	s_and_b32 s7, s7, vcc_lo
	s_delay_alu instid0(VALU_DEP_1) | instid1(SALU_CYCLE_1)
	v_cndmask_b32_e64 v0, v0, 0, s7
	s_delay_alu instid0(VALU_DEP_1)
	v_or_b32_e32 v96, v0, v97
.LBB6_6727:                             ;   in Loop: Header=BB6_4897 Depth=2
	s_or_b32 exec_lo, exec_lo, s26
                                        ; implicit-def: $vgpr97
.LBB6_6728:                             ;   in Loop: Header=BB6_4897 Depth=2
	s_and_not1_saveexec_b32 s7, s25
; %bb.6729:                             ;   in Loop: Header=BB6_4897 Depth=2
	v_or_b32_e32 v96, 0x7b, v97
; %bb.6730:                             ;   in Loop: Header=BB6_4897 Depth=2
	s_or_b32 exec_lo, exec_lo, s7
                                        ; implicit-def: $vgpr0
                                        ; implicit-def: $vgpr1
.LBB6_6731:                             ;   in Loop: Header=BB6_4897 Depth=2
	s_and_not1_saveexec_b32 s7, s24
	s_cbranch_execz .LBB6_6737
; %bb.6732:                             ;   in Loop: Header=BB6_4897 Depth=2
	s_mov_b32 s24, exec_lo
                                        ; implicit-def: $vgpr96
	v_cmpx_ne_u64_e32 0, v[4:5]
	s_xor_b32 s24, exec_lo, s24
; %bb.6733:                             ;   in Loop: Header=BB6_4897 Depth=2
	v_or_b32_e32 v96, 0x7f, v1
                                        ; implicit-def: $vgpr0
; %bb.6734:                             ;   in Loop: Header=BB6_4897 Depth=2
	s_and_not1_saveexec_b32 s24, s24
; %bb.6735:                             ;   in Loop: Header=BB6_4897 Depth=2
	v_cmp_lt_i32_e32 vcc_lo, -1, v0
	v_cndmask_b32_e32 v96, 0xfc, v104, vcc_lo
; %bb.6736:                             ;   in Loop: Header=BB6_4897 Depth=2
	s_or_b32 exec_lo, exec_lo, s24
.LBB6_6737:                             ;   in Loop: Header=BB6_4897 Depth=2
	s_delay_alu instid0(SALU_CYCLE_1) | instskip(SKIP_3) | instid1(VALU_DEP_2)
	s_or_b32 exec_lo, exec_lo, s7
	v_dual_mov_b32 v1, 0 :: v_dual_lshrrev_b32 v0, 16, v25
	v_mov_b32_e32 v2, 0
	s_mov_b32 s7, exec_lo
	v_and_b32_e32 v3, 0xff, v0
	s_delay_alu instid0(VALU_DEP_1)
	v_cmpx_ne_u16_e32 0, v3
	s_cbranch_execz .LBB6_6747
; %bb.6738:                             ;   in Loop: Header=BB6_4897 Depth=2
	v_bfrev_b32_e32 v2, 1
	s_mov_b32 s24, exec_lo
	v_cmpx_ne_u16_e32 0x80, v3
	s_cbranch_execz .LBB6_6746
; %bb.6739:                             ;   in Loop: Header=BB6_4897 Depth=2
	v_and_b32_e32 v2, 0x7c0000, v25
	v_bfe_u32 v3, v25, 16, 2
	s_delay_alu instid0(VALU_DEP_2) | instskip(SKIP_1) | instid1(SALU_CYCLE_1)
	v_cmp_ne_u32_e32 vcc_lo, 0x7c0000, v2
                                        ; implicit-def: $vgpr2
	s_and_saveexec_b32 s25, vcc_lo
	s_xor_b32 s25, exec_lo, s25
	s_cbranch_execz .LBB6_6743
; %bb.6740:                             ;   in Loop: Header=BB6_4897 Depth=2
	v_bfe_u32 v2, v25, 18, 5
	s_mov_b32 s26, exec_lo
	s_delay_alu instid0(VALU_DEP_1)
	v_cmpx_eq_u32_e32 0, v2
; %bb.6741:                             ;   in Loop: Header=BB6_4897 Depth=2
	v_clz_i32_u32_e32 v2, v3
	s_delay_alu instid0(VALU_DEP_1) | instskip(NEXT) | instid1(VALU_DEP_1)
	v_min_u32_e32 v2, 32, v2
	v_subrev_nc_u32_e32 v3, 29, v2
	v_sub_nc_u32_e32 v2, 30, v2
	s_delay_alu instid0(VALU_DEP_2) | instskip(NEXT) | instid1(VALU_DEP_1)
	v_lshlrev_b64_e32 v[98:99], v3, v[0:1]
	v_and_b32_e32 v3, 3, v98
; %bb.6742:                             ;   in Loop: Header=BB6_4897 Depth=2
	s_or_b32 exec_lo, exec_lo, s26
	v_lshlrev_b32_e32 v0, 24, v0
	s_delay_alu instid0(VALU_DEP_1) | instskip(NEXT) | instid1(VALU_DEP_1)
	v_and_b32_e32 v0, 0x80000000, v0
	v_lshl_add_u32 v0, v2, 23, v0
	s_delay_alu instid0(VALU_DEP_1) | instskip(NEXT) | instid1(VALU_DEP_1)
	v_lshl_or_b32 v0, v3, 21, v0
                                        ; implicit-def: $vgpr3
	v_add_nc_u32_e32 v2, 0x38000000, v0
                                        ; implicit-def: $vgpr0
.LBB6_6743:                             ;   in Loop: Header=BB6_4897 Depth=2
	s_and_not1_saveexec_b32 s25, s25
; %bb.6744:                             ;   in Loop: Header=BB6_4897 Depth=2
	v_bfe_i32 v0, v0, 0, 8
	s_delay_alu instid0(VALU_DEP_1) | instskip(SKIP_2) | instid1(VALU_DEP_2)
	v_cmp_lt_i16_e32 vcc_lo, -1, v0
	v_cndmask_b32_e32 v0, 0xff800000, v105, vcc_lo
	v_cmp_eq_u32_e32 vcc_lo, 0, v3
	v_cndmask_b32_e32 v2, 0x7f800001, v0, vcc_lo
; %bb.6745:                             ;   in Loop: Header=BB6_4897 Depth=2
	s_or_b32 exec_lo, exec_lo, s25
.LBB6_6746:                             ;   in Loop: Header=BB6_4897 Depth=2
	s_delay_alu instid0(SALU_CYCLE_1)
	s_or_b32 exec_lo, exec_lo, s24
.LBB6_6747:                             ;   in Loop: Header=BB6_4897 Depth=2
	s_delay_alu instid0(SALU_CYCLE_1) | instskip(SKIP_2) | instid1(VALU_DEP_1)
	s_or_b32 exec_lo, exec_lo, s7
	v_lshrrev_b32_e32 v0, 16, v21
	s_mov_b32 s7, exec_lo
	v_and_b32_e32 v3, 0xff, v0
	s_delay_alu instid0(VALU_DEP_1)
	v_cmpx_ne_u16_e32 0, v3
	s_cbranch_execz .LBB6_6757
; %bb.6748:                             ;   in Loop: Header=BB6_4897 Depth=2
	v_bfrev_b32_e32 v1, 1
	s_mov_b32 s24, exec_lo
	v_cmpx_ne_u16_e32 0x80, v3
	s_cbranch_execz .LBB6_6756
; %bb.6749:                             ;   in Loop: Header=BB6_4897 Depth=2
	v_and_b32_e32 v1, 0x7c0000, v21
	v_bfe_u32 v3, v21, 16, 2
	s_delay_alu instid0(VALU_DEP_2) | instskip(SKIP_1) | instid1(SALU_CYCLE_1)
	v_cmp_ne_u32_e32 vcc_lo, 0x7c0000, v1
                                        ; implicit-def: $vgpr1
	s_and_saveexec_b32 s25, vcc_lo
	s_xor_b32 s25, exec_lo, s25
	s_cbranch_execz .LBB6_6753
; %bb.6750:                             ;   in Loop: Header=BB6_4897 Depth=2
	v_bfe_u32 v1, v21, 18, 5
	s_mov_b32 s26, exec_lo
	s_delay_alu instid0(VALU_DEP_1)
	v_cmpx_eq_u32_e32 0, v1
; %bb.6751:                             ;   in Loop: Header=BB6_4897 Depth=2
	v_clz_i32_u32_e32 v1, v3
	s_delay_alu instid0(VALU_DEP_1) | instskip(NEXT) | instid1(VALU_DEP_1)
	v_min_u32_e32 v1, 32, v1
	v_subrev_nc_u32_e32 v3, 29, v1
	s_delay_alu instid0(VALU_DEP_1) | instskip(NEXT) | instid1(VALU_DEP_1)
	v_lshlrev_b64_e32 v[98:99], v3, v[0:1]
	v_dual_sub_nc_u32 v1, 30, v1 :: v_dual_bitop2_b32 v3, 3, v98 bitop3:0x40
; %bb.6752:                             ;   in Loop: Header=BB6_4897 Depth=2
	s_or_b32 exec_lo, exec_lo, s26
	v_lshlrev_b32_e32 v0, 24, v0
	s_delay_alu instid0(VALU_DEP_1) | instskip(NEXT) | instid1(VALU_DEP_1)
	v_and_b32_e32 v0, 0x80000000, v0
	v_lshl_add_u32 v0, v1, 23, v0
	s_delay_alu instid0(VALU_DEP_1) | instskip(NEXT) | instid1(VALU_DEP_1)
	v_lshl_or_b32 v0, v3, 21, v0
                                        ; implicit-def: $vgpr3
	v_add_nc_u32_e32 v1, 0x38000000, v0
                                        ; implicit-def: $vgpr0
.LBB6_6753:                             ;   in Loop: Header=BB6_4897 Depth=2
	s_and_not1_saveexec_b32 s25, s25
; %bb.6754:                             ;   in Loop: Header=BB6_4897 Depth=2
	v_bfe_i32 v0, v0, 0, 8
	s_delay_alu instid0(VALU_DEP_1) | instskip(SKIP_2) | instid1(VALU_DEP_2)
	v_cmp_lt_i16_e32 vcc_lo, -1, v0
	v_cndmask_b32_e32 v0, 0xff800000, v105, vcc_lo
	v_cmp_eq_u32_e32 vcc_lo, 0, v3
	v_cndmask_b32_e32 v1, 0x7f800001, v0, vcc_lo
; %bb.6755:                             ;   in Loop: Header=BB6_4897 Depth=2
	s_or_b32 exec_lo, exec_lo, s25
.LBB6_6756:                             ;   in Loop: Header=BB6_4897 Depth=2
	s_delay_alu instid0(SALU_CYCLE_1)
	s_or_b32 exec_lo, exec_lo, s24
.LBB6_6757:                             ;   in Loop: Header=BB6_4897 Depth=2
	s_delay_alu instid0(SALU_CYCLE_1) | instskip(NEXT) | instid1(VALU_DEP_1)
	s_or_b32 exec_lo, exec_lo, s7
	v_dual_mul_f32 v0, v2, v1 :: v_dual_mov_b32 v3, v5
                                        ; implicit-def: $vgpr97
	s_mov_b32 s7, exec_lo
	s_delay_alu instid0(VALU_DEP_1) | instskip(SKIP_2) | instid1(VALU_DEP_3)
	v_and_b32_e32 v2, 0x7f800000, v0
	v_and_b32_e32 v4, 0x7fffff, v0
	v_lshrrev_b32_e32 v1, 24, v0
	v_cmpx_ne_u64_e32 0x7f800000, v[2:3]
	s_xor_b32 s24, exec_lo, s7
	s_cbranch_execz .LBB6_6771
; %bb.6758:                             ;   in Loop: Header=BB6_4897 Depth=2
	v_and_b32_e32 v2, 0x7fffffff, v0
	v_mov_b32_e32 v3, v5
	v_and_b32_e32 v98, 0x80, v1
                                        ; implicit-def: $vgpr97
	s_mov_b32 s7, exec_lo
	s_delay_alu instid0(VALU_DEP_2)
	v_cmpx_gt_u64_e32 0x47600001, v[2:3]
	s_xor_b32 s25, exec_lo, s7
	s_cbranch_execz .LBB6_6768
; %bb.6759:                             ;   in Loop: Header=BB6_4897 Depth=2
	v_mov_b32_e32 v97, 0
	s_mov_b32 s26, exec_lo
	v_cmpx_ne_u32_e32 0, v0
	s_cbranch_execz .LBB6_6767
; %bb.6760:                             ;   in Loop: Header=BB6_4897 Depth=2
	v_bfe_u32 v97, v0, 23, 8
	v_or_b32_e32 v1, 0x800000, v4
	s_delay_alu instid0(VALU_DEP_2) | instskip(SKIP_2) | instid1(VALU_DEP_2)
	v_cmp_gt_u32_e64 s7, 0x72, v97
	v_sub_nc_u32_e32 v0, 0x71, v97
	v_cmp_eq_u32_e32 vcc_lo, 0, v97
	v_cndmask_b32_e64 v0, 0, v0, s7
	s_delay_alu instid0(VALU_DEP_1) | instskip(SKIP_1) | instid1(VALU_DEP_2)
	v_cndmask_b32_e64 v99, v0, 0x70, vcc_lo
	v_cndmask_b32_e32 v0, v1, v4, vcc_lo
	v_dual_mov_b32 v1, v5 :: v_dual_add_nc_u32 v2, 21, v99
	v_add_nc_u32_e32 v4, 20, v99
	s_delay_alu instid0(VALU_DEP_2) | instskip(NEXT) | instid1(VALU_DEP_2)
	v_lshlrev_b64_e64 v[2:3], v2, -1
	v_lshlrev_b64_e64 v[100:101], v4, 1
	s_delay_alu instid0(VALU_DEP_2) | instskip(SKIP_1) | instid1(VALU_DEP_4)
	v_bfi_b32 v2, v2, 0, v0
	v_lshrrev_b64 v[0:1], v99, v[0:1]
	v_bfi_b32 v3, v3, 0, 0
	s_delay_alu instid0(VALU_DEP_1) | instskip(NEXT) | instid1(VALU_DEP_3)
	v_cmp_eq_u64_e64 s7, v[2:3], v[100:101]
	v_mov_b64_e32 v[2:3], v[0:1]
	s_and_saveexec_b32 s27, s7
; %bb.6761:                             ;   in Loop: Header=BB6_4897 Depth=2
	v_bfe_u32 v2, v0, 21, 1
	v_mov_b32_e32 v3, v5
	s_delay_alu instid0(VALU_DEP_1) | instskip(NEXT) | instid1(VALU_DEP_1)
	v_add_nc_u64_e32 v[2:3], v[0:1], v[2:3]
	v_add_nc_u64_e32 v[2:3], -1, v[2:3]
; %bb.6762:                             ;   in Loop: Header=BB6_4897 Depth=2
	s_or_b32 exec_lo, exec_lo, s27
	v_add_nc_u32_e32 v1, 0xffffff81, v97
	v_lshrrev_b32_e32 v3, 23, v0
	s_mov_b32 s7, exec_lo
	s_delay_alu instid0(VALU_DEP_2) | instskip(NEXT) | instid1(VALU_DEP_1)
	v_cndmask_b32_e64 v1, v1, 0xffffff82, vcc_lo
	v_add3_u32 v3, v99, v1, v3
	v_and_b32_e32 v1, 0x1fffff, v2
                                        ; implicit-def: $vgpr2
	s_delay_alu instid0(VALU_DEP_1) | instskip(NEXT) | instid1(VALU_DEP_1)
	v_dual_add_nc_u32 v97, 14, v3 :: v_dual_add_nc_u32 v4, v1, v0
                                        ; implicit-def: $vgpr0_vgpr1
	v_cmpx_ne_u32_e32 0, v97
	s_xor_b32 s7, exec_lo, s7
; %bb.6763:                             ;   in Loop: Header=BB6_4897 Depth=2
	s_delay_alu instid0(VALU_DEP_2) | instskip(SKIP_1) | instid1(VALU_DEP_1)
	v_cmp_lt_u64_e32 vcc_lo, 0xffffff, v[4:5]
	v_add_nc_u32_e32 v0, 15, v3
	v_cndmask_b32_e32 v2, v97, v0, vcc_lo
	v_cndmask_b32_e64 v0, 0, 1, vcc_lo
	s_delay_alu instid0(VALU_DEP_1)
	v_lshrrev_b64 v[0:1], v0, v[4:5]
; %bb.6764:                             ;   in Loop: Header=BB6_4897 Depth=2
	s_and_not1_saveexec_b32 s7, s7
; %bb.6765:                             ;   in Loop: Header=BB6_4897 Depth=2
	v_mov_b64_e32 v[0:1], v[4:5]
	v_bfe_u32 v2, v4, 23, 1
; %bb.6766:                             ;   in Loop: Header=BB6_4897 Depth=2
	s_or_b32 exec_lo, exec_lo, s7
	s_delay_alu instid0(VALU_DEP_2) | instskip(NEXT) | instid1(VALU_DEP_2)
	v_lshrrev_b64 v[0:1], 21, v[0:1]
	v_cmp_gt_i32_e32 vcc_lo, 32, v2
	v_min_i32_e32 v3, 31, v2
	v_cmp_eq_u32_e64 s7, 0, v2
	s_delay_alu instid0(VALU_DEP_2) | instskip(SKIP_1) | instid1(VALU_DEP_2)
	v_dual_cndmask_b32 v1, 0, v1, vcc_lo :: v_dual_lshlrev_b32 v3, 2, v3
	v_cndmask_b32_e32 v0, 3, v0, vcc_lo
	v_and_b32_e32 v3, 0xfc, v3
	s_delay_alu instid0(VALU_DEP_2) | instskip(NEXT) | instid1(VALU_DEP_2)
	v_cmp_eq_u64_e32 vcc_lo, 0, v[0:1]
	v_and_or_b32 v0, v0, 3, v3
	s_and_b32 s7, s7, vcc_lo
	s_delay_alu instid0(VALU_DEP_1) | instid1(SALU_CYCLE_1)
	v_cndmask_b32_e64 v0, v0, 0, s7
	s_delay_alu instid0(VALU_DEP_1)
	v_or_b32_e32 v97, v0, v98
.LBB6_6767:                             ;   in Loop: Header=BB6_4897 Depth=2
	s_or_b32 exec_lo, exec_lo, s26
                                        ; implicit-def: $vgpr98
.LBB6_6768:                             ;   in Loop: Header=BB6_4897 Depth=2
	s_and_not1_saveexec_b32 s7, s25
; %bb.6769:                             ;   in Loop: Header=BB6_4897 Depth=2
	v_or_b32_e32 v97, 0x7b, v98
; %bb.6770:                             ;   in Loop: Header=BB6_4897 Depth=2
	s_or_b32 exec_lo, exec_lo, s7
                                        ; implicit-def: $vgpr0
                                        ; implicit-def: $vgpr1
.LBB6_6771:                             ;   in Loop: Header=BB6_4897 Depth=2
	s_and_not1_saveexec_b32 s7, s24
	s_cbranch_execz .LBB6_6777
; %bb.6772:                             ;   in Loop: Header=BB6_4897 Depth=2
	s_mov_b32 s24, exec_lo
                                        ; implicit-def: $vgpr97
	v_cmpx_ne_u64_e32 0, v[4:5]
	s_xor_b32 s24, exec_lo, s24
; %bb.6773:                             ;   in Loop: Header=BB6_4897 Depth=2
	v_or_b32_e32 v97, 0x7f, v1
                                        ; implicit-def: $vgpr0
; %bb.6774:                             ;   in Loop: Header=BB6_4897 Depth=2
	s_and_not1_saveexec_b32 s24, s24
; %bb.6775:                             ;   in Loop: Header=BB6_4897 Depth=2
	v_cmp_lt_i32_e32 vcc_lo, -1, v0
	v_cndmask_b32_e32 v97, 0xfc, v104, vcc_lo
; %bb.6776:                             ;   in Loop: Header=BB6_4897 Depth=2
	s_or_b32 exec_lo, exec_lo, s24
.LBB6_6777:                             ;   in Loop: Header=BB6_4897 Depth=2
	s_delay_alu instid0(SALU_CYCLE_1)
	s_or_b32 exec_lo, exec_lo, s7
	v_dual_mov_b32 v1, 0 :: v_dual_mov_b32 v2, 0
	s_mov_b32 s7, exec_lo
	v_cmpx_lt_u64_e64 s[12:13], v[24:25]
	s_cbranch_execz .LBB6_6787
; %bb.6778:                             ;   in Loop: Header=BB6_4897 Depth=2
	v_lshrrev_b32_e32 v0, 24, v25
	v_bfrev_b32_e32 v2, 1
	s_mov_b32 s24, exec_lo
	s_delay_alu instid0(VALU_DEP_2)
	v_cmpx_ne_u32_e32 0x80, v0
	s_cbranch_execz .LBB6_6786
; %bb.6779:                             ;   in Loop: Header=BB6_4897 Depth=2
	v_and_b32_e32 v2, 0x7c000000, v25
	v_bfe_u32 v3, v25, 24, 2
	s_delay_alu instid0(VALU_DEP_2) | instskip(SKIP_1) | instid1(SALU_CYCLE_1)
	v_cmp_ne_u32_e32 vcc_lo, 0x7c000000, v2
                                        ; implicit-def: $vgpr2
	s_and_saveexec_b32 s25, vcc_lo
	s_xor_b32 s25, exec_lo, s25
	s_cbranch_execz .LBB6_6783
; %bb.6780:                             ;   in Loop: Header=BB6_4897 Depth=2
	v_bfe_u32 v2, v25, 26, 5
	s_mov_b32 s26, exec_lo
	s_delay_alu instid0(VALU_DEP_1)
	v_cmpx_eq_u32_e32 0, v2
; %bb.6781:                             ;   in Loop: Header=BB6_4897 Depth=2
	v_clz_i32_u32_e32 v2, v3
	s_delay_alu instid0(VALU_DEP_1) | instskip(NEXT) | instid1(VALU_DEP_1)
	v_min_u32_e32 v2, 32, v2
	v_subrev_nc_u32_e32 v3, 29, v2
	v_sub_nc_u32_e32 v2, 30, v2
	s_delay_alu instid0(VALU_DEP_2) | instskip(NEXT) | instid1(VALU_DEP_1)
	v_lshlrev_b64_e32 v[98:99], v3, v[0:1]
	v_and_b32_e32 v3, 3, v98
; %bb.6782:                             ;   in Loop: Header=BB6_4897 Depth=2
	s_or_b32 exec_lo, exec_lo, s26
	v_and_b32_e32 v0, 0x80000000, v25
                                        ; implicit-def: $vgpr24_vgpr25
	s_delay_alu instid0(VALU_DEP_1) | instskip(NEXT) | instid1(VALU_DEP_1)
	v_lshl_add_u32 v0, v2, 23, v0
	v_lshl_or_b32 v0, v3, 21, v0
                                        ; implicit-def: $vgpr3
	s_delay_alu instid0(VALU_DEP_1)
	v_add_nc_u32_e32 v2, 0x38000000, v0
.LBB6_6783:                             ;   in Loop: Header=BB6_4897 Depth=2
	s_and_not1_saveexec_b32 s25, s25
; %bb.6784:                             ;   in Loop: Header=BB6_4897 Depth=2
	v_cmp_lt_i64_e32 vcc_lo, -1, v[24:25]
	v_cndmask_b32_e32 v0, 0xff800000, v105, vcc_lo
	v_cmp_eq_u32_e32 vcc_lo, 0, v3
	s_delay_alu instid0(VALU_DEP_2)
	v_cndmask_b32_e32 v2, 0x7f800001, v0, vcc_lo
; %bb.6785:                             ;   in Loop: Header=BB6_4897 Depth=2
	s_or_b32 exec_lo, exec_lo, s25
.LBB6_6786:                             ;   in Loop: Header=BB6_4897 Depth=2
	s_delay_alu instid0(SALU_CYCLE_1)
	s_or_b32 exec_lo, exec_lo, s24
.LBB6_6787:                             ;   in Loop: Header=BB6_4897 Depth=2
	s_delay_alu instid0(SALU_CYCLE_1) | instskip(NEXT) | instid1(SALU_CYCLE_1)
	s_or_b32 exec_lo, exec_lo, s7
	s_mov_b32 s7, exec_lo
	v_cmpx_lt_u64_e64 s[12:13], v[20:21]
	s_cbranch_execz .LBB6_6797
; %bb.6788:                             ;   in Loop: Header=BB6_4897 Depth=2
	v_lshrrev_b32_e32 v0, 24, v21
	v_bfrev_b32_e32 v1, 1
	s_mov_b32 s24, exec_lo
	s_delay_alu instid0(VALU_DEP_2)
	v_cmpx_ne_u32_e32 0x80, v0
	s_cbranch_execz .LBB6_6796
; %bb.6789:                             ;   in Loop: Header=BB6_4897 Depth=2
	v_and_b32_e32 v1, 0x7c000000, v21
	v_bfe_u32 v3, v21, 24, 2
	s_delay_alu instid0(VALU_DEP_2) | instskip(SKIP_1) | instid1(SALU_CYCLE_1)
	v_cmp_ne_u32_e32 vcc_lo, 0x7c000000, v1
                                        ; implicit-def: $vgpr1
	s_and_saveexec_b32 s25, vcc_lo
	s_xor_b32 s25, exec_lo, s25
	s_cbranch_execz .LBB6_6793
; %bb.6790:                             ;   in Loop: Header=BB6_4897 Depth=2
	v_bfe_u32 v1, v21, 26, 5
	s_mov_b32 s26, exec_lo
	s_delay_alu instid0(VALU_DEP_1)
	v_cmpx_eq_u32_e32 0, v1
; %bb.6791:                             ;   in Loop: Header=BB6_4897 Depth=2
	v_clz_i32_u32_e32 v1, v3
	s_delay_alu instid0(VALU_DEP_1) | instskip(NEXT) | instid1(VALU_DEP_1)
	v_min_u32_e32 v3, 32, v1
	v_subrev_nc_u32_e32 v1, 29, v3
	s_delay_alu instid0(VALU_DEP_1) | instskip(NEXT) | instid1(VALU_DEP_1)
	v_lshlrev_b64_e32 v[0:1], v1, v[0:1]
	v_dual_sub_nc_u32 v1, 30, v3 :: v_dual_bitop2_b32 v3, 3, v0 bitop3:0x40
; %bb.6792:                             ;   in Loop: Header=BB6_4897 Depth=2
	s_or_b32 exec_lo, exec_lo, s26
	v_and_b32_e32 v0, 0x80000000, v21
                                        ; implicit-def: $vgpr20_vgpr21
	s_delay_alu instid0(VALU_DEP_1) | instskip(NEXT) | instid1(VALU_DEP_1)
	v_lshl_add_u32 v0, v1, 23, v0
	v_lshl_or_b32 v0, v3, 21, v0
                                        ; implicit-def: $vgpr3
	s_delay_alu instid0(VALU_DEP_1)
	v_add_nc_u32_e32 v1, 0x38000000, v0
.LBB6_6793:                             ;   in Loop: Header=BB6_4897 Depth=2
	s_and_not1_saveexec_b32 s25, s25
; %bb.6794:                             ;   in Loop: Header=BB6_4897 Depth=2
	v_cmp_lt_i64_e32 vcc_lo, -1, v[20:21]
	v_cndmask_b32_e32 v0, 0xff800000, v105, vcc_lo
	v_cmp_eq_u32_e32 vcc_lo, 0, v3
	s_delay_alu instid0(VALU_DEP_2)
	v_cndmask_b32_e32 v1, 0x7f800001, v0, vcc_lo
; %bb.6795:                             ;   in Loop: Header=BB6_4897 Depth=2
	s_or_b32 exec_lo, exec_lo, s25
.LBB6_6796:                             ;   in Loop: Header=BB6_4897 Depth=2
	s_delay_alu instid0(SALU_CYCLE_1)
	s_or_b32 exec_lo, exec_lo, s24
.LBB6_6797:                             ;   in Loop: Header=BB6_4897 Depth=2
	s_delay_alu instid0(SALU_CYCLE_1) | instskip(NEXT) | instid1(VALU_DEP_1)
	s_or_b32 exec_lo, exec_lo, s7
	v_dual_mul_f32 v0, v2, v1 :: v_dual_mov_b32 v3, v5
                                        ; implicit-def: $vgpr20
	s_mov_b32 s7, exec_lo
	s_delay_alu instid0(VALU_DEP_1) | instskip(SKIP_2) | instid1(VALU_DEP_3)
	v_and_b32_e32 v2, 0x7f800000, v0
	v_and_b32_e32 v4, 0x7fffff, v0
	v_lshrrev_b32_e32 v1, 24, v0
	v_cmpx_ne_u64_e32 0x7f800000, v[2:3]
	s_xor_b32 s24, exec_lo, s7
	s_cbranch_execz .LBB6_6811
; %bb.6798:                             ;   in Loop: Header=BB6_4897 Depth=2
	v_and_b32_e32 v2, 0x7fffffff, v0
	v_mov_b32_e32 v3, v5
	v_and_b32_e32 v21, 0x80, v1
                                        ; implicit-def: $vgpr20
	s_mov_b32 s7, exec_lo
	s_delay_alu instid0(VALU_DEP_2)
	v_cmpx_gt_u64_e32 0x47600001, v[2:3]
	s_xor_b32 s25, exec_lo, s7
	s_cbranch_execz .LBB6_6808
; %bb.6799:                             ;   in Loop: Header=BB6_4897 Depth=2
	v_mov_b32_e32 v20, 0
	s_mov_b32 s26, exec_lo
	v_cmpx_ne_u32_e32 0, v0
	s_cbranch_execz .LBB6_6807
; %bb.6800:                             ;   in Loop: Header=BB6_4897 Depth=2
	v_bfe_u32 v20, v0, 23, 8
	v_or_b32_e32 v1, 0x800000, v4
	s_delay_alu instid0(VALU_DEP_2) | instskip(SKIP_2) | instid1(VALU_DEP_2)
	v_cmp_gt_u32_e64 s7, 0x72, v20
	v_sub_nc_u32_e32 v0, 0x71, v20
	v_cmp_eq_u32_e32 vcc_lo, 0, v20
	v_cndmask_b32_e64 v0, 0, v0, s7
	s_delay_alu instid0(VALU_DEP_1) | instskip(SKIP_1) | instid1(VALU_DEP_2)
	v_cndmask_b32_e64 v24, v0, 0x70, vcc_lo
	v_cndmask_b32_e32 v0, v1, v4, vcc_lo
	v_dual_mov_b32 v1, v5 :: v_dual_add_nc_u32 v2, 21, v24
	v_add_nc_u32_e32 v4, 20, v24
	s_delay_alu instid0(VALU_DEP_2) | instskip(NEXT) | instid1(VALU_DEP_2)
	v_lshlrev_b64_e64 v[2:3], v2, -1
	v_lshlrev_b64_e64 v[98:99], v4, 1
	s_delay_alu instid0(VALU_DEP_2) | instskip(SKIP_1) | instid1(VALU_DEP_4)
	v_bfi_b32 v2, v2, 0, v0
	v_lshrrev_b64 v[0:1], v24, v[0:1]
	v_bfi_b32 v3, v3, 0, 0
	s_delay_alu instid0(VALU_DEP_1) | instskip(NEXT) | instid1(VALU_DEP_3)
	v_cmp_eq_u64_e64 s7, v[2:3], v[98:99]
	v_mov_b64_e32 v[2:3], v[0:1]
	s_and_saveexec_b32 s27, s7
; %bb.6801:                             ;   in Loop: Header=BB6_4897 Depth=2
	v_bfe_u32 v2, v0, 21, 1
	v_mov_b32_e32 v3, v5
	s_delay_alu instid0(VALU_DEP_1) | instskip(NEXT) | instid1(VALU_DEP_1)
	v_add_nc_u64_e32 v[2:3], v[0:1], v[2:3]
	v_add_nc_u64_e32 v[2:3], -1, v[2:3]
; %bb.6802:                             ;   in Loop: Header=BB6_4897 Depth=2
	s_or_b32 exec_lo, exec_lo, s27
	v_add_nc_u32_e32 v1, 0xffffff81, v20
	v_lshrrev_b32_e32 v3, 23, v0
	s_mov_b32 s7, exec_lo
	s_delay_alu instid0(VALU_DEP_2) | instskip(NEXT) | instid1(VALU_DEP_1)
	v_cndmask_b32_e64 v1, v1, 0xffffff82, vcc_lo
	v_add3_u32 v3, v24, v1, v3
	v_and_b32_e32 v1, 0x1fffff, v2
                                        ; implicit-def: $vgpr2
	s_delay_alu instid0(VALU_DEP_1) | instskip(NEXT) | instid1(VALU_DEP_1)
	v_dual_add_nc_u32 v20, 14, v3 :: v_dual_add_nc_u32 v4, v1, v0
                                        ; implicit-def: $vgpr0_vgpr1
	v_cmpx_ne_u32_e32 0, v20
	s_xor_b32 s7, exec_lo, s7
; %bb.6803:                             ;   in Loop: Header=BB6_4897 Depth=2
	s_delay_alu instid0(VALU_DEP_2) | instskip(SKIP_1) | instid1(VALU_DEP_1)
	v_cmp_lt_u64_e32 vcc_lo, 0xffffff, v[4:5]
	v_add_nc_u32_e32 v0, 15, v3
	v_cndmask_b32_e32 v2, v20, v0, vcc_lo
	v_cndmask_b32_e64 v0, 0, 1, vcc_lo
	s_delay_alu instid0(VALU_DEP_1)
	v_lshrrev_b64 v[0:1], v0, v[4:5]
; %bb.6804:                             ;   in Loop: Header=BB6_4897 Depth=2
	s_and_not1_saveexec_b32 s7, s7
; %bb.6805:                             ;   in Loop: Header=BB6_4897 Depth=2
	v_mov_b64_e32 v[0:1], v[4:5]
	v_bfe_u32 v2, v4, 23, 1
; %bb.6806:                             ;   in Loop: Header=BB6_4897 Depth=2
	s_or_b32 exec_lo, exec_lo, s7
	s_delay_alu instid0(VALU_DEP_2) | instskip(NEXT) | instid1(VALU_DEP_2)
	v_lshrrev_b64 v[0:1], 21, v[0:1]
	v_cmp_gt_i32_e32 vcc_lo, 32, v2
	v_min_i32_e32 v3, 31, v2
	v_cmp_eq_u32_e64 s7, 0, v2
	s_delay_alu instid0(VALU_DEP_2) | instskip(SKIP_1) | instid1(VALU_DEP_2)
	v_dual_cndmask_b32 v1, 0, v1, vcc_lo :: v_dual_lshlrev_b32 v3, 2, v3
	v_cndmask_b32_e32 v0, 3, v0, vcc_lo
	v_and_b32_e32 v3, 0xfc, v3
	s_delay_alu instid0(VALU_DEP_2) | instskip(NEXT) | instid1(VALU_DEP_2)
	v_cmp_eq_u64_e32 vcc_lo, 0, v[0:1]
	v_and_or_b32 v0, v0, 3, v3
	s_and_b32 s7, s7, vcc_lo
	s_delay_alu instid0(VALU_DEP_1) | instid1(SALU_CYCLE_1)
	v_cndmask_b32_e64 v0, v0, 0, s7
	s_delay_alu instid0(VALU_DEP_1)
	v_or_b32_e32 v20, v0, v21
.LBB6_6807:                             ;   in Loop: Header=BB6_4897 Depth=2
	s_or_b32 exec_lo, exec_lo, s26
                                        ; implicit-def: $vgpr21
.LBB6_6808:                             ;   in Loop: Header=BB6_4897 Depth=2
	s_and_not1_saveexec_b32 s7, s25
; %bb.6809:                             ;   in Loop: Header=BB6_4897 Depth=2
	v_or_b32_e32 v20, 0x7b, v21
; %bb.6810:                             ;   in Loop: Header=BB6_4897 Depth=2
	s_or_b32 exec_lo, exec_lo, s7
                                        ; implicit-def: $vgpr0
                                        ; implicit-def: $vgpr1
.LBB6_6811:                             ;   in Loop: Header=BB6_4897 Depth=2
	s_and_not1_saveexec_b32 s7, s24
	s_cbranch_execz .LBB6_6817
; %bb.6812:                             ;   in Loop: Header=BB6_4897 Depth=2
	s_mov_b32 s24, exec_lo
                                        ; implicit-def: $vgpr20
	v_cmpx_ne_u64_e32 0, v[4:5]
	s_xor_b32 s24, exec_lo, s24
; %bb.6813:                             ;   in Loop: Header=BB6_4897 Depth=2
	v_or_b32_e32 v20, 0x7f, v1
                                        ; implicit-def: $vgpr0
; %bb.6814:                             ;   in Loop: Header=BB6_4897 Depth=2
	s_and_not1_saveexec_b32 s24, s24
; %bb.6815:                             ;   in Loop: Header=BB6_4897 Depth=2
	v_cmp_lt_i32_e32 vcc_lo, -1, v0
	v_cndmask_b32_e32 v20, 0xfc, v104, vcc_lo
; %bb.6816:                             ;   in Loop: Header=BB6_4897 Depth=2
	s_or_b32 exec_lo, exec_lo, s24
.LBB6_6817:                             ;   in Loop: Header=BB6_4897 Depth=2
	s_delay_alu instid0(SALU_CYCLE_1) | instskip(SKIP_2) | instid1(VALU_DEP_2)
	s_or_b32 exec_lo, exec_lo, s7
	v_and_b32_e32 v1, 0xff, v14
	v_mov_b32_e32 v0, 0
	v_cmp_ne_u16_e32 vcc_lo, 0, v1
	v_mov_b32_e32 v1, 0
	s_and_saveexec_b32 s7, vcc_lo
	s_cbranch_execz .LBB6_6827
; %bb.6818:                             ;   in Loop: Header=BB6_4897 Depth=2
	v_bfe_i32 v3, v14, 0, 8
	v_bfrev_b32_e32 v1, 1
	s_mov_b32 s24, exec_lo
	s_delay_alu instid0(VALU_DEP_2)
	v_cmpx_ne_u16_e32 0xff80, v3
	s_cbranch_execz .LBB6_6826
; %bb.6819:                             ;   in Loop: Header=BB6_4897 Depth=2
	v_and_b32_e32 v1, 0x7c, v14
	v_and_b32_e32 v2, 3, v14
	s_delay_alu instid0(VALU_DEP_2) | instskip(SKIP_1) | instid1(SALU_CYCLE_1)
	v_cmp_ne_u32_e32 vcc_lo, 0x7c, v1
                                        ; implicit-def: $vgpr1
	s_and_saveexec_b32 s25, vcc_lo
	s_xor_b32 s25, exec_lo, s25
	s_cbranch_execz .LBB6_6823
; %bb.6820:                             ;   in Loop: Header=BB6_4897 Depth=2
	v_bfe_u32 v1, v14, 2, 5
	s_mov_b32 s26, exec_lo
	s_delay_alu instid0(VALU_DEP_1)
	v_cmpx_eq_u32_e32 0, v1
; %bb.6821:                             ;   in Loop: Header=BB6_4897 Depth=2
	v_clz_i32_u32_e32 v1, v2
	s_delay_alu instid0(VALU_DEP_1) | instskip(NEXT) | instid1(VALU_DEP_1)
	v_min_u32_e32 v1, 32, v1
	v_subrev_nc_u32_e32 v2, 29, v1
	s_delay_alu instid0(VALU_DEP_1) | instskip(NEXT) | instid1(VALU_DEP_1)
	v_lshlrev_b64_e32 v[2:3], v2, v[14:15]
	v_dual_sub_nc_u32 v1, 30, v1 :: v_dual_bitop2_b32 v2, 3, v2 bitop3:0x40
; %bb.6822:                             ;   in Loop: Header=BB6_4897 Depth=2
	s_or_b32 exec_lo, exec_lo, s26
	v_lshlrev_b32_e32 v3, 24, v14
	s_delay_alu instid0(VALU_DEP_1) | instskip(NEXT) | instid1(VALU_DEP_1)
	v_and_b32_e32 v3, 0x80000000, v3
	v_lshl_add_u32 v1, v1, 23, v3
                                        ; implicit-def: $vgpr3
	s_delay_alu instid0(VALU_DEP_1) | instskip(NEXT) | instid1(VALU_DEP_1)
	v_lshl_or_b32 v1, v2, 21, v1
                                        ; implicit-def: $vgpr2
	v_add_nc_u32_e32 v1, 0x38000000, v1
.LBB6_6823:                             ;   in Loop: Header=BB6_4897 Depth=2
	s_and_not1_saveexec_b32 s25, s25
; %bb.6824:                             ;   in Loop: Header=BB6_4897 Depth=2
	v_cmp_lt_i16_e32 vcc_lo, -1, v3
	v_cndmask_b32_e32 v1, 0xff800000, v105, vcc_lo
	v_cmp_eq_u32_e32 vcc_lo, 0, v2
	s_delay_alu instid0(VALU_DEP_2)
	v_cndmask_b32_e32 v1, 0x7f800001, v1, vcc_lo
; %bb.6825:                             ;   in Loop: Header=BB6_4897 Depth=2
	s_or_b32 exec_lo, exec_lo, s25
.LBB6_6826:                             ;   in Loop: Header=BB6_4897 Depth=2
	s_delay_alu instid0(SALU_CYCLE_1)
	s_or_b32 exec_lo, exec_lo, s24
.LBB6_6827:                             ;   in Loop: Header=BB6_4897 Depth=2
	s_delay_alu instid0(SALU_CYCLE_1) | instskip(SKIP_3) | instid1(VALU_DEP_1)
	s_or_b32 exec_lo, exec_lo, s7
	s_wait_loadcnt 0x0
	v_and_b32_e32 v2, 0xff, v10
	s_mov_b32 s7, exec_lo
	v_cmpx_ne_u16_e32 0, v2
	s_cbranch_execz .LBB6_6837
; %bb.6828:                             ;   in Loop: Header=BB6_4897 Depth=2
	v_bfe_i32 v3, v10, 0, 8
	v_bfrev_b32_e32 v0, 1
	s_mov_b32 s24, exec_lo
	s_delay_alu instid0(VALU_DEP_2)
	v_cmpx_ne_u16_e32 0xff80, v3
	s_cbranch_execz .LBB6_6836
; %bb.6829:                             ;   in Loop: Header=BB6_4897 Depth=2
	v_and_b32_e32 v0, 0x7c, v10
	v_and_b32_e32 v2, 3, v10
	s_delay_alu instid0(VALU_DEP_2) | instskip(SKIP_1) | instid1(SALU_CYCLE_1)
	v_cmp_ne_u32_e32 vcc_lo, 0x7c, v0
                                        ; implicit-def: $vgpr0
	s_and_saveexec_b32 s25, vcc_lo
	s_xor_b32 s25, exec_lo, s25
	s_cbranch_execz .LBB6_6833
; %bb.6830:                             ;   in Loop: Header=BB6_4897 Depth=2
	v_bfe_u32 v0, v10, 2, 5
	s_mov_b32 s26, exec_lo
	s_delay_alu instid0(VALU_DEP_1)
	v_cmpx_eq_u32_e32 0, v0
; %bb.6831:                             ;   in Loop: Header=BB6_4897 Depth=2
	v_clz_i32_u32_e32 v0, v2
	s_delay_alu instid0(VALU_DEP_1) | instskip(NEXT) | instid1(VALU_DEP_1)
	v_min_u32_e32 v0, 32, v0
	v_subrev_nc_u32_e32 v2, 29, v0
	s_delay_alu instid0(VALU_DEP_1) | instskip(NEXT) | instid1(VALU_DEP_1)
	v_lshlrev_b64_e32 v[2:3], v2, v[10:11]
	v_dual_sub_nc_u32 v0, 30, v0 :: v_dual_bitop2_b32 v2, 3, v2 bitop3:0x40
; %bb.6832:                             ;   in Loop: Header=BB6_4897 Depth=2
	s_or_b32 exec_lo, exec_lo, s26
	v_lshlrev_b32_e32 v3, 24, v10
	s_delay_alu instid0(VALU_DEP_1) | instskip(NEXT) | instid1(VALU_DEP_1)
	v_and_b32_e32 v3, 0x80000000, v3
	v_lshl_add_u32 v0, v0, 23, v3
                                        ; implicit-def: $vgpr3
	s_delay_alu instid0(VALU_DEP_1) | instskip(NEXT) | instid1(VALU_DEP_1)
	v_lshl_or_b32 v0, v2, 21, v0
                                        ; implicit-def: $vgpr2
	v_add_nc_u32_e32 v0, 0x38000000, v0
.LBB6_6833:                             ;   in Loop: Header=BB6_4897 Depth=2
	s_and_not1_saveexec_b32 s25, s25
; %bb.6834:                             ;   in Loop: Header=BB6_4897 Depth=2
	v_cmp_lt_i16_e32 vcc_lo, -1, v3
	v_cndmask_b32_e32 v0, 0xff800000, v105, vcc_lo
	v_cmp_eq_u32_e32 vcc_lo, 0, v2
	s_delay_alu instid0(VALU_DEP_2)
	v_cndmask_b32_e32 v0, 0x7f800001, v0, vcc_lo
; %bb.6835:                             ;   in Loop: Header=BB6_4897 Depth=2
	s_or_b32 exec_lo, exec_lo, s25
.LBB6_6836:                             ;   in Loop: Header=BB6_4897 Depth=2
	s_delay_alu instid0(SALU_CYCLE_1)
	s_or_b32 exec_lo, exec_lo, s24
.LBB6_6837:                             ;   in Loop: Header=BB6_4897 Depth=2
	s_delay_alu instid0(SALU_CYCLE_1) | instskip(NEXT) | instid1(VALU_DEP_1)
	s_or_b32 exec_lo, exec_lo, s7
	v_mul_f32_e32 v0, v1, v0
	v_mov_b32_e32 v3, v5
                                        ; implicit-def: $vgpr21
	s_mov_b32 s7, exec_lo
	s_delay_alu instid0(VALU_DEP_2) | instskip(SKIP_2) | instid1(VALU_DEP_3)
	v_and_b32_e32 v2, 0x7f800000, v0
	v_and_b32_e32 v4, 0x7fffff, v0
	v_lshrrev_b32_e32 v1, 24, v0
	v_cmpx_ne_u64_e32 0x7f800000, v[2:3]
	s_xor_b32 s24, exec_lo, s7
	s_cbranch_execz .LBB6_6851
; %bb.6838:                             ;   in Loop: Header=BB6_4897 Depth=2
	v_and_b32_e32 v2, 0x7fffffff, v0
	v_mov_b32_e32 v3, v5
	v_and_b32_e32 v24, 0x80, v1
                                        ; implicit-def: $vgpr21
	s_mov_b32 s7, exec_lo
	s_delay_alu instid0(VALU_DEP_2)
	v_cmpx_gt_u64_e32 0x47600001, v[2:3]
	s_xor_b32 s25, exec_lo, s7
	s_cbranch_execz .LBB6_6848
; %bb.6839:                             ;   in Loop: Header=BB6_4897 Depth=2
	v_mov_b32_e32 v21, 0
	s_mov_b32 s26, exec_lo
	v_cmpx_ne_u32_e32 0, v0
	s_cbranch_execz .LBB6_6847
; %bb.6840:                             ;   in Loop: Header=BB6_4897 Depth=2
	v_bfe_u32 v21, v0, 23, 8
	v_or_b32_e32 v1, 0x800000, v4
	s_delay_alu instid0(VALU_DEP_2) | instskip(SKIP_2) | instid1(VALU_DEP_2)
	v_cmp_gt_u32_e64 s7, 0x72, v21
	v_sub_nc_u32_e32 v0, 0x71, v21
	v_cmp_eq_u32_e32 vcc_lo, 0, v21
	v_cndmask_b32_e64 v0, 0, v0, s7
	s_delay_alu instid0(VALU_DEP_1) | instskip(SKIP_1) | instid1(VALU_DEP_2)
	v_cndmask_b32_e64 v25, v0, 0x70, vcc_lo
	v_cndmask_b32_e32 v0, v1, v4, vcc_lo
	v_dual_mov_b32 v1, v5 :: v_dual_add_nc_u32 v2, 21, v25
	v_add_nc_u32_e32 v4, 20, v25
	s_delay_alu instid0(VALU_DEP_2) | instskip(NEXT) | instid1(VALU_DEP_2)
	v_lshlrev_b64_e64 v[2:3], v2, -1
	v_lshlrev_b64_e64 v[98:99], v4, 1
	s_delay_alu instid0(VALU_DEP_2) | instskip(SKIP_1) | instid1(VALU_DEP_4)
	v_bfi_b32 v2, v2, 0, v0
	v_lshrrev_b64 v[0:1], v25, v[0:1]
	v_bfi_b32 v3, v3, 0, 0
	s_delay_alu instid0(VALU_DEP_1) | instskip(NEXT) | instid1(VALU_DEP_3)
	v_cmp_eq_u64_e64 s7, v[2:3], v[98:99]
	v_mov_b64_e32 v[2:3], v[0:1]
	s_and_saveexec_b32 s27, s7
; %bb.6841:                             ;   in Loop: Header=BB6_4897 Depth=2
	v_bfe_u32 v2, v0, 21, 1
	v_mov_b32_e32 v3, v5
	s_delay_alu instid0(VALU_DEP_1) | instskip(NEXT) | instid1(VALU_DEP_1)
	v_add_nc_u64_e32 v[2:3], v[0:1], v[2:3]
	v_add_nc_u64_e32 v[2:3], -1, v[2:3]
; %bb.6842:                             ;   in Loop: Header=BB6_4897 Depth=2
	s_or_b32 exec_lo, exec_lo, s27
	v_add_nc_u32_e32 v1, 0xffffff81, v21
	v_lshrrev_b32_e32 v3, 23, v0
	s_mov_b32 s7, exec_lo
	s_delay_alu instid0(VALU_DEP_2) | instskip(NEXT) | instid1(VALU_DEP_1)
	v_cndmask_b32_e64 v1, v1, 0xffffff82, vcc_lo
	v_add3_u32 v3, v25, v1, v3
	v_and_b32_e32 v1, 0x1fffff, v2
                                        ; implicit-def: $vgpr2
	s_delay_alu instid0(VALU_DEP_1) | instskip(NEXT) | instid1(VALU_DEP_1)
	v_dual_add_nc_u32 v21, 14, v3 :: v_dual_add_nc_u32 v4, v1, v0
                                        ; implicit-def: $vgpr0_vgpr1
	v_cmpx_ne_u32_e32 0, v21
	s_xor_b32 s7, exec_lo, s7
; %bb.6843:                             ;   in Loop: Header=BB6_4897 Depth=2
	s_delay_alu instid0(VALU_DEP_2) | instskip(SKIP_1) | instid1(VALU_DEP_1)
	v_cmp_lt_u64_e32 vcc_lo, 0xffffff, v[4:5]
	v_add_nc_u32_e32 v0, 15, v3
	v_cndmask_b32_e32 v2, v21, v0, vcc_lo
	v_cndmask_b32_e64 v0, 0, 1, vcc_lo
	s_delay_alu instid0(VALU_DEP_1)
	v_lshrrev_b64 v[0:1], v0, v[4:5]
; %bb.6844:                             ;   in Loop: Header=BB6_4897 Depth=2
	s_and_not1_saveexec_b32 s7, s7
; %bb.6845:                             ;   in Loop: Header=BB6_4897 Depth=2
	v_mov_b64_e32 v[0:1], v[4:5]
	v_bfe_u32 v2, v4, 23, 1
; %bb.6846:                             ;   in Loop: Header=BB6_4897 Depth=2
	s_or_b32 exec_lo, exec_lo, s7
	s_delay_alu instid0(VALU_DEP_2) | instskip(NEXT) | instid1(VALU_DEP_2)
	v_lshrrev_b64 v[0:1], 21, v[0:1]
	v_cmp_gt_i32_e32 vcc_lo, 32, v2
	v_min_i32_e32 v3, 31, v2
	v_cmp_eq_u32_e64 s7, 0, v2
	s_delay_alu instid0(VALU_DEP_2) | instskip(SKIP_1) | instid1(VALU_DEP_2)
	v_dual_cndmask_b32 v1, 0, v1, vcc_lo :: v_dual_lshlrev_b32 v3, 2, v3
	v_cndmask_b32_e32 v0, 3, v0, vcc_lo
	v_and_b32_e32 v3, 0xfc, v3
	s_delay_alu instid0(VALU_DEP_2) | instskip(NEXT) | instid1(VALU_DEP_2)
	v_cmp_eq_u64_e32 vcc_lo, 0, v[0:1]
	v_and_or_b32 v0, v0, 3, v3
	s_and_b32 s7, s7, vcc_lo
	s_delay_alu instid0(VALU_DEP_1) | instid1(SALU_CYCLE_1)
	v_cndmask_b32_e64 v0, v0, 0, s7
	s_delay_alu instid0(VALU_DEP_1)
	v_or_b32_e32 v21, v0, v24
.LBB6_6847:                             ;   in Loop: Header=BB6_4897 Depth=2
	s_or_b32 exec_lo, exec_lo, s26
                                        ; implicit-def: $vgpr24
.LBB6_6848:                             ;   in Loop: Header=BB6_4897 Depth=2
	s_and_not1_saveexec_b32 s7, s25
; %bb.6849:                             ;   in Loop: Header=BB6_4897 Depth=2
	v_or_b32_e32 v21, 0x7b, v24
; %bb.6850:                             ;   in Loop: Header=BB6_4897 Depth=2
	s_or_b32 exec_lo, exec_lo, s7
                                        ; implicit-def: $vgpr0
                                        ; implicit-def: $vgpr1
.LBB6_6851:                             ;   in Loop: Header=BB6_4897 Depth=2
	s_and_not1_saveexec_b32 s7, s24
	s_cbranch_execz .LBB6_6857
; %bb.6852:                             ;   in Loop: Header=BB6_4897 Depth=2
	s_mov_b32 s24, exec_lo
                                        ; implicit-def: $vgpr21
	v_cmpx_ne_u64_e32 0, v[4:5]
	s_xor_b32 s24, exec_lo, s24
; %bb.6853:                             ;   in Loop: Header=BB6_4897 Depth=2
	v_or_b32_e32 v21, 0x7f, v1
                                        ; implicit-def: $vgpr0
; %bb.6854:                             ;   in Loop: Header=BB6_4897 Depth=2
	s_and_not1_saveexec_b32 s24, s24
; %bb.6855:                             ;   in Loop: Header=BB6_4897 Depth=2
	v_cmp_lt_i32_e32 vcc_lo, -1, v0
	v_cndmask_b32_e32 v21, 0xfc, v104, vcc_lo
; %bb.6856:                             ;   in Loop: Header=BB6_4897 Depth=2
	s_or_b32 exec_lo, exec_lo, s24
.LBB6_6857:                             ;   in Loop: Header=BB6_4897 Depth=2
	s_delay_alu instid0(SALU_CYCLE_1) | instskip(SKIP_3) | instid1(VALU_DEP_2)
	s_or_b32 exec_lo, exec_lo, s7
	v_lshrrev_b16 v0, 8, v14
	v_dual_mov_b32 v2, 0 :: v_dual_mov_b32 v3, 0
	s_mov_b32 s7, exec_lo
	v_cmpx_ne_u16_e32 0, v0
	s_cbranch_execz .LBB6_6867
; %bb.6858:                             ;   in Loop: Header=BB6_4897 Depth=2
	v_bfrev_b32_e32 v3, 1
	s_mov_b32 s24, exec_lo
	v_cmpx_ne_u16_e32 0x80, v0
	s_cbranch_execz .LBB6_6866
; %bb.6859:                             ;   in Loop: Header=BB6_4897 Depth=2
	v_and_b32_e32 v4, 0xffff, v0
	s_delay_alu instid0(VALU_DEP_1) | instskip(SKIP_1) | instid1(VALU_DEP_2)
	v_and_b32_e32 v3, 0x7c, v4
	v_and_b32_e32 v1, 3, v4
	v_cmp_ne_u32_e32 vcc_lo, 0x7c, v3
                                        ; implicit-def: $vgpr3
	s_and_saveexec_b32 s25, vcc_lo
	s_delay_alu instid0(SALU_CYCLE_1)
	s_xor_b32 s25, exec_lo, s25
	s_cbranch_execz .LBB6_6863
; %bb.6860:                             ;   in Loop: Header=BB6_4897 Depth=2
	v_bfe_u32 v3, v4, 2, 5
	s_mov_b32 s26, exec_lo
	s_delay_alu instid0(VALU_DEP_1)
	v_cmpx_eq_u32_e32 0, v3
	s_cbranch_execz .LBB6_6862
; %bb.6861:                             ;   in Loop: Header=BB6_4897 Depth=2
	v_clz_i32_u32_e32 v1, v1
	s_delay_alu instid0(VALU_DEP_1) | instskip(SKIP_1) | instid1(VALU_DEP_2)
	v_min_u32_e32 v3, 32, v1
	v_mov_b32_e32 v1, v5
	v_subrev_nc_u32_e32 v4, 29, v3
	v_sub_nc_u32_e32 v3, 30, v3
	s_delay_alu instid0(VALU_DEP_2) | instskip(NEXT) | instid1(VALU_DEP_1)
	v_lshlrev_b64_e32 v[0:1], v4, v[0:1]
	v_and_b32_e32 v1, 3, v0
.LBB6_6862:                             ;   in Loop: Header=BB6_4897 Depth=2
	s_or_b32 exec_lo, exec_lo, s26
	v_lshlrev_b32_e32 v0, 16, v14
	s_delay_alu instid0(VALU_DEP_1) | instskip(NEXT) | instid1(VALU_DEP_1)
	v_and_b32_e32 v0, 0x80000000, v0
	v_lshl_add_u32 v0, v3, 23, v0
	s_delay_alu instid0(VALU_DEP_1) | instskip(NEXT) | instid1(VALU_DEP_1)
	v_lshl_or_b32 v0, v1, 21, v0
                                        ; implicit-def: $vgpr1
	v_add_nc_u32_e32 v3, 0x38000000, v0
.LBB6_6863:                             ;   in Loop: Header=BB6_4897 Depth=2
	s_and_not1_saveexec_b32 s25, s25
; %bb.6864:                             ;   in Loop: Header=BB6_4897 Depth=2
	v_cmp_lt_i16_e32 vcc_lo, -1, v14
	v_cndmask_b32_e32 v0, 0xff800000, v105, vcc_lo
	v_cmp_eq_u32_e32 vcc_lo, 0, v1
	s_delay_alu instid0(VALU_DEP_2)
	v_cndmask_b32_e32 v3, 0x7f800001, v0, vcc_lo
; %bb.6865:                             ;   in Loop: Header=BB6_4897 Depth=2
	s_or_b32 exec_lo, exec_lo, s25
.LBB6_6866:                             ;   in Loop: Header=BB6_4897 Depth=2
	s_delay_alu instid0(SALU_CYCLE_1)
	s_or_b32 exec_lo, exec_lo, s24
.LBB6_6867:                             ;   in Loop: Header=BB6_4897 Depth=2
	s_delay_alu instid0(SALU_CYCLE_1) | instskip(SKIP_2) | instid1(VALU_DEP_1)
	s_or_b32 exec_lo, exec_lo, s7
	v_lshrrev_b16 v0, 8, v10
	s_mov_b32 s7, exec_lo
	v_cmpx_ne_u16_e32 0, v0
	s_cbranch_execz .LBB6_6877
; %bb.6868:                             ;   in Loop: Header=BB6_4897 Depth=2
	v_bfrev_b32_e32 v2, 1
	s_mov_b32 s24, exec_lo
	v_cmpx_ne_u16_e32 0x80, v0
	s_cbranch_execz .LBB6_6876
; %bb.6869:                             ;   in Loop: Header=BB6_4897 Depth=2
	v_and_b32_e32 v4, 0xffff, v0
	s_delay_alu instid0(VALU_DEP_1) | instskip(SKIP_1) | instid1(VALU_DEP_2)
	v_and_b32_e32 v2, 0x7c, v4
	v_and_b32_e32 v1, 3, v4
	v_cmp_ne_u32_e32 vcc_lo, 0x7c, v2
                                        ; implicit-def: $vgpr2
	s_and_saveexec_b32 s25, vcc_lo
	s_delay_alu instid0(SALU_CYCLE_1)
	s_xor_b32 s25, exec_lo, s25
	s_cbranch_execz .LBB6_6873
; %bb.6870:                             ;   in Loop: Header=BB6_4897 Depth=2
	v_bfe_u32 v2, v4, 2, 5
	s_mov_b32 s26, exec_lo
	s_delay_alu instid0(VALU_DEP_1)
	v_cmpx_eq_u32_e32 0, v2
	s_cbranch_execz .LBB6_6872
; %bb.6871:                             ;   in Loop: Header=BB6_4897 Depth=2
	v_clz_i32_u32_e32 v1, v1
	s_delay_alu instid0(VALU_DEP_1) | instskip(SKIP_1) | instid1(VALU_DEP_2)
	v_min_u32_e32 v2, 32, v1
	v_mov_b32_e32 v1, v5
	v_subrev_nc_u32_e32 v4, 29, v2
	v_sub_nc_u32_e32 v2, 30, v2
	s_delay_alu instid0(VALU_DEP_2) | instskip(NEXT) | instid1(VALU_DEP_1)
	v_lshlrev_b64_e32 v[0:1], v4, v[0:1]
	v_and_b32_e32 v1, 3, v0
.LBB6_6872:                             ;   in Loop: Header=BB6_4897 Depth=2
	s_or_b32 exec_lo, exec_lo, s26
	v_lshlrev_b32_e32 v0, 16, v10
	s_delay_alu instid0(VALU_DEP_1) | instskip(NEXT) | instid1(VALU_DEP_1)
	v_and_b32_e32 v0, 0x80000000, v0
	v_lshl_add_u32 v0, v2, 23, v0
	s_delay_alu instid0(VALU_DEP_1) | instskip(NEXT) | instid1(VALU_DEP_1)
	v_lshl_or_b32 v0, v1, 21, v0
                                        ; implicit-def: $vgpr1
	v_add_nc_u32_e32 v2, 0x38000000, v0
.LBB6_6873:                             ;   in Loop: Header=BB6_4897 Depth=2
	s_and_not1_saveexec_b32 s25, s25
; %bb.6874:                             ;   in Loop: Header=BB6_4897 Depth=2
	v_cmp_lt_i16_e32 vcc_lo, -1, v10
	v_cndmask_b32_e32 v0, 0xff800000, v105, vcc_lo
	v_cmp_eq_u32_e32 vcc_lo, 0, v1
	s_delay_alu instid0(VALU_DEP_2)
	v_cndmask_b32_e32 v2, 0x7f800001, v0, vcc_lo
; %bb.6875:                             ;   in Loop: Header=BB6_4897 Depth=2
	s_or_b32 exec_lo, exec_lo, s25
.LBB6_6876:                             ;   in Loop: Header=BB6_4897 Depth=2
	s_delay_alu instid0(SALU_CYCLE_1)
	s_or_b32 exec_lo, exec_lo, s24
.LBB6_6877:                             ;   in Loop: Header=BB6_4897 Depth=2
	s_delay_alu instid0(SALU_CYCLE_1) | instskip(NEXT) | instid1(VALU_DEP_1)
	s_or_b32 exec_lo, exec_lo, s7
	v_dual_mul_f32 v0, v3, v2 :: v_dual_mov_b32 v3, v5
                                        ; implicit-def: $vgpr24
	s_mov_b32 s7, exec_lo
	s_delay_alu instid0(VALU_DEP_1) | instskip(SKIP_2) | instid1(VALU_DEP_3)
	v_and_b32_e32 v2, 0x7f800000, v0
	v_and_b32_e32 v4, 0x7fffff, v0
	v_lshrrev_b32_e32 v1, 24, v0
	v_cmpx_ne_u64_e32 0x7f800000, v[2:3]
	s_xor_b32 s24, exec_lo, s7
	s_cbranch_execz .LBB6_6891
; %bb.6878:                             ;   in Loop: Header=BB6_4897 Depth=2
	v_and_b32_e32 v2, 0x7fffffff, v0
	v_mov_b32_e32 v3, v5
	v_and_b32_e32 v25, 0x80, v1
                                        ; implicit-def: $vgpr24
	s_mov_b32 s7, exec_lo
	s_delay_alu instid0(VALU_DEP_2)
	v_cmpx_gt_u64_e32 0x47600001, v[2:3]
	s_xor_b32 s25, exec_lo, s7
	s_cbranch_execz .LBB6_6888
; %bb.6879:                             ;   in Loop: Header=BB6_4897 Depth=2
	v_mov_b32_e32 v24, 0
	s_mov_b32 s26, exec_lo
	v_cmpx_ne_u32_e32 0, v0
	s_cbranch_execz .LBB6_6887
; %bb.6880:                             ;   in Loop: Header=BB6_4897 Depth=2
	v_bfe_u32 v24, v0, 23, 8
	v_or_b32_e32 v1, 0x800000, v4
	s_delay_alu instid0(VALU_DEP_2) | instskip(SKIP_2) | instid1(VALU_DEP_2)
	v_cmp_gt_u32_e64 s7, 0x72, v24
	v_sub_nc_u32_e32 v0, 0x71, v24
	v_cmp_eq_u32_e32 vcc_lo, 0, v24
	v_cndmask_b32_e64 v0, 0, v0, s7
	s_delay_alu instid0(VALU_DEP_1) | instskip(SKIP_1) | instid1(VALU_DEP_2)
	v_cndmask_b32_e64 v98, v0, 0x70, vcc_lo
	v_cndmask_b32_e32 v0, v1, v4, vcc_lo
	v_dual_mov_b32 v1, v5 :: v_dual_add_nc_u32 v2, 21, v98
	v_add_nc_u32_e32 v4, 20, v98
	s_delay_alu instid0(VALU_DEP_2) | instskip(NEXT) | instid1(VALU_DEP_2)
	v_lshlrev_b64_e64 v[2:3], v2, -1
	v_lshlrev_b64_e64 v[100:101], v4, 1
	s_delay_alu instid0(VALU_DEP_2) | instskip(SKIP_1) | instid1(VALU_DEP_4)
	v_bfi_b32 v2, v2, 0, v0
	v_lshrrev_b64 v[0:1], v98, v[0:1]
	v_bfi_b32 v3, v3, 0, 0
	s_delay_alu instid0(VALU_DEP_1) | instskip(NEXT) | instid1(VALU_DEP_3)
	v_cmp_eq_u64_e64 s7, v[2:3], v[100:101]
	v_mov_b64_e32 v[2:3], v[0:1]
	s_and_saveexec_b32 s27, s7
; %bb.6881:                             ;   in Loop: Header=BB6_4897 Depth=2
	v_bfe_u32 v2, v0, 21, 1
	v_mov_b32_e32 v3, v5
	s_delay_alu instid0(VALU_DEP_1) | instskip(NEXT) | instid1(VALU_DEP_1)
	v_add_nc_u64_e32 v[2:3], v[0:1], v[2:3]
	v_add_nc_u64_e32 v[2:3], -1, v[2:3]
; %bb.6882:                             ;   in Loop: Header=BB6_4897 Depth=2
	s_or_b32 exec_lo, exec_lo, s27
	v_add_nc_u32_e32 v1, 0xffffff81, v24
	v_lshrrev_b32_e32 v3, 23, v0
	s_mov_b32 s7, exec_lo
	s_delay_alu instid0(VALU_DEP_2) | instskip(NEXT) | instid1(VALU_DEP_1)
	v_cndmask_b32_e64 v1, v1, 0xffffff82, vcc_lo
	v_add3_u32 v3, v98, v1, v3
	v_and_b32_e32 v1, 0x1fffff, v2
                                        ; implicit-def: $vgpr2
	s_delay_alu instid0(VALU_DEP_1) | instskip(NEXT) | instid1(VALU_DEP_1)
	v_dual_add_nc_u32 v24, 14, v3 :: v_dual_add_nc_u32 v4, v1, v0
                                        ; implicit-def: $vgpr0_vgpr1
	v_cmpx_ne_u32_e32 0, v24
	s_xor_b32 s7, exec_lo, s7
; %bb.6883:                             ;   in Loop: Header=BB6_4897 Depth=2
	s_delay_alu instid0(VALU_DEP_2) | instskip(SKIP_1) | instid1(VALU_DEP_1)
	v_cmp_lt_u64_e32 vcc_lo, 0xffffff, v[4:5]
	v_add_nc_u32_e32 v0, 15, v3
	v_cndmask_b32_e32 v2, v24, v0, vcc_lo
	v_cndmask_b32_e64 v0, 0, 1, vcc_lo
	s_delay_alu instid0(VALU_DEP_1)
	v_lshrrev_b64 v[0:1], v0, v[4:5]
; %bb.6884:                             ;   in Loop: Header=BB6_4897 Depth=2
	s_and_not1_saveexec_b32 s7, s7
; %bb.6885:                             ;   in Loop: Header=BB6_4897 Depth=2
	v_mov_b64_e32 v[0:1], v[4:5]
	v_bfe_u32 v2, v4, 23, 1
; %bb.6886:                             ;   in Loop: Header=BB6_4897 Depth=2
	s_or_b32 exec_lo, exec_lo, s7
	s_delay_alu instid0(VALU_DEP_2) | instskip(NEXT) | instid1(VALU_DEP_2)
	v_lshrrev_b64 v[0:1], 21, v[0:1]
	v_cmp_gt_i32_e32 vcc_lo, 32, v2
	v_min_i32_e32 v3, 31, v2
	v_cmp_eq_u32_e64 s7, 0, v2
	s_delay_alu instid0(VALU_DEP_2) | instskip(SKIP_1) | instid1(VALU_DEP_2)
	v_dual_cndmask_b32 v1, 0, v1, vcc_lo :: v_dual_lshlrev_b32 v3, 2, v3
	v_cndmask_b32_e32 v0, 3, v0, vcc_lo
	v_and_b32_e32 v3, 0xfc, v3
	s_delay_alu instid0(VALU_DEP_2) | instskip(NEXT) | instid1(VALU_DEP_2)
	v_cmp_eq_u64_e32 vcc_lo, 0, v[0:1]
	v_and_or_b32 v0, v0, 3, v3
	s_and_b32 s7, s7, vcc_lo
	s_delay_alu instid0(VALU_DEP_1) | instid1(SALU_CYCLE_1)
	v_cndmask_b32_e64 v0, v0, 0, s7
	s_delay_alu instid0(VALU_DEP_1)
	v_or_b32_e32 v24, v0, v25
.LBB6_6887:                             ;   in Loop: Header=BB6_4897 Depth=2
	s_or_b32 exec_lo, exec_lo, s26
                                        ; implicit-def: $vgpr25
.LBB6_6888:                             ;   in Loop: Header=BB6_4897 Depth=2
	s_and_not1_saveexec_b32 s7, s25
; %bb.6889:                             ;   in Loop: Header=BB6_4897 Depth=2
	v_or_b32_e32 v24, 0x7b, v25
; %bb.6890:                             ;   in Loop: Header=BB6_4897 Depth=2
	s_or_b32 exec_lo, exec_lo, s7
                                        ; implicit-def: $vgpr0
                                        ; implicit-def: $vgpr1
.LBB6_6891:                             ;   in Loop: Header=BB6_4897 Depth=2
	s_and_not1_saveexec_b32 s7, s24
	s_cbranch_execz .LBB6_6897
; %bb.6892:                             ;   in Loop: Header=BB6_4897 Depth=2
	s_mov_b32 s24, exec_lo
                                        ; implicit-def: $vgpr24
	v_cmpx_ne_u64_e32 0, v[4:5]
	s_xor_b32 s24, exec_lo, s24
; %bb.6893:                             ;   in Loop: Header=BB6_4897 Depth=2
	v_or_b32_e32 v24, 0x7f, v1
                                        ; implicit-def: $vgpr0
; %bb.6894:                             ;   in Loop: Header=BB6_4897 Depth=2
	s_and_not1_saveexec_b32 s24, s24
; %bb.6895:                             ;   in Loop: Header=BB6_4897 Depth=2
	v_cmp_lt_i32_e32 vcc_lo, -1, v0
	v_cndmask_b32_e32 v24, 0xfc, v104, vcc_lo
; %bb.6896:                             ;   in Loop: Header=BB6_4897 Depth=2
	s_or_b32 exec_lo, exec_lo, s24
.LBB6_6897:                             ;   in Loop: Header=BB6_4897 Depth=2
	s_delay_alu instid0(SALU_CYCLE_1) | instskip(SKIP_3) | instid1(VALU_DEP_2)
	s_or_b32 exec_lo, exec_lo, s7
	v_dual_mov_b32 v1, 0 :: v_dual_lshrrev_b32 v0, 16, v14
	v_mov_b32_e32 v2, 0
	s_mov_b32 s7, exec_lo
	v_and_b32_e32 v3, 0xff, v0
	s_delay_alu instid0(VALU_DEP_1)
	v_cmpx_ne_u16_e32 0, v3
	s_cbranch_execz .LBB6_6907
; %bb.6898:                             ;   in Loop: Header=BB6_4897 Depth=2
	v_bfrev_b32_e32 v2, 1
	s_mov_b32 s24, exec_lo
	v_cmpx_ne_u16_e32 0x80, v3
	s_cbranch_execz .LBB6_6906
; %bb.6899:                             ;   in Loop: Header=BB6_4897 Depth=2
	v_and_b32_e32 v2, 0x7c0000, v14
	v_bfe_u32 v3, v14, 16, 2
	s_delay_alu instid0(VALU_DEP_2) | instskip(SKIP_1) | instid1(SALU_CYCLE_1)
	v_cmp_ne_u32_e32 vcc_lo, 0x7c0000, v2
                                        ; implicit-def: $vgpr2
	s_and_saveexec_b32 s25, vcc_lo
	s_xor_b32 s25, exec_lo, s25
	s_cbranch_execz .LBB6_6903
; %bb.6900:                             ;   in Loop: Header=BB6_4897 Depth=2
	v_bfe_u32 v2, v14, 18, 5
	s_mov_b32 s26, exec_lo
	s_delay_alu instid0(VALU_DEP_1)
	v_cmpx_eq_u32_e32 0, v2
; %bb.6901:                             ;   in Loop: Header=BB6_4897 Depth=2
	v_clz_i32_u32_e32 v2, v3
	s_delay_alu instid0(VALU_DEP_1) | instskip(NEXT) | instid1(VALU_DEP_1)
	v_min_u32_e32 v2, 32, v2
	v_subrev_nc_u32_e32 v3, 29, v2
	v_sub_nc_u32_e32 v2, 30, v2
	s_delay_alu instid0(VALU_DEP_2) | instskip(NEXT) | instid1(VALU_DEP_1)
	v_lshlrev_b64_e32 v[98:99], v3, v[0:1]
	v_and_b32_e32 v3, 3, v98
; %bb.6902:                             ;   in Loop: Header=BB6_4897 Depth=2
	s_or_b32 exec_lo, exec_lo, s26
	v_lshlrev_b32_e32 v0, 24, v0
	s_delay_alu instid0(VALU_DEP_1) | instskip(NEXT) | instid1(VALU_DEP_1)
	v_and_b32_e32 v0, 0x80000000, v0
	v_lshl_add_u32 v0, v2, 23, v0
	s_delay_alu instid0(VALU_DEP_1) | instskip(NEXT) | instid1(VALU_DEP_1)
	v_lshl_or_b32 v0, v3, 21, v0
                                        ; implicit-def: $vgpr3
	v_add_nc_u32_e32 v2, 0x38000000, v0
                                        ; implicit-def: $vgpr0
.LBB6_6903:                             ;   in Loop: Header=BB6_4897 Depth=2
	s_and_not1_saveexec_b32 s25, s25
; %bb.6904:                             ;   in Loop: Header=BB6_4897 Depth=2
	v_bfe_i32 v0, v0, 0, 8
	s_delay_alu instid0(VALU_DEP_1) | instskip(SKIP_2) | instid1(VALU_DEP_2)
	v_cmp_lt_i16_e32 vcc_lo, -1, v0
	v_cndmask_b32_e32 v0, 0xff800000, v105, vcc_lo
	v_cmp_eq_u32_e32 vcc_lo, 0, v3
	v_cndmask_b32_e32 v2, 0x7f800001, v0, vcc_lo
; %bb.6905:                             ;   in Loop: Header=BB6_4897 Depth=2
	s_or_b32 exec_lo, exec_lo, s25
.LBB6_6906:                             ;   in Loop: Header=BB6_4897 Depth=2
	s_delay_alu instid0(SALU_CYCLE_1)
	s_or_b32 exec_lo, exec_lo, s24
.LBB6_6907:                             ;   in Loop: Header=BB6_4897 Depth=2
	s_delay_alu instid0(SALU_CYCLE_1) | instskip(SKIP_2) | instid1(VALU_DEP_1)
	s_or_b32 exec_lo, exec_lo, s7
	v_lshrrev_b32_e32 v0, 16, v10
	s_mov_b32 s7, exec_lo
	v_and_b32_e32 v3, 0xff, v0
	s_delay_alu instid0(VALU_DEP_1)
	v_cmpx_ne_u16_e32 0, v3
	s_cbranch_execz .LBB6_6917
; %bb.6908:                             ;   in Loop: Header=BB6_4897 Depth=2
	v_bfrev_b32_e32 v1, 1
	s_mov_b32 s24, exec_lo
	v_cmpx_ne_u16_e32 0x80, v3
	s_cbranch_execz .LBB6_6916
; %bb.6909:                             ;   in Loop: Header=BB6_4897 Depth=2
	v_and_b32_e32 v1, 0x7c0000, v10
	v_bfe_u32 v3, v10, 16, 2
	s_delay_alu instid0(VALU_DEP_2) | instskip(SKIP_1) | instid1(SALU_CYCLE_1)
	v_cmp_ne_u32_e32 vcc_lo, 0x7c0000, v1
                                        ; implicit-def: $vgpr1
	s_and_saveexec_b32 s25, vcc_lo
	s_xor_b32 s25, exec_lo, s25
	s_cbranch_execz .LBB6_6913
; %bb.6910:                             ;   in Loop: Header=BB6_4897 Depth=2
	v_bfe_u32 v1, v10, 18, 5
	s_mov_b32 s26, exec_lo
	s_delay_alu instid0(VALU_DEP_1)
	v_cmpx_eq_u32_e32 0, v1
; %bb.6911:                             ;   in Loop: Header=BB6_4897 Depth=2
	v_clz_i32_u32_e32 v1, v3
	s_delay_alu instid0(VALU_DEP_1) | instskip(NEXT) | instid1(VALU_DEP_1)
	v_min_u32_e32 v1, 32, v1
	v_subrev_nc_u32_e32 v3, 29, v1
	s_delay_alu instid0(VALU_DEP_1) | instskip(NEXT) | instid1(VALU_DEP_1)
	v_lshlrev_b64_e32 v[98:99], v3, v[0:1]
	v_dual_sub_nc_u32 v1, 30, v1 :: v_dual_bitop2_b32 v3, 3, v98 bitop3:0x40
; %bb.6912:                             ;   in Loop: Header=BB6_4897 Depth=2
	s_or_b32 exec_lo, exec_lo, s26
	v_lshlrev_b32_e32 v0, 24, v0
	s_delay_alu instid0(VALU_DEP_1) | instskip(NEXT) | instid1(VALU_DEP_1)
	v_and_b32_e32 v0, 0x80000000, v0
	v_lshl_add_u32 v0, v1, 23, v0
	s_delay_alu instid0(VALU_DEP_1) | instskip(NEXT) | instid1(VALU_DEP_1)
	v_lshl_or_b32 v0, v3, 21, v0
                                        ; implicit-def: $vgpr3
	v_add_nc_u32_e32 v1, 0x38000000, v0
                                        ; implicit-def: $vgpr0
.LBB6_6913:                             ;   in Loop: Header=BB6_4897 Depth=2
	s_and_not1_saveexec_b32 s25, s25
; %bb.6914:                             ;   in Loop: Header=BB6_4897 Depth=2
	v_bfe_i32 v0, v0, 0, 8
	s_delay_alu instid0(VALU_DEP_1) | instskip(SKIP_2) | instid1(VALU_DEP_2)
	v_cmp_lt_i16_e32 vcc_lo, -1, v0
	v_cndmask_b32_e32 v0, 0xff800000, v105, vcc_lo
	v_cmp_eq_u32_e32 vcc_lo, 0, v3
	v_cndmask_b32_e32 v1, 0x7f800001, v0, vcc_lo
; %bb.6915:                             ;   in Loop: Header=BB6_4897 Depth=2
	s_or_b32 exec_lo, exec_lo, s25
.LBB6_6916:                             ;   in Loop: Header=BB6_4897 Depth=2
	s_delay_alu instid0(SALU_CYCLE_1)
	s_or_b32 exec_lo, exec_lo, s24
.LBB6_6917:                             ;   in Loop: Header=BB6_4897 Depth=2
	s_delay_alu instid0(SALU_CYCLE_1) | instskip(NEXT) | instid1(VALU_DEP_1)
	s_or_b32 exec_lo, exec_lo, s7
	v_dual_mul_f32 v0, v2, v1 :: v_dual_mov_b32 v3, v5
                                        ; implicit-def: $vgpr25
	s_mov_b32 s7, exec_lo
	s_delay_alu instid0(VALU_DEP_1) | instskip(SKIP_2) | instid1(VALU_DEP_3)
	v_and_b32_e32 v2, 0x7f800000, v0
	v_and_b32_e32 v4, 0x7fffff, v0
	v_lshrrev_b32_e32 v1, 24, v0
	v_cmpx_ne_u64_e32 0x7f800000, v[2:3]
	s_xor_b32 s24, exec_lo, s7
	s_cbranch_execz .LBB6_6931
; %bb.6918:                             ;   in Loop: Header=BB6_4897 Depth=2
	v_and_b32_e32 v2, 0x7fffffff, v0
	v_mov_b32_e32 v3, v5
	v_and_b32_e32 v98, 0x80, v1
                                        ; implicit-def: $vgpr25
	s_mov_b32 s7, exec_lo
	s_delay_alu instid0(VALU_DEP_2)
	v_cmpx_gt_u64_e32 0x47600001, v[2:3]
	s_xor_b32 s25, exec_lo, s7
	s_cbranch_execz .LBB6_6928
; %bb.6919:                             ;   in Loop: Header=BB6_4897 Depth=2
	v_mov_b32_e32 v25, 0
	s_mov_b32 s26, exec_lo
	v_cmpx_ne_u32_e32 0, v0
	s_cbranch_execz .LBB6_6927
; %bb.6920:                             ;   in Loop: Header=BB6_4897 Depth=2
	v_bfe_u32 v25, v0, 23, 8
	v_or_b32_e32 v1, 0x800000, v4
	s_delay_alu instid0(VALU_DEP_2) | instskip(SKIP_2) | instid1(VALU_DEP_2)
	v_cmp_gt_u32_e64 s7, 0x72, v25
	v_sub_nc_u32_e32 v0, 0x71, v25
	v_cmp_eq_u32_e32 vcc_lo, 0, v25
	v_cndmask_b32_e64 v0, 0, v0, s7
	s_delay_alu instid0(VALU_DEP_1) | instskip(SKIP_1) | instid1(VALU_DEP_2)
	v_cndmask_b32_e64 v99, v0, 0x70, vcc_lo
	v_cndmask_b32_e32 v0, v1, v4, vcc_lo
	v_dual_mov_b32 v1, v5 :: v_dual_add_nc_u32 v2, 21, v99
	v_add_nc_u32_e32 v4, 20, v99
	s_delay_alu instid0(VALU_DEP_2) | instskip(NEXT) | instid1(VALU_DEP_2)
	v_lshlrev_b64_e64 v[2:3], v2, -1
	v_lshlrev_b64_e64 v[100:101], v4, 1
	s_delay_alu instid0(VALU_DEP_2) | instskip(SKIP_1) | instid1(VALU_DEP_4)
	v_bfi_b32 v2, v2, 0, v0
	v_lshrrev_b64 v[0:1], v99, v[0:1]
	v_bfi_b32 v3, v3, 0, 0
	s_delay_alu instid0(VALU_DEP_1) | instskip(NEXT) | instid1(VALU_DEP_3)
	v_cmp_eq_u64_e64 s7, v[2:3], v[100:101]
	v_mov_b64_e32 v[2:3], v[0:1]
	s_and_saveexec_b32 s27, s7
; %bb.6921:                             ;   in Loop: Header=BB6_4897 Depth=2
	v_bfe_u32 v2, v0, 21, 1
	v_mov_b32_e32 v3, v5
	s_delay_alu instid0(VALU_DEP_1) | instskip(NEXT) | instid1(VALU_DEP_1)
	v_add_nc_u64_e32 v[2:3], v[0:1], v[2:3]
	v_add_nc_u64_e32 v[2:3], -1, v[2:3]
; %bb.6922:                             ;   in Loop: Header=BB6_4897 Depth=2
	s_or_b32 exec_lo, exec_lo, s27
	v_add_nc_u32_e32 v1, 0xffffff81, v25
	v_lshrrev_b32_e32 v3, 23, v0
	s_mov_b32 s7, exec_lo
	s_delay_alu instid0(VALU_DEP_2) | instskip(NEXT) | instid1(VALU_DEP_1)
	v_cndmask_b32_e64 v1, v1, 0xffffff82, vcc_lo
	v_add3_u32 v3, v99, v1, v3
	v_and_b32_e32 v1, 0x1fffff, v2
                                        ; implicit-def: $vgpr2
	s_delay_alu instid0(VALU_DEP_1) | instskip(NEXT) | instid1(VALU_DEP_1)
	v_dual_add_nc_u32 v25, 14, v3 :: v_dual_add_nc_u32 v4, v1, v0
                                        ; implicit-def: $vgpr0_vgpr1
	v_cmpx_ne_u32_e32 0, v25
	s_xor_b32 s7, exec_lo, s7
; %bb.6923:                             ;   in Loop: Header=BB6_4897 Depth=2
	s_delay_alu instid0(VALU_DEP_2) | instskip(SKIP_1) | instid1(VALU_DEP_1)
	v_cmp_lt_u64_e32 vcc_lo, 0xffffff, v[4:5]
	v_add_nc_u32_e32 v0, 15, v3
	v_cndmask_b32_e32 v2, v25, v0, vcc_lo
	v_cndmask_b32_e64 v0, 0, 1, vcc_lo
	s_delay_alu instid0(VALU_DEP_1)
	v_lshrrev_b64 v[0:1], v0, v[4:5]
; %bb.6924:                             ;   in Loop: Header=BB6_4897 Depth=2
	s_and_not1_saveexec_b32 s7, s7
; %bb.6925:                             ;   in Loop: Header=BB6_4897 Depth=2
	v_mov_b64_e32 v[0:1], v[4:5]
	v_bfe_u32 v2, v4, 23, 1
; %bb.6926:                             ;   in Loop: Header=BB6_4897 Depth=2
	s_or_b32 exec_lo, exec_lo, s7
	s_delay_alu instid0(VALU_DEP_2) | instskip(NEXT) | instid1(VALU_DEP_2)
	v_lshrrev_b64 v[0:1], 21, v[0:1]
	v_cmp_gt_i32_e32 vcc_lo, 32, v2
	v_min_i32_e32 v3, 31, v2
	v_cmp_eq_u32_e64 s7, 0, v2
	s_delay_alu instid0(VALU_DEP_2) | instskip(SKIP_1) | instid1(VALU_DEP_2)
	v_dual_cndmask_b32 v1, 0, v1, vcc_lo :: v_dual_lshlrev_b32 v3, 2, v3
	v_cndmask_b32_e32 v0, 3, v0, vcc_lo
	v_and_b32_e32 v3, 0xfc, v3
	s_delay_alu instid0(VALU_DEP_2) | instskip(NEXT) | instid1(VALU_DEP_2)
	v_cmp_eq_u64_e32 vcc_lo, 0, v[0:1]
	v_and_or_b32 v0, v0, 3, v3
	s_and_b32 s7, s7, vcc_lo
	s_delay_alu instid0(VALU_DEP_1) | instid1(SALU_CYCLE_1)
	v_cndmask_b32_e64 v0, v0, 0, s7
	s_delay_alu instid0(VALU_DEP_1)
	v_or_b32_e32 v25, v0, v98
.LBB6_6927:                             ;   in Loop: Header=BB6_4897 Depth=2
	s_or_b32 exec_lo, exec_lo, s26
                                        ; implicit-def: $vgpr98
.LBB6_6928:                             ;   in Loop: Header=BB6_4897 Depth=2
	s_and_not1_saveexec_b32 s7, s25
; %bb.6929:                             ;   in Loop: Header=BB6_4897 Depth=2
	v_or_b32_e32 v25, 0x7b, v98
; %bb.6930:                             ;   in Loop: Header=BB6_4897 Depth=2
	s_or_b32 exec_lo, exec_lo, s7
                                        ; implicit-def: $vgpr0
                                        ; implicit-def: $vgpr1
.LBB6_6931:                             ;   in Loop: Header=BB6_4897 Depth=2
	s_and_not1_saveexec_b32 s7, s24
	s_cbranch_execz .LBB6_6937
; %bb.6932:                             ;   in Loop: Header=BB6_4897 Depth=2
	s_mov_b32 s24, exec_lo
                                        ; implicit-def: $vgpr25
	v_cmpx_ne_u64_e32 0, v[4:5]
	s_xor_b32 s24, exec_lo, s24
; %bb.6933:                             ;   in Loop: Header=BB6_4897 Depth=2
	v_or_b32_e32 v25, 0x7f, v1
                                        ; implicit-def: $vgpr0
; %bb.6934:                             ;   in Loop: Header=BB6_4897 Depth=2
	s_and_not1_saveexec_b32 s24, s24
; %bb.6935:                             ;   in Loop: Header=BB6_4897 Depth=2
	v_cmp_lt_i32_e32 vcc_lo, -1, v0
	v_cndmask_b32_e32 v25, 0xfc, v104, vcc_lo
; %bb.6936:                             ;   in Loop: Header=BB6_4897 Depth=2
	s_or_b32 exec_lo, exec_lo, s24
.LBB6_6937:                             ;   in Loop: Header=BB6_4897 Depth=2
	s_delay_alu instid0(SALU_CYCLE_1)
	s_or_b32 exec_lo, exec_lo, s7
	v_dual_mov_b32 v1, 0 :: v_dual_mov_b32 v2, 0
	s_mov_b32 s7, exec_lo
	v_cmpx_lt_u32_e32 0xffffff, v14
	s_cbranch_execz .LBB6_6947
; %bb.6938:                             ;   in Loop: Header=BB6_4897 Depth=2
	v_lshrrev_b32_e32 v0, 24, v14
	v_bfrev_b32_e32 v2, 1
	s_mov_b32 s24, exec_lo
	s_delay_alu instid0(VALU_DEP_2)
	v_cmpx_ne_u32_e32 0x80, v0
	s_cbranch_execz .LBB6_6946
; %bb.6939:                             ;   in Loop: Header=BB6_4897 Depth=2
	v_and_b32_e32 v2, 0x7c000000, v14
	v_bfe_u32 v3, v14, 24, 2
	s_delay_alu instid0(VALU_DEP_2) | instskip(SKIP_1) | instid1(SALU_CYCLE_1)
	v_cmp_ne_u32_e32 vcc_lo, 0x7c000000, v2
                                        ; implicit-def: $vgpr2
	s_and_saveexec_b32 s25, vcc_lo
	s_xor_b32 s25, exec_lo, s25
	s_cbranch_execz .LBB6_6943
; %bb.6940:                             ;   in Loop: Header=BB6_4897 Depth=2
	v_bfe_u32 v2, v14, 26, 5
	s_mov_b32 s26, exec_lo
	s_delay_alu instid0(VALU_DEP_1)
	v_cmpx_eq_u32_e32 0, v2
; %bb.6941:                             ;   in Loop: Header=BB6_4897 Depth=2
	v_clz_i32_u32_e32 v2, v3
	s_delay_alu instid0(VALU_DEP_1) | instskip(NEXT) | instid1(VALU_DEP_1)
	v_min_u32_e32 v2, 32, v2
	v_subrev_nc_u32_e32 v3, 29, v2
	v_sub_nc_u32_e32 v2, 30, v2
	s_delay_alu instid0(VALU_DEP_2) | instskip(NEXT) | instid1(VALU_DEP_1)
	v_lshlrev_b64_e32 v[98:99], v3, v[0:1]
	v_and_b32_e32 v3, 3, v98
; %bb.6942:                             ;   in Loop: Header=BB6_4897 Depth=2
	s_or_b32 exec_lo, exec_lo, s26
	v_and_b32_e32 v0, 0x80000000, v14
	s_delay_alu instid0(VALU_DEP_1) | instskip(NEXT) | instid1(VALU_DEP_1)
	v_lshl_add_u32 v0, v2, 23, v0
	v_lshl_or_b32 v0, v3, 21, v0
                                        ; implicit-def: $vgpr3
	s_delay_alu instid0(VALU_DEP_1)
	v_add_nc_u32_e32 v2, 0x38000000, v0
.LBB6_6943:                             ;   in Loop: Header=BB6_4897 Depth=2
	s_and_not1_saveexec_b32 s25, s25
; %bb.6944:                             ;   in Loop: Header=BB6_4897 Depth=2
	v_cmp_lt_i32_e32 vcc_lo, -1, v14
	v_cndmask_b32_e32 v0, 0xff800000, v105, vcc_lo
	v_cmp_eq_u32_e32 vcc_lo, 0, v3
	s_delay_alu instid0(VALU_DEP_2)
	v_cndmask_b32_e32 v2, 0x7f800001, v0, vcc_lo
; %bb.6945:                             ;   in Loop: Header=BB6_4897 Depth=2
	s_or_b32 exec_lo, exec_lo, s25
.LBB6_6946:                             ;   in Loop: Header=BB6_4897 Depth=2
	s_delay_alu instid0(SALU_CYCLE_1)
	s_or_b32 exec_lo, exec_lo, s24
.LBB6_6947:                             ;   in Loop: Header=BB6_4897 Depth=2
	s_delay_alu instid0(SALU_CYCLE_1) | instskip(NEXT) | instid1(SALU_CYCLE_1)
	s_or_b32 exec_lo, exec_lo, s7
	s_mov_b32 s7, exec_lo
	v_cmpx_lt_u32_e32 0xffffff, v10
	s_cbranch_execz .LBB6_6957
; %bb.6948:                             ;   in Loop: Header=BB6_4897 Depth=2
	v_lshrrev_b32_e32 v0, 24, v10
	v_bfrev_b32_e32 v1, 1
	s_mov_b32 s24, exec_lo
	s_delay_alu instid0(VALU_DEP_2)
	v_cmpx_ne_u32_e32 0x80, v0
	s_cbranch_execz .LBB6_6956
; %bb.6949:                             ;   in Loop: Header=BB6_4897 Depth=2
	v_and_b32_e32 v1, 0x7c000000, v10
	v_bfe_u32 v3, v10, 24, 2
	s_delay_alu instid0(VALU_DEP_2) | instskip(SKIP_1) | instid1(SALU_CYCLE_1)
	v_cmp_ne_u32_e32 vcc_lo, 0x7c000000, v1
                                        ; implicit-def: $vgpr1
	s_and_saveexec_b32 s25, vcc_lo
	s_xor_b32 s25, exec_lo, s25
	s_cbranch_execz .LBB6_6953
; %bb.6950:                             ;   in Loop: Header=BB6_4897 Depth=2
	v_bfe_u32 v1, v10, 26, 5
	s_mov_b32 s26, exec_lo
	s_delay_alu instid0(VALU_DEP_1)
	v_cmpx_eq_u32_e32 0, v1
; %bb.6951:                             ;   in Loop: Header=BB6_4897 Depth=2
	v_clz_i32_u32_e32 v1, v3
	s_delay_alu instid0(VALU_DEP_1) | instskip(NEXT) | instid1(VALU_DEP_1)
	v_min_u32_e32 v3, 32, v1
	v_subrev_nc_u32_e32 v1, 29, v3
	s_delay_alu instid0(VALU_DEP_1) | instskip(NEXT) | instid1(VALU_DEP_1)
	v_lshlrev_b64_e32 v[0:1], v1, v[0:1]
	v_dual_sub_nc_u32 v1, 30, v3 :: v_dual_bitop2_b32 v3, 3, v0 bitop3:0x40
; %bb.6952:                             ;   in Loop: Header=BB6_4897 Depth=2
	s_or_b32 exec_lo, exec_lo, s26
	v_and_b32_e32 v0, 0x80000000, v10
	s_delay_alu instid0(VALU_DEP_1) | instskip(NEXT) | instid1(VALU_DEP_1)
	v_lshl_add_u32 v0, v1, 23, v0
	v_lshl_or_b32 v0, v3, 21, v0
                                        ; implicit-def: $vgpr3
	s_delay_alu instid0(VALU_DEP_1)
	v_add_nc_u32_e32 v1, 0x38000000, v0
.LBB6_6953:                             ;   in Loop: Header=BB6_4897 Depth=2
	s_and_not1_saveexec_b32 s25, s25
; %bb.6954:                             ;   in Loop: Header=BB6_4897 Depth=2
	v_cmp_lt_i32_e32 vcc_lo, -1, v10
	v_cndmask_b32_e32 v0, 0xff800000, v105, vcc_lo
	v_cmp_eq_u32_e32 vcc_lo, 0, v3
	s_delay_alu instid0(VALU_DEP_2)
	v_cndmask_b32_e32 v1, 0x7f800001, v0, vcc_lo
; %bb.6955:                             ;   in Loop: Header=BB6_4897 Depth=2
	s_or_b32 exec_lo, exec_lo, s25
.LBB6_6956:                             ;   in Loop: Header=BB6_4897 Depth=2
	s_delay_alu instid0(SALU_CYCLE_1)
	s_or_b32 exec_lo, exec_lo, s24
.LBB6_6957:                             ;   in Loop: Header=BB6_4897 Depth=2
	s_delay_alu instid0(SALU_CYCLE_1) | instskip(NEXT) | instid1(VALU_DEP_1)
	s_or_b32 exec_lo, exec_lo, s7
	v_dual_mul_f32 v0, v2, v1 :: v_dual_mov_b32 v3, v5
                                        ; implicit-def: $vgpr98
	s_mov_b32 s7, exec_lo
	s_delay_alu instid0(VALU_DEP_1) | instskip(SKIP_2) | instid1(VALU_DEP_3)
	v_and_b32_e32 v2, 0x7f800000, v0
	v_and_b32_e32 v4, 0x7fffff, v0
	v_lshrrev_b32_e32 v1, 24, v0
	v_cmpx_ne_u64_e32 0x7f800000, v[2:3]
	s_xor_b32 s24, exec_lo, s7
	s_cbranch_execz .LBB6_6971
; %bb.6958:                             ;   in Loop: Header=BB6_4897 Depth=2
	v_and_b32_e32 v2, 0x7fffffff, v0
	v_mov_b32_e32 v3, v5
	v_and_b32_e32 v99, 0x80, v1
                                        ; implicit-def: $vgpr98
	s_mov_b32 s7, exec_lo
	s_delay_alu instid0(VALU_DEP_2)
	v_cmpx_gt_u64_e32 0x47600001, v[2:3]
	s_xor_b32 s25, exec_lo, s7
	s_cbranch_execz .LBB6_6968
; %bb.6959:                             ;   in Loop: Header=BB6_4897 Depth=2
	v_mov_b32_e32 v98, 0
	s_mov_b32 s26, exec_lo
	v_cmpx_ne_u32_e32 0, v0
	s_cbranch_execz .LBB6_6967
; %bb.6960:                             ;   in Loop: Header=BB6_4897 Depth=2
	v_bfe_u32 v98, v0, 23, 8
	v_or_b32_e32 v1, 0x800000, v4
	s_delay_alu instid0(VALU_DEP_2) | instskip(SKIP_2) | instid1(VALU_DEP_2)
	v_cmp_gt_u32_e64 s7, 0x72, v98
	v_sub_nc_u32_e32 v0, 0x71, v98
	v_cmp_eq_u32_e32 vcc_lo, 0, v98
	v_cndmask_b32_e64 v0, 0, v0, s7
	s_delay_alu instid0(VALU_DEP_1) | instskip(SKIP_1) | instid1(VALU_DEP_2)
	v_cndmask_b32_e64 v100, v0, 0x70, vcc_lo
	v_cndmask_b32_e32 v0, v1, v4, vcc_lo
	v_dual_mov_b32 v1, v5 :: v_dual_add_nc_u32 v2, 21, v100
	v_add_nc_u32_e32 v4, 20, v100
	s_delay_alu instid0(VALU_DEP_2) | instskip(NEXT) | instid1(VALU_DEP_2)
	v_lshlrev_b64_e64 v[2:3], v2, -1
	v_lshlrev_b64_e64 v[102:103], v4, 1
	s_delay_alu instid0(VALU_DEP_2) | instskip(SKIP_1) | instid1(VALU_DEP_4)
	v_bfi_b32 v2, v2, 0, v0
	v_lshrrev_b64 v[0:1], v100, v[0:1]
	v_bfi_b32 v3, v3, 0, 0
	s_delay_alu instid0(VALU_DEP_1) | instskip(NEXT) | instid1(VALU_DEP_3)
	v_cmp_eq_u64_e64 s7, v[2:3], v[102:103]
	v_mov_b64_e32 v[2:3], v[0:1]
	s_and_saveexec_b32 s27, s7
; %bb.6961:                             ;   in Loop: Header=BB6_4897 Depth=2
	v_bfe_u32 v2, v0, 21, 1
	v_mov_b32_e32 v3, v5
	s_delay_alu instid0(VALU_DEP_1) | instskip(NEXT) | instid1(VALU_DEP_1)
	v_add_nc_u64_e32 v[2:3], v[0:1], v[2:3]
	v_add_nc_u64_e32 v[2:3], -1, v[2:3]
; %bb.6962:                             ;   in Loop: Header=BB6_4897 Depth=2
	s_or_b32 exec_lo, exec_lo, s27
	v_add_nc_u32_e32 v1, 0xffffff81, v98
	v_lshrrev_b32_e32 v3, 23, v0
	s_mov_b32 s7, exec_lo
	s_delay_alu instid0(VALU_DEP_2) | instskip(NEXT) | instid1(VALU_DEP_1)
	v_cndmask_b32_e64 v1, v1, 0xffffff82, vcc_lo
	v_add3_u32 v3, v100, v1, v3
	v_and_b32_e32 v1, 0x1fffff, v2
                                        ; implicit-def: $vgpr2
	s_delay_alu instid0(VALU_DEP_1) | instskip(NEXT) | instid1(VALU_DEP_1)
	v_dual_add_nc_u32 v98, 14, v3 :: v_dual_add_nc_u32 v4, v1, v0
                                        ; implicit-def: $vgpr0_vgpr1
	v_cmpx_ne_u32_e32 0, v98
	s_xor_b32 s7, exec_lo, s7
; %bb.6963:                             ;   in Loop: Header=BB6_4897 Depth=2
	s_delay_alu instid0(VALU_DEP_2) | instskip(SKIP_1) | instid1(VALU_DEP_1)
	v_cmp_lt_u64_e32 vcc_lo, 0xffffff, v[4:5]
	v_add_nc_u32_e32 v0, 15, v3
	v_cndmask_b32_e32 v2, v98, v0, vcc_lo
	v_cndmask_b32_e64 v0, 0, 1, vcc_lo
	s_delay_alu instid0(VALU_DEP_1)
	v_lshrrev_b64 v[0:1], v0, v[4:5]
; %bb.6964:                             ;   in Loop: Header=BB6_4897 Depth=2
	s_and_not1_saveexec_b32 s7, s7
; %bb.6965:                             ;   in Loop: Header=BB6_4897 Depth=2
	v_mov_b64_e32 v[0:1], v[4:5]
	v_bfe_u32 v2, v4, 23, 1
; %bb.6966:                             ;   in Loop: Header=BB6_4897 Depth=2
	s_or_b32 exec_lo, exec_lo, s7
	s_delay_alu instid0(VALU_DEP_2) | instskip(NEXT) | instid1(VALU_DEP_2)
	v_lshrrev_b64 v[0:1], 21, v[0:1]
	v_cmp_gt_i32_e32 vcc_lo, 32, v2
	v_min_i32_e32 v3, 31, v2
	v_cmp_eq_u32_e64 s7, 0, v2
	s_delay_alu instid0(VALU_DEP_2) | instskip(SKIP_1) | instid1(VALU_DEP_2)
	v_dual_cndmask_b32 v1, 0, v1, vcc_lo :: v_dual_lshlrev_b32 v3, 2, v3
	v_cndmask_b32_e32 v0, 3, v0, vcc_lo
	v_and_b32_e32 v3, 0xfc, v3
	s_delay_alu instid0(VALU_DEP_2) | instskip(NEXT) | instid1(VALU_DEP_2)
	v_cmp_eq_u64_e32 vcc_lo, 0, v[0:1]
	v_and_or_b32 v0, v0, 3, v3
	s_and_b32 s7, s7, vcc_lo
	s_delay_alu instid0(VALU_DEP_1) | instid1(SALU_CYCLE_1)
	v_cndmask_b32_e64 v0, v0, 0, s7
	s_delay_alu instid0(VALU_DEP_1)
	v_or_b32_e32 v98, v0, v99
.LBB6_6967:                             ;   in Loop: Header=BB6_4897 Depth=2
	s_or_b32 exec_lo, exec_lo, s26
                                        ; implicit-def: $vgpr99
.LBB6_6968:                             ;   in Loop: Header=BB6_4897 Depth=2
	s_and_not1_saveexec_b32 s7, s25
; %bb.6969:                             ;   in Loop: Header=BB6_4897 Depth=2
	v_or_b32_e32 v98, 0x7b, v99
; %bb.6970:                             ;   in Loop: Header=BB6_4897 Depth=2
	s_or_b32 exec_lo, exec_lo, s7
                                        ; implicit-def: $vgpr0
                                        ; implicit-def: $vgpr1
.LBB6_6971:                             ;   in Loop: Header=BB6_4897 Depth=2
	s_and_not1_saveexec_b32 s7, s24
	s_cbranch_execz .LBB6_6977
; %bb.6972:                             ;   in Loop: Header=BB6_4897 Depth=2
	s_mov_b32 s24, exec_lo
                                        ; implicit-def: $vgpr98
	v_cmpx_ne_u64_e32 0, v[4:5]
	s_xor_b32 s24, exec_lo, s24
; %bb.6973:                             ;   in Loop: Header=BB6_4897 Depth=2
	v_or_b32_e32 v98, 0x7f, v1
                                        ; implicit-def: $vgpr0
; %bb.6974:                             ;   in Loop: Header=BB6_4897 Depth=2
	s_and_not1_saveexec_b32 s24, s24
; %bb.6975:                             ;   in Loop: Header=BB6_4897 Depth=2
	v_cmp_lt_i32_e32 vcc_lo, -1, v0
	v_cndmask_b32_e32 v98, 0xfc, v104, vcc_lo
; %bb.6976:                             ;   in Loop: Header=BB6_4897 Depth=2
	s_or_b32 exec_lo, exec_lo, s24
.LBB6_6977:                             ;   in Loop: Header=BB6_4897 Depth=2
	s_delay_alu instid0(SALU_CYCLE_1) | instskip(SKIP_4) | instid1(VALU_DEP_3)
	s_or_b32 exec_lo, exec_lo, s7
	v_and_b32_e32 v2, 0xff, v15
	v_dual_mov_b32 v4, v15 :: v_dual_mov_b32 v1, 0
	v_mov_b32_e32 v0, 0
	s_mov_b32 s7, exec_lo
	v_cmpx_ne_u16_e32 0, v2
	s_cbranch_execz .LBB6_6987
; %bb.6978:                             ;   in Loop: Header=BB6_4897 Depth=2
	v_bfrev_b32_e32 v0, 1
	s_mov_b32 s24, exec_lo
	v_cmpx_ne_u16_e32 0x80, v2
	s_cbranch_execz .LBB6_6986
; %bb.6979:                             ;   in Loop: Header=BB6_4897 Depth=2
	v_and_b32_e32 v0, 0x7c, v15
	v_and_b32_e32 v2, 3, v15
	s_delay_alu instid0(VALU_DEP_2) | instskip(SKIP_1) | instid1(SALU_CYCLE_1)
	v_cmp_ne_u32_e32 vcc_lo, 0x7c, v0
                                        ; implicit-def: $vgpr0
	s_and_saveexec_b32 s25, vcc_lo
	s_xor_b32 s25, exec_lo, s25
	s_cbranch_execz .LBB6_6983
; %bb.6980:                             ;   in Loop: Header=BB6_4897 Depth=2
	v_bfe_u32 v0, v15, 2, 5
	s_mov_b32 s26, exec_lo
	s_delay_alu instid0(VALU_DEP_1)
	v_cmpx_eq_u32_e32 0, v0
; %bb.6981:                             ;   in Loop: Header=BB6_4897 Depth=2
	v_clz_i32_u32_e32 v0, v2
	s_delay_alu instid0(VALU_DEP_1) | instskip(NEXT) | instid1(VALU_DEP_1)
	v_min_u32_e32 v0, 32, v0
	v_subrev_nc_u32_e32 v2, 29, v0
	s_delay_alu instid0(VALU_DEP_1) | instskip(NEXT) | instid1(VALU_DEP_1)
	v_lshlrev_b64_e32 v[2:3], v2, v[4:5]
	v_dual_sub_nc_u32 v0, 30, v0 :: v_dual_bitop2_b32 v2, 3, v2 bitop3:0x40
; %bb.6982:                             ;   in Loop: Header=BB6_4897 Depth=2
	s_or_b32 exec_lo, exec_lo, s26
	v_lshlrev_b32_e32 v3, 24, v15
	s_delay_alu instid0(VALU_DEP_1) | instskip(NEXT) | instid1(VALU_DEP_1)
	v_and_b32_e32 v3, 0x80000000, v3
	v_lshl_add_u32 v0, v0, 23, v3
	s_delay_alu instid0(VALU_DEP_1) | instskip(NEXT) | instid1(VALU_DEP_1)
	v_lshl_or_b32 v0, v2, 21, v0
                                        ; implicit-def: $vgpr2
	v_add_nc_u32_e32 v0, 0x38000000, v0
.LBB6_6983:                             ;   in Loop: Header=BB6_4897 Depth=2
	s_and_not1_saveexec_b32 s25, s25
; %bb.6984:                             ;   in Loop: Header=BB6_4897 Depth=2
	v_bfe_i32 v0, v15, 0, 8
	s_delay_alu instid0(VALU_DEP_1) | instskip(SKIP_2) | instid1(VALU_DEP_2)
	v_cmp_lt_i16_e32 vcc_lo, -1, v0
	v_cndmask_b32_e32 v0, 0xff800000, v105, vcc_lo
	v_cmp_eq_u32_e32 vcc_lo, 0, v2
	v_cndmask_b32_e32 v0, 0x7f800001, v0, vcc_lo
; %bb.6985:                             ;   in Loop: Header=BB6_4897 Depth=2
	s_or_b32 exec_lo, exec_lo, s25
.LBB6_6986:                             ;   in Loop: Header=BB6_4897 Depth=2
	s_delay_alu instid0(SALU_CYCLE_1)
	s_or_b32 exec_lo, exec_lo, s24
.LBB6_6987:                             ;   in Loop: Header=BB6_4897 Depth=2
	s_delay_alu instid0(SALU_CYCLE_1) | instskip(SKIP_2) | instid1(VALU_DEP_1)
	s_or_b32 exec_lo, exec_lo, s7
	v_and_b32_e32 v2, 0xff, v11
	s_mov_b32 s7, exec_lo
	v_cmpx_ne_u16_e32 0, v2
	s_cbranch_execz .LBB6_6997
; %bb.6988:                             ;   in Loop: Header=BB6_4897 Depth=2
	v_bfrev_b32_e32 v1, 1
	s_mov_b32 s24, exec_lo
	v_cmpx_ne_u16_e32 0x80, v2
	s_cbranch_execz .LBB6_6996
; %bb.6989:                             ;   in Loop: Header=BB6_4897 Depth=2
	v_and_b32_e32 v1, 0x7c, v11
	v_and_b32_e32 v2, 3, v11
	s_delay_alu instid0(VALU_DEP_2) | instskip(SKIP_1) | instid1(SALU_CYCLE_1)
	v_cmp_ne_u32_e32 vcc_lo, 0x7c, v1
                                        ; implicit-def: $vgpr1
	s_and_saveexec_b32 s25, vcc_lo
	s_xor_b32 s25, exec_lo, s25
	s_cbranch_execz .LBB6_6993
; %bb.6990:                             ;   in Loop: Header=BB6_4897 Depth=2
	v_bfe_u32 v1, v11, 2, 5
	s_mov_b32 s26, exec_lo
	s_delay_alu instid0(VALU_DEP_1)
	v_cmpx_eq_u32_e32 0, v1
; %bb.6991:                             ;   in Loop: Header=BB6_4897 Depth=2
	v_clz_i32_u32_e32 v1, v2
	v_dual_mov_b32 v2, v11 :: v_dual_mov_b32 v3, v5
	s_delay_alu instid0(VALU_DEP_2) | instskip(NEXT) | instid1(VALU_DEP_1)
	v_min_u32_e32 v1, 32, v1
	v_subrev_nc_u32_e32 v99, 29, v1
	s_delay_alu instid0(VALU_DEP_1) | instskip(NEXT) | instid1(VALU_DEP_1)
	v_lshlrev_b64_e32 v[2:3], v99, v[2:3]
	v_dual_sub_nc_u32 v1, 30, v1 :: v_dual_bitop2_b32 v2, 3, v2 bitop3:0x40
; %bb.6992:                             ;   in Loop: Header=BB6_4897 Depth=2
	s_or_b32 exec_lo, exec_lo, s26
	v_lshlrev_b32_e32 v3, 24, v11
	s_delay_alu instid0(VALU_DEP_1) | instskip(NEXT) | instid1(VALU_DEP_1)
	v_and_b32_e32 v3, 0x80000000, v3
	v_lshl_add_u32 v1, v1, 23, v3
	s_delay_alu instid0(VALU_DEP_1) | instskip(NEXT) | instid1(VALU_DEP_1)
	v_lshl_or_b32 v1, v2, 21, v1
                                        ; implicit-def: $vgpr2
	v_add_nc_u32_e32 v1, 0x38000000, v1
.LBB6_6993:                             ;   in Loop: Header=BB6_4897 Depth=2
	s_and_not1_saveexec_b32 s25, s25
; %bb.6994:                             ;   in Loop: Header=BB6_4897 Depth=2
	v_bfe_i32 v1, v11, 0, 8
	s_delay_alu instid0(VALU_DEP_1) | instskip(SKIP_2) | instid1(VALU_DEP_2)
	v_cmp_lt_i16_e32 vcc_lo, -1, v1
	v_cndmask_b32_e32 v1, 0xff800000, v105, vcc_lo
	v_cmp_eq_u32_e32 vcc_lo, 0, v2
	v_cndmask_b32_e32 v1, 0x7f800001, v1, vcc_lo
; %bb.6995:                             ;   in Loop: Header=BB6_4897 Depth=2
	s_or_b32 exec_lo, exec_lo, s25
.LBB6_6996:                             ;   in Loop: Header=BB6_4897 Depth=2
	s_delay_alu instid0(SALU_CYCLE_1)
	s_or_b32 exec_lo, exec_lo, s24
.LBB6_6997:                             ;   in Loop: Header=BB6_4897 Depth=2
	s_delay_alu instid0(SALU_CYCLE_1) | instskip(NEXT) | instid1(VALU_DEP_1)
	s_or_b32 exec_lo, exec_lo, s7
	v_dual_mul_f32 v2, v0, v1 :: v_dual_mov_b32 v101, v5
	v_mov_b32_e32 v1, v5
                                        ; implicit-def: $vgpr99
	s_mov_b32 s7, exec_lo
	s_delay_alu instid0(VALU_DEP_2) | instskip(SKIP_2) | instid1(VALU_DEP_3)
	v_and_b32_e32 v100, 0x7f800000, v2
	v_and_b32_e32 v0, 0x7fffff, v2
	v_lshrrev_b32_e32 v3, 24, v2
	v_cmpx_ne_u64_e32 0x7f800000, v[100:101]
	s_xor_b32 s24, exec_lo, s7
	s_cbranch_execz .LBB6_7011
; %bb.6998:                             ;   in Loop: Header=BB6_4897 Depth=2
	v_and_b32_e32 v100, 0x7fffffff, v2
	v_mov_b32_e32 v101, v5
                                        ; implicit-def: $vgpr99
	s_delay_alu instid0(VALU_DEP_1) | instskip(SKIP_2) | instid1(SALU_CYCLE_1)
	v_cmp_gt_u64_e32 vcc_lo, 0x47600001, v[100:101]
	v_and_b32_e32 v100, 0x80, v3
	s_and_saveexec_b32 s7, vcc_lo
	s_xor_b32 s25, exec_lo, s7
	s_cbranch_execz .LBB6_7008
; %bb.6999:                             ;   in Loop: Header=BB6_4897 Depth=2
	v_mov_b32_e32 v99, 0
	s_mov_b32 s26, exec_lo
	v_cmpx_ne_u32_e32 0, v2
	s_cbranch_execz .LBB6_7007
; %bb.7000:                             ;   in Loop: Header=BB6_4897 Depth=2
	v_bfe_u32 v99, v2, 23, 8
	v_or_b32_e32 v3, 0x800000, v0
	s_delay_alu instid0(VALU_DEP_2) | instskip(SKIP_2) | instid1(VALU_DEP_2)
	v_cmp_gt_u32_e64 s7, 0x72, v99
	v_sub_nc_u32_e32 v2, 0x71, v99
	v_cmp_eq_u32_e32 vcc_lo, 0, v99
	v_dual_cndmask_b32 v2, 0, v2, s7 :: v_dual_cndmask_b32 v0, v3, v0, vcc_lo
	s_delay_alu instid0(VALU_DEP_1) | instskip(NEXT) | instid1(VALU_DEP_1)
	v_cndmask_b32_e64 v101, v2, 0x70, vcc_lo
	v_dual_add_nc_u32 v2, 21, v101 :: v_dual_add_nc_u32 v102, 20, v101
	s_delay_alu instid0(VALU_DEP_1) | instskip(NEXT) | instid1(VALU_DEP_2)
	v_lshlrev_b64_e64 v[2:3], v2, -1
	v_lshlrev_b64_e64 v[102:103], v102, 1
	s_delay_alu instid0(VALU_DEP_2) | instskip(SKIP_1) | instid1(VALU_DEP_4)
	v_bfi_b32 v2, v2, 0, v0
	v_lshrrev_b64 v[0:1], v101, v[0:1]
	v_bfi_b32 v3, v3, 0, 0
	s_delay_alu instid0(VALU_DEP_1) | instskip(NEXT) | instid1(VALU_DEP_3)
	v_cmp_eq_u64_e64 s7, v[2:3], v[102:103]
	v_mov_b64_e32 v[2:3], v[0:1]
	s_and_saveexec_b32 s27, s7
; %bb.7001:                             ;   in Loop: Header=BB6_4897 Depth=2
	v_bfe_u32 v2, v0, 21, 1
	v_mov_b32_e32 v3, v5
	s_delay_alu instid0(VALU_DEP_1) | instskip(NEXT) | instid1(VALU_DEP_1)
	v_add_nc_u64_e32 v[2:3], v[0:1], v[2:3]
	v_add_nc_u64_e32 v[2:3], -1, v[2:3]
; %bb.7002:                             ;   in Loop: Header=BB6_4897 Depth=2
	s_or_b32 exec_lo, exec_lo, s27
	v_add_nc_u32_e32 v1, 0xffffff81, v99
	v_lshrrev_b32_e32 v3, 23, v0
	s_mov_b32 s7, exec_lo
	s_delay_alu instid0(VALU_DEP_2) | instskip(NEXT) | instid1(VALU_DEP_1)
	v_cndmask_b32_e64 v1, v1, 0xffffff82, vcc_lo
	v_add3_u32 v99, v101, v1, v3
	v_and_b32_e32 v1, 0x1fffff, v2
                                        ; implicit-def: $vgpr2
	s_delay_alu instid0(VALU_DEP_1) | instskip(SKIP_1) | instid1(VALU_DEP_2)
	v_dual_add_nc_u32 v3, 14, v99 :: v_dual_add_nc_u32 v0, v1, v0
	v_mov_b32_e32 v1, v5
	v_cmpx_ne_u32_e32 0, v3
	s_xor_b32 s7, exec_lo, s7
; %bb.7003:                             ;   in Loop: Header=BB6_4897 Depth=2
	s_delay_alu instid0(VALU_DEP_2) | instskip(SKIP_1) | instid1(VALU_DEP_1)
	v_cmp_lt_u64_e32 vcc_lo, 0xffffff, v[0:1]
	v_add_nc_u32_e32 v2, 15, v99
	v_cndmask_b32_e32 v2, v3, v2, vcc_lo
	v_cndmask_b32_e64 v3, 0, 1, vcc_lo
	s_delay_alu instid0(VALU_DEP_1)
	v_lshrrev_b64 v[0:1], v3, v[0:1]
; %bb.7004:                             ;   in Loop: Header=BB6_4897 Depth=2
	s_and_not1_saveexec_b32 s7, s7
; %bb.7005:                             ;   in Loop: Header=BB6_4897 Depth=2
	s_delay_alu instid0(VALU_DEP_1)
	v_bfe_u32 v2, v0, 23, 1
; %bb.7006:                             ;   in Loop: Header=BB6_4897 Depth=2
	s_or_b32 exec_lo, exec_lo, s7
	s_delay_alu instid0(VALU_DEP_2) | instskip(NEXT) | instid1(VALU_DEP_2)
	v_lshrrev_b64 v[0:1], 21, v[0:1]
	v_cmp_gt_i32_e32 vcc_lo, 32, v2
	v_min_i32_e32 v3, 31, v2
	v_cmp_eq_u32_e64 s7, 0, v2
	s_delay_alu instid0(VALU_DEP_2) | instskip(SKIP_1) | instid1(VALU_DEP_2)
	v_dual_cndmask_b32 v1, 0, v1, vcc_lo :: v_dual_lshlrev_b32 v3, 2, v3
	v_cndmask_b32_e32 v0, 3, v0, vcc_lo
	v_and_b32_e32 v3, 0xfc, v3
	s_delay_alu instid0(VALU_DEP_2) | instskip(NEXT) | instid1(VALU_DEP_2)
	v_cmp_eq_u64_e32 vcc_lo, 0, v[0:1]
	v_and_or_b32 v0, v0, 3, v3
	s_and_b32 s7, s7, vcc_lo
	s_delay_alu instid0(VALU_DEP_1) | instid1(SALU_CYCLE_1)
	v_cndmask_b32_e64 v0, v0, 0, s7
	s_delay_alu instid0(VALU_DEP_1)
	v_or_b32_e32 v99, v0, v100
.LBB6_7007:                             ;   in Loop: Header=BB6_4897 Depth=2
	s_or_b32 exec_lo, exec_lo, s26
                                        ; implicit-def: $vgpr100
.LBB6_7008:                             ;   in Loop: Header=BB6_4897 Depth=2
	s_and_not1_saveexec_b32 s7, s25
; %bb.7009:                             ;   in Loop: Header=BB6_4897 Depth=2
	v_or_b32_e32 v99, 0x7b, v100
; %bb.7010:                             ;   in Loop: Header=BB6_4897 Depth=2
	s_or_b32 exec_lo, exec_lo, s7
                                        ; implicit-def: $vgpr2
                                        ; implicit-def: $vgpr0_vgpr1
                                        ; implicit-def: $vgpr3
.LBB6_7011:                             ;   in Loop: Header=BB6_4897 Depth=2
	s_and_not1_saveexec_b32 s7, s24
	s_cbranch_execz .LBB6_7017
; %bb.7012:                             ;   in Loop: Header=BB6_4897 Depth=2
	s_mov_b32 s24, exec_lo
                                        ; implicit-def: $vgpr99
	v_cmpx_ne_u64_e32 0, v[0:1]
	s_xor_b32 s24, exec_lo, s24
; %bb.7013:                             ;   in Loop: Header=BB6_4897 Depth=2
	v_or_b32_e32 v99, 0x7f, v3
                                        ; implicit-def: $vgpr2
; %bb.7014:                             ;   in Loop: Header=BB6_4897 Depth=2
	s_and_not1_saveexec_b32 s24, s24
; %bb.7015:                             ;   in Loop: Header=BB6_4897 Depth=2
	v_cmp_lt_i32_e32 vcc_lo, -1, v2
	v_cndmask_b32_e32 v99, 0xfc, v104, vcc_lo
; %bb.7016:                             ;   in Loop: Header=BB6_4897 Depth=2
	s_or_b32 exec_lo, exec_lo, s24
.LBB6_7017:                             ;   in Loop: Header=BB6_4897 Depth=2
	s_delay_alu instid0(SALU_CYCLE_1) | instskip(SKIP_3) | instid1(VALU_DEP_2)
	s_or_b32 exec_lo, exec_lo, s7
	v_lshrrev_b16 v0, 8, v4
	v_dual_mov_b32 v2, 0 :: v_dual_mov_b32 v3, 0
	s_mov_b32 s7, exec_lo
	v_cmpx_ne_u16_e32 0, v0
	s_cbranch_execz .LBB6_7027
; %bb.7018:                             ;   in Loop: Header=BB6_4897 Depth=2
	v_bfrev_b32_e32 v3, 1
	s_mov_b32 s24, exec_lo
	v_cmpx_ne_u16_e32 0x80, v0
	s_cbranch_execz .LBB6_7026
; %bb.7019:                             ;   in Loop: Header=BB6_4897 Depth=2
	v_and_b32_e32 v100, 0xffff, v0
	s_delay_alu instid0(VALU_DEP_1) | instskip(SKIP_1) | instid1(VALU_DEP_2)
	v_and_b32_e32 v3, 0x7c, v100
	v_and_b32_e32 v1, 3, v100
	v_cmp_ne_u32_e32 vcc_lo, 0x7c, v3
                                        ; implicit-def: $vgpr3
	s_and_saveexec_b32 s25, vcc_lo
	s_delay_alu instid0(SALU_CYCLE_1)
	s_xor_b32 s25, exec_lo, s25
	s_cbranch_execz .LBB6_7023
; %bb.7020:                             ;   in Loop: Header=BB6_4897 Depth=2
	v_bfe_u32 v3, v100, 2, 5
	s_mov_b32 s26, exec_lo
	s_delay_alu instid0(VALU_DEP_1)
	v_cmpx_eq_u32_e32 0, v3
	s_cbranch_execz .LBB6_7022
; %bb.7021:                             ;   in Loop: Header=BB6_4897 Depth=2
	v_clz_i32_u32_e32 v1, v1
	s_delay_alu instid0(VALU_DEP_1) | instskip(SKIP_1) | instid1(VALU_DEP_2)
	v_min_u32_e32 v3, 32, v1
	v_mov_b32_e32 v1, v5
	v_subrev_nc_u32_e32 v100, 29, v3
	v_sub_nc_u32_e32 v3, 30, v3
	s_delay_alu instid0(VALU_DEP_2) | instskip(NEXT) | instid1(VALU_DEP_1)
	v_lshlrev_b64_e32 v[0:1], v100, v[0:1]
	v_and_b32_e32 v1, 3, v0
.LBB6_7022:                             ;   in Loop: Header=BB6_4897 Depth=2
	s_or_b32 exec_lo, exec_lo, s26
	v_lshlrev_b32_e32 v0, 16, v4
	s_delay_alu instid0(VALU_DEP_1) | instskip(NEXT) | instid1(VALU_DEP_1)
	v_and_b32_e32 v0, 0x80000000, v0
	v_lshl_add_u32 v0, v3, 23, v0
	s_delay_alu instid0(VALU_DEP_1) | instskip(NEXT) | instid1(VALU_DEP_1)
	v_lshl_or_b32 v0, v1, 21, v0
                                        ; implicit-def: $vgpr1
	v_add_nc_u32_e32 v3, 0x38000000, v0
.LBB6_7023:                             ;   in Loop: Header=BB6_4897 Depth=2
	s_and_not1_saveexec_b32 s25, s25
; %bb.7024:                             ;   in Loop: Header=BB6_4897 Depth=2
	v_cmp_lt_i16_e32 vcc_lo, -1, v4
	v_cndmask_b32_e32 v0, 0xff800000, v105, vcc_lo
	v_cmp_eq_u32_e32 vcc_lo, 0, v1
	s_delay_alu instid0(VALU_DEP_2)
	v_cndmask_b32_e32 v3, 0x7f800001, v0, vcc_lo
; %bb.7025:                             ;   in Loop: Header=BB6_4897 Depth=2
	s_or_b32 exec_lo, exec_lo, s25
.LBB6_7026:                             ;   in Loop: Header=BB6_4897 Depth=2
	s_delay_alu instid0(SALU_CYCLE_1)
	s_or_b32 exec_lo, exec_lo, s24
.LBB6_7027:                             ;   in Loop: Header=BB6_4897 Depth=2
	s_delay_alu instid0(SALU_CYCLE_1) | instskip(SKIP_2) | instid1(VALU_DEP_1)
	s_or_b32 exec_lo, exec_lo, s7
	v_lshrrev_b16 v0, 8, v11
	s_mov_b32 s7, exec_lo
	v_cmpx_ne_u16_e32 0, v0
	s_cbranch_execz .LBB6_7037
; %bb.7028:                             ;   in Loop: Header=BB6_4897 Depth=2
	v_bfrev_b32_e32 v2, 1
	s_mov_b32 s24, exec_lo
	v_cmpx_ne_u16_e32 0x80, v0
	s_cbranch_execz .LBB6_7036
; %bb.7029:                             ;   in Loop: Header=BB6_4897 Depth=2
	v_and_b32_e32 v4, 0xffff, v0
	s_delay_alu instid0(VALU_DEP_1) | instskip(SKIP_1) | instid1(VALU_DEP_2)
	v_and_b32_e32 v2, 0x7c, v4
	v_and_b32_e32 v1, 3, v4
	v_cmp_ne_u32_e32 vcc_lo, 0x7c, v2
                                        ; implicit-def: $vgpr2
	s_and_saveexec_b32 s25, vcc_lo
	s_delay_alu instid0(SALU_CYCLE_1)
	s_xor_b32 s25, exec_lo, s25
	s_cbranch_execz .LBB6_7033
; %bb.7030:                             ;   in Loop: Header=BB6_4897 Depth=2
	v_bfe_u32 v2, v4, 2, 5
	s_mov_b32 s26, exec_lo
	s_delay_alu instid0(VALU_DEP_1)
	v_cmpx_eq_u32_e32 0, v2
	s_cbranch_execz .LBB6_7032
; %bb.7031:                             ;   in Loop: Header=BB6_4897 Depth=2
	v_clz_i32_u32_e32 v1, v1
	s_delay_alu instid0(VALU_DEP_1) | instskip(SKIP_1) | instid1(VALU_DEP_2)
	v_min_u32_e32 v2, 32, v1
	v_mov_b32_e32 v1, v5
	v_subrev_nc_u32_e32 v4, 29, v2
	v_sub_nc_u32_e32 v2, 30, v2
	s_delay_alu instid0(VALU_DEP_2) | instskip(NEXT) | instid1(VALU_DEP_1)
	v_lshlrev_b64_e32 v[0:1], v4, v[0:1]
	v_and_b32_e32 v1, 3, v0
.LBB6_7032:                             ;   in Loop: Header=BB6_4897 Depth=2
	s_or_b32 exec_lo, exec_lo, s26
	v_lshlrev_b32_e32 v0, 16, v11
	s_delay_alu instid0(VALU_DEP_1) | instskip(NEXT) | instid1(VALU_DEP_1)
	v_and_b32_e32 v0, 0x80000000, v0
	v_lshl_add_u32 v0, v2, 23, v0
	s_delay_alu instid0(VALU_DEP_1) | instskip(NEXT) | instid1(VALU_DEP_1)
	v_lshl_or_b32 v0, v1, 21, v0
                                        ; implicit-def: $vgpr1
	v_add_nc_u32_e32 v2, 0x38000000, v0
.LBB6_7033:                             ;   in Loop: Header=BB6_4897 Depth=2
	s_and_not1_saveexec_b32 s25, s25
; %bb.7034:                             ;   in Loop: Header=BB6_4897 Depth=2
	v_cmp_lt_i16_e32 vcc_lo, -1, v11
	v_cndmask_b32_e32 v0, 0xff800000, v105, vcc_lo
	v_cmp_eq_u32_e32 vcc_lo, 0, v1
	s_delay_alu instid0(VALU_DEP_2)
	v_cndmask_b32_e32 v2, 0x7f800001, v0, vcc_lo
; %bb.7035:                             ;   in Loop: Header=BB6_4897 Depth=2
	s_or_b32 exec_lo, exec_lo, s25
.LBB6_7036:                             ;   in Loop: Header=BB6_4897 Depth=2
	s_delay_alu instid0(SALU_CYCLE_1)
	s_or_b32 exec_lo, exec_lo, s24
.LBB6_7037:                             ;   in Loop: Header=BB6_4897 Depth=2
	s_delay_alu instid0(SALU_CYCLE_1) | instskip(NEXT) | instid1(VALU_DEP_1)
	s_or_b32 exec_lo, exec_lo, s7
	v_dual_mul_f32 v0, v3, v2 :: v_dual_mov_b32 v3, v5
                                        ; implicit-def: $vgpr100
	s_mov_b32 s7, exec_lo
	s_delay_alu instid0(VALU_DEP_1) | instskip(SKIP_2) | instid1(VALU_DEP_3)
	v_and_b32_e32 v2, 0x7f800000, v0
	v_and_b32_e32 v4, 0x7fffff, v0
	v_lshrrev_b32_e32 v1, 24, v0
	v_cmpx_ne_u64_e32 0x7f800000, v[2:3]
	s_xor_b32 s24, exec_lo, s7
	s_cbranch_execz .LBB6_7051
; %bb.7038:                             ;   in Loop: Header=BB6_4897 Depth=2
	v_and_b32_e32 v2, 0x7fffffff, v0
	v_mov_b32_e32 v3, v5
	v_and_b32_e32 v101, 0x80, v1
                                        ; implicit-def: $vgpr100
	s_mov_b32 s7, exec_lo
	s_delay_alu instid0(VALU_DEP_2)
	v_cmpx_gt_u64_e32 0x47600001, v[2:3]
	s_xor_b32 s25, exec_lo, s7
	s_cbranch_execz .LBB6_7048
; %bb.7039:                             ;   in Loop: Header=BB6_4897 Depth=2
	v_mov_b32_e32 v100, 0
	s_mov_b32 s26, exec_lo
	v_cmpx_ne_u32_e32 0, v0
	s_cbranch_execz .LBB6_7047
; %bb.7040:                             ;   in Loop: Header=BB6_4897 Depth=2
	v_bfe_u32 v100, v0, 23, 8
	v_or_b32_e32 v1, 0x800000, v4
	s_delay_alu instid0(VALU_DEP_2) | instskip(SKIP_2) | instid1(VALU_DEP_2)
	v_cmp_gt_u32_e64 s7, 0x72, v100
	v_sub_nc_u32_e32 v0, 0x71, v100
	v_cmp_eq_u32_e32 vcc_lo, 0, v100
	v_cndmask_b32_e64 v0, 0, v0, s7
	s_delay_alu instid0(VALU_DEP_1) | instskip(SKIP_1) | instid1(VALU_DEP_2)
	v_cndmask_b32_e64 v102, v0, 0x70, vcc_lo
	v_cndmask_b32_e32 v0, v1, v4, vcc_lo
	v_dual_mov_b32 v1, v5 :: v_dual_add_nc_u32 v2, 21, v102
	v_add_nc_u32_e32 v4, 20, v102
	s_delay_alu instid0(VALU_DEP_2) | instskip(NEXT) | instid1(VALU_DEP_2)
	v_lshlrev_b64_e64 v[2:3], v2, -1
	v_lshlrev_b64_e64 v[112:113], v4, 1
	s_delay_alu instid0(VALU_DEP_2) | instskip(SKIP_1) | instid1(VALU_DEP_4)
	v_bfi_b32 v2, v2, 0, v0
	v_lshrrev_b64 v[0:1], v102, v[0:1]
	v_bfi_b32 v3, v3, 0, 0
	s_delay_alu instid0(VALU_DEP_1) | instskip(NEXT) | instid1(VALU_DEP_3)
	v_cmp_eq_u64_e64 s7, v[2:3], v[112:113]
	v_mov_b64_e32 v[2:3], v[0:1]
	s_and_saveexec_b32 s27, s7
; %bb.7041:                             ;   in Loop: Header=BB6_4897 Depth=2
	v_bfe_u32 v2, v0, 21, 1
	v_mov_b32_e32 v3, v5
	s_delay_alu instid0(VALU_DEP_1) | instskip(NEXT) | instid1(VALU_DEP_1)
	v_add_nc_u64_e32 v[2:3], v[0:1], v[2:3]
	v_add_nc_u64_e32 v[2:3], -1, v[2:3]
; %bb.7042:                             ;   in Loop: Header=BB6_4897 Depth=2
	s_or_b32 exec_lo, exec_lo, s27
	v_add_nc_u32_e32 v1, 0xffffff81, v100
	v_lshrrev_b32_e32 v3, 23, v0
	s_mov_b32 s7, exec_lo
	s_delay_alu instid0(VALU_DEP_2) | instskip(NEXT) | instid1(VALU_DEP_1)
	v_cndmask_b32_e64 v1, v1, 0xffffff82, vcc_lo
	v_add3_u32 v100, v102, v1, v3
	v_and_b32_e32 v1, 0x1fffff, v2
                                        ; implicit-def: $vgpr2
	s_delay_alu instid0(VALU_DEP_2) | instskip(NEXT) | instid1(VALU_DEP_2)
	v_add_nc_u32_e32 v3, 14, v100
	v_add_nc_u32_e32 v4, v1, v0
                                        ; implicit-def: $vgpr0_vgpr1
	s_delay_alu instid0(VALU_DEP_2)
	v_cmpx_ne_u32_e32 0, v3
	s_xor_b32 s7, exec_lo, s7
; %bb.7043:                             ;   in Loop: Header=BB6_4897 Depth=2
	s_delay_alu instid0(VALU_DEP_2) | instskip(SKIP_1) | instid1(VALU_DEP_1)
	v_cmp_lt_u64_e32 vcc_lo, 0xffffff, v[4:5]
	v_add_nc_u32_e32 v0, 15, v100
	v_cndmask_b32_e32 v2, v3, v0, vcc_lo
	v_cndmask_b32_e64 v0, 0, 1, vcc_lo
	s_delay_alu instid0(VALU_DEP_1)
	v_lshrrev_b64 v[0:1], v0, v[4:5]
; %bb.7044:                             ;   in Loop: Header=BB6_4897 Depth=2
	s_and_not1_saveexec_b32 s7, s7
; %bb.7045:                             ;   in Loop: Header=BB6_4897 Depth=2
	v_mov_b64_e32 v[0:1], v[4:5]
	v_bfe_u32 v2, v4, 23, 1
; %bb.7046:                             ;   in Loop: Header=BB6_4897 Depth=2
	s_or_b32 exec_lo, exec_lo, s7
	s_delay_alu instid0(VALU_DEP_2) | instskip(NEXT) | instid1(VALU_DEP_2)
	v_lshrrev_b64 v[0:1], 21, v[0:1]
	v_cmp_gt_i32_e32 vcc_lo, 32, v2
	v_min_i32_e32 v3, 31, v2
	v_cmp_eq_u32_e64 s7, 0, v2
	s_delay_alu instid0(VALU_DEP_2) | instskip(SKIP_1) | instid1(VALU_DEP_2)
	v_dual_cndmask_b32 v1, 0, v1, vcc_lo :: v_dual_lshlrev_b32 v3, 2, v3
	v_cndmask_b32_e32 v0, 3, v0, vcc_lo
	v_and_b32_e32 v3, 0xfc, v3
	s_delay_alu instid0(VALU_DEP_2) | instskip(NEXT) | instid1(VALU_DEP_2)
	v_cmp_eq_u64_e32 vcc_lo, 0, v[0:1]
	v_and_or_b32 v0, v0, 3, v3
	s_and_b32 s7, s7, vcc_lo
	s_delay_alu instid0(VALU_DEP_1) | instid1(SALU_CYCLE_1)
	v_cndmask_b32_e64 v0, v0, 0, s7
	s_delay_alu instid0(VALU_DEP_1)
	v_or_b32_e32 v100, v0, v101
.LBB6_7047:                             ;   in Loop: Header=BB6_4897 Depth=2
	s_or_b32 exec_lo, exec_lo, s26
                                        ; implicit-def: $vgpr101
.LBB6_7048:                             ;   in Loop: Header=BB6_4897 Depth=2
	s_and_not1_saveexec_b32 s7, s25
; %bb.7049:                             ;   in Loop: Header=BB6_4897 Depth=2
	v_or_b32_e32 v100, 0x7b, v101
; %bb.7050:                             ;   in Loop: Header=BB6_4897 Depth=2
	s_or_b32 exec_lo, exec_lo, s7
                                        ; implicit-def: $vgpr0
                                        ; implicit-def: $vgpr1
.LBB6_7051:                             ;   in Loop: Header=BB6_4897 Depth=2
	s_and_not1_saveexec_b32 s7, s24
	s_cbranch_execz .LBB6_7057
; %bb.7052:                             ;   in Loop: Header=BB6_4897 Depth=2
	s_mov_b32 s24, exec_lo
                                        ; implicit-def: $vgpr100
	v_cmpx_ne_u64_e32 0, v[4:5]
	s_xor_b32 s24, exec_lo, s24
; %bb.7053:                             ;   in Loop: Header=BB6_4897 Depth=2
	v_or_b32_e32 v100, 0x7f, v1
                                        ; implicit-def: $vgpr0
; %bb.7054:                             ;   in Loop: Header=BB6_4897 Depth=2
	s_and_not1_saveexec_b32 s24, s24
; %bb.7055:                             ;   in Loop: Header=BB6_4897 Depth=2
	v_cmp_lt_i32_e32 vcc_lo, -1, v0
	v_cndmask_b32_e32 v100, 0xfc, v104, vcc_lo
; %bb.7056:                             ;   in Loop: Header=BB6_4897 Depth=2
	s_or_b32 exec_lo, exec_lo, s24
.LBB6_7057:                             ;   in Loop: Header=BB6_4897 Depth=2
	s_delay_alu instid0(SALU_CYCLE_1) | instskip(SKIP_3) | instid1(VALU_DEP_2)
	s_or_b32 exec_lo, exec_lo, s7
	v_dual_mov_b32 v1, 0 :: v_dual_lshrrev_b32 v0, 16, v15
	v_mov_b32_e32 v2, 0
	s_mov_b32 s24, exec_lo
	v_and_b32_e32 v3, 0xff, v0
	s_delay_alu instid0(VALU_DEP_1)
	v_cmpx_ne_u16_e32 0, v3
	s_cbranch_execz .LBB6_7067
; %bb.7058:                             ;   in Loop: Header=BB6_4897 Depth=2
	v_bfrev_b32_e32 v2, 1
	s_mov_b32 s25, exec_lo
	v_cmpx_ne_u16_e32 0x80, v3
	s_cbranch_execz .LBB6_7066
; %bb.7059:                             ;   in Loop: Header=BB6_4897 Depth=2
	v_and_b32_e32 v2, 0x7c0000, v15
	v_bfe_u32 v3, v15, 16, 2
	s_delay_alu instid0(VALU_DEP_2) | instskip(SKIP_1) | instid1(SALU_CYCLE_1)
	v_cmp_ne_u32_e32 vcc_lo, 0x7c0000, v2
                                        ; implicit-def: $vgpr2
	s_and_saveexec_b32 s7, vcc_lo
	s_xor_b32 s7, exec_lo, s7
	s_cbranch_execz .LBB6_7063
; %bb.7060:                             ;   in Loop: Header=BB6_4897 Depth=2
	v_bfe_u32 v2, v15, 18, 5
	s_mov_b32 s26, exec_lo
	s_delay_alu instid0(VALU_DEP_1)
	v_cmpx_eq_u32_e32 0, v2
; %bb.7061:                             ;   in Loop: Header=BB6_4897 Depth=2
	v_clz_i32_u32_e32 v2, v3
	s_delay_alu instid0(VALU_DEP_1) | instskip(NEXT) | instid1(VALU_DEP_1)
	v_min_u32_e32 v2, 32, v2
	v_subrev_nc_u32_e32 v3, 29, v2
	v_sub_nc_u32_e32 v2, 30, v2
	s_delay_alu instid0(VALU_DEP_2) | instskip(NEXT) | instid1(VALU_DEP_1)
	v_lshlrev_b64_e32 v[102:103], v3, v[0:1]
	v_and_b32_e32 v3, 3, v102
; %bb.7062:                             ;   in Loop: Header=BB6_4897 Depth=2
	s_or_b32 exec_lo, exec_lo, s26
	v_lshlrev_b32_e32 v0, 24, v0
	s_delay_alu instid0(VALU_DEP_1) | instskip(NEXT) | instid1(VALU_DEP_1)
	v_and_b32_e32 v0, 0x80000000, v0
	v_lshl_add_u32 v0, v2, 23, v0
	s_delay_alu instid0(VALU_DEP_1) | instskip(NEXT) | instid1(VALU_DEP_1)
	v_lshl_or_b32 v0, v3, 21, v0
                                        ; implicit-def: $vgpr3
	v_add_nc_u32_e32 v2, 0x38000000, v0
                                        ; implicit-def: $vgpr0
.LBB6_7063:                             ;   in Loop: Header=BB6_4897 Depth=2
	s_and_not1_saveexec_b32 s26, s7
; %bb.7064:                             ;   in Loop: Header=BB6_4897 Depth=2
	v_bfe_i32 v0, v0, 0, 8
	v_cmp_eq_u32_e32 vcc_lo, 0, v3
	s_delay_alu instid0(VALU_DEP_2) | instskip(NEXT) | instid1(VALU_DEP_1)
	v_cmp_lt_i16_e64 s7, -1, v0
	v_cndmask_b32_e64 v0, 0xff800000, v105, s7
	s_delay_alu instid0(VALU_DEP_1)
	v_cndmask_b32_e32 v2, 0x7f800001, v0, vcc_lo
; %bb.7065:                             ;   in Loop: Header=BB6_4897 Depth=2
	s_or_b32 exec_lo, exec_lo, s26
.LBB6_7066:                             ;   in Loop: Header=BB6_4897 Depth=2
	s_delay_alu instid0(SALU_CYCLE_1)
	s_or_b32 exec_lo, exec_lo, s25
.LBB6_7067:                             ;   in Loop: Header=BB6_4897 Depth=2
	s_delay_alu instid0(SALU_CYCLE_1) | instskip(SKIP_2) | instid1(VALU_DEP_1)
	s_or_b32 exec_lo, exec_lo, s24
	v_lshrrev_b32_e32 v0, 16, v11
	s_mov_b32 s24, exec_lo
	v_and_b32_e32 v3, 0xff, v0
	s_delay_alu instid0(VALU_DEP_1)
	v_cmpx_ne_u16_e32 0, v3
	s_cbranch_execz .LBB6_7077
; %bb.7068:                             ;   in Loop: Header=BB6_4897 Depth=2
	v_bfrev_b32_e32 v1, 1
	s_mov_b32 s25, exec_lo
	v_cmpx_ne_u16_e32 0x80, v3
	s_cbranch_execz .LBB6_7076
; %bb.7069:                             ;   in Loop: Header=BB6_4897 Depth=2
	v_and_b32_e32 v1, 0x7c0000, v11
	v_bfe_u32 v3, v11, 16, 2
	s_delay_alu instid0(VALU_DEP_2) | instskip(SKIP_1) | instid1(SALU_CYCLE_1)
	v_cmp_ne_u32_e32 vcc_lo, 0x7c0000, v1
                                        ; implicit-def: $vgpr1
	s_and_saveexec_b32 s7, vcc_lo
	s_xor_b32 s7, exec_lo, s7
	s_cbranch_execz .LBB6_7073
; %bb.7070:                             ;   in Loop: Header=BB6_4897 Depth=2
	v_bfe_u32 v1, v11, 18, 5
	s_mov_b32 s26, exec_lo
	s_delay_alu instid0(VALU_DEP_1)
	v_cmpx_eq_u32_e32 0, v1
; %bb.7071:                             ;   in Loop: Header=BB6_4897 Depth=2
	v_clz_i32_u32_e32 v1, v3
	s_delay_alu instid0(VALU_DEP_1) | instskip(NEXT) | instid1(VALU_DEP_1)
	v_min_u32_e32 v1, 32, v1
	v_subrev_nc_u32_e32 v3, 29, v1
	s_delay_alu instid0(VALU_DEP_1) | instskip(NEXT) | instid1(VALU_DEP_1)
	v_lshlrev_b64_e32 v[102:103], v3, v[0:1]
	v_dual_sub_nc_u32 v1, 30, v1 :: v_dual_bitop2_b32 v3, 3, v102 bitop3:0x40
; %bb.7072:                             ;   in Loop: Header=BB6_4897 Depth=2
	s_or_b32 exec_lo, exec_lo, s26
	v_lshlrev_b32_e32 v0, 24, v0
	s_delay_alu instid0(VALU_DEP_1) | instskip(NEXT) | instid1(VALU_DEP_1)
	v_and_b32_e32 v0, 0x80000000, v0
	v_lshl_add_u32 v0, v1, 23, v0
	s_delay_alu instid0(VALU_DEP_1) | instskip(NEXT) | instid1(VALU_DEP_1)
	v_lshl_or_b32 v0, v3, 21, v0
                                        ; implicit-def: $vgpr3
	v_add_nc_u32_e32 v1, 0x38000000, v0
                                        ; implicit-def: $vgpr0
.LBB6_7073:                             ;   in Loop: Header=BB6_4897 Depth=2
	s_and_not1_saveexec_b32 s26, s7
; %bb.7074:                             ;   in Loop: Header=BB6_4897 Depth=2
	v_bfe_i32 v0, v0, 0, 8
	v_cmp_eq_u32_e32 vcc_lo, 0, v3
	s_delay_alu instid0(VALU_DEP_2) | instskip(NEXT) | instid1(VALU_DEP_1)
	v_cmp_lt_i16_e64 s7, -1, v0
	v_cndmask_b32_e64 v0, 0xff800000, v105, s7
	s_delay_alu instid0(VALU_DEP_1)
	v_cndmask_b32_e32 v1, 0x7f800001, v0, vcc_lo
; %bb.7075:                             ;   in Loop: Header=BB6_4897 Depth=2
	s_or_b32 exec_lo, exec_lo, s26
.LBB6_7076:                             ;   in Loop: Header=BB6_4897 Depth=2
	s_delay_alu instid0(SALU_CYCLE_1)
	s_or_b32 exec_lo, exec_lo, s25
.LBB6_7077:                             ;   in Loop: Header=BB6_4897 Depth=2
	s_delay_alu instid0(SALU_CYCLE_1) | instskip(NEXT) | instid1(VALU_DEP_1)
	s_or_b32 exec_lo, exec_lo, s24
	v_dual_mul_f32 v0, v2, v1 :: v_dual_mov_b32 v3, v5
                                        ; implicit-def: $vgpr101
	s_mov_b32 s7, exec_lo
	s_delay_alu instid0(VALU_DEP_1) | instskip(SKIP_2) | instid1(VALU_DEP_3)
	v_and_b32_e32 v2, 0x7f800000, v0
	v_and_b32_e32 v4, 0x7fffff, v0
	v_lshrrev_b32_e32 v1, 24, v0
	v_cmpx_ne_u64_e32 0x7f800000, v[2:3]
	s_xor_b32 s24, exec_lo, s7
	s_cbranch_execz .LBB6_7091
; %bb.7078:                             ;   in Loop: Header=BB6_4897 Depth=2
	v_and_b32_e32 v2, 0x7fffffff, v0
	v_mov_b32_e32 v3, v5
	v_and_b32_e32 v102, 0x80, v1
                                        ; implicit-def: $vgpr101
	s_mov_b32 s7, exec_lo
	s_delay_alu instid0(VALU_DEP_2)
	v_cmpx_gt_u64_e32 0x47600001, v[2:3]
	s_xor_b32 s25, exec_lo, s7
	s_cbranch_execz .LBB6_7088
; %bb.7079:                             ;   in Loop: Header=BB6_4897 Depth=2
	v_mov_b32_e32 v101, 0
	s_mov_b32 s26, exec_lo
	v_cmpx_ne_u32_e32 0, v0
	s_cbranch_execz .LBB6_7087
; %bb.7080:                             ;   in Loop: Header=BB6_4897 Depth=2
	v_bfe_u32 v101, v0, 23, 8
	v_or_b32_e32 v1, 0x800000, v4
	s_delay_alu instid0(VALU_DEP_2) | instskip(SKIP_2) | instid1(VALU_DEP_2)
	v_cmp_gt_u32_e64 s7, 0x72, v101
	v_sub_nc_u32_e32 v0, 0x71, v101
	v_cmp_eq_u32_e32 vcc_lo, 0, v101
	v_cndmask_b32_e64 v0, 0, v0, s7
	s_delay_alu instid0(VALU_DEP_1) | instskip(SKIP_1) | instid1(VALU_DEP_2)
	v_cndmask_b32_e64 v103, v0, 0x70, vcc_lo
	v_cndmask_b32_e32 v0, v1, v4, vcc_lo
	v_dual_mov_b32 v1, v5 :: v_dual_add_nc_u32 v2, 21, v103
	v_add_nc_u32_e32 v4, 20, v103
	s_delay_alu instid0(VALU_DEP_2) | instskip(NEXT) | instid1(VALU_DEP_2)
	v_lshlrev_b64_e64 v[2:3], v2, -1
	v_lshlrev_b64_e64 v[112:113], v4, 1
	s_delay_alu instid0(VALU_DEP_2) | instskip(SKIP_1) | instid1(VALU_DEP_4)
	v_bfi_b32 v2, v2, 0, v0
	v_lshrrev_b64 v[0:1], v103, v[0:1]
	v_bfi_b32 v3, v3, 0, 0
	s_delay_alu instid0(VALU_DEP_1) | instskip(NEXT) | instid1(VALU_DEP_3)
	v_cmp_eq_u64_e64 s7, v[2:3], v[112:113]
	v_mov_b64_e32 v[2:3], v[0:1]
	s_and_saveexec_b32 s27, s7
; %bb.7081:                             ;   in Loop: Header=BB6_4897 Depth=2
	v_bfe_u32 v2, v0, 21, 1
	v_mov_b32_e32 v3, v5
	s_delay_alu instid0(VALU_DEP_1) | instskip(NEXT) | instid1(VALU_DEP_1)
	v_add_nc_u64_e32 v[2:3], v[0:1], v[2:3]
	v_add_nc_u64_e32 v[2:3], -1, v[2:3]
; %bb.7082:                             ;   in Loop: Header=BB6_4897 Depth=2
	s_or_b32 exec_lo, exec_lo, s27
	v_add_nc_u32_e32 v1, 0xffffff81, v101
	v_lshrrev_b32_e32 v3, 23, v0
	s_mov_b32 s7, exec_lo
	s_delay_alu instid0(VALU_DEP_2) | instskip(NEXT) | instid1(VALU_DEP_1)
	v_cndmask_b32_e64 v1, v1, 0xffffff82, vcc_lo
	v_add3_u32 v101, v103, v1, v3
	v_and_b32_e32 v1, 0x1fffff, v2
                                        ; implicit-def: $vgpr2
	s_delay_alu instid0(VALU_DEP_1) | instskip(NEXT) | instid1(VALU_DEP_1)
	v_dual_add_nc_u32 v3, 14, v101 :: v_dual_add_nc_u32 v4, v1, v0
                                        ; implicit-def: $vgpr0_vgpr1
	v_cmpx_ne_u32_e32 0, v3
	s_xor_b32 s7, exec_lo, s7
; %bb.7083:                             ;   in Loop: Header=BB6_4897 Depth=2
	s_delay_alu instid0(VALU_DEP_2) | instskip(SKIP_1) | instid1(VALU_DEP_1)
	v_cmp_lt_u64_e32 vcc_lo, 0xffffff, v[4:5]
	v_add_nc_u32_e32 v0, 15, v101
	v_cndmask_b32_e32 v2, v3, v0, vcc_lo
	v_cndmask_b32_e64 v0, 0, 1, vcc_lo
	s_delay_alu instid0(VALU_DEP_1)
	v_lshrrev_b64 v[0:1], v0, v[4:5]
; %bb.7084:                             ;   in Loop: Header=BB6_4897 Depth=2
	s_and_not1_saveexec_b32 s7, s7
; %bb.7085:                             ;   in Loop: Header=BB6_4897 Depth=2
	v_mov_b64_e32 v[0:1], v[4:5]
	v_bfe_u32 v2, v4, 23, 1
; %bb.7086:                             ;   in Loop: Header=BB6_4897 Depth=2
	s_or_b32 exec_lo, exec_lo, s7
	s_delay_alu instid0(VALU_DEP_2) | instskip(NEXT) | instid1(VALU_DEP_2)
	v_lshrrev_b64 v[0:1], 21, v[0:1]
	v_cmp_gt_i32_e32 vcc_lo, 32, v2
	v_min_i32_e32 v3, 31, v2
	v_cmp_eq_u32_e64 s7, 0, v2
	s_delay_alu instid0(VALU_DEP_2) | instskip(SKIP_1) | instid1(VALU_DEP_2)
	v_dual_cndmask_b32 v1, 0, v1, vcc_lo :: v_dual_lshlrev_b32 v3, 2, v3
	v_cndmask_b32_e32 v0, 3, v0, vcc_lo
	v_and_b32_e32 v3, 0xfc, v3
	s_delay_alu instid0(VALU_DEP_2) | instskip(NEXT) | instid1(VALU_DEP_2)
	v_cmp_eq_u64_e32 vcc_lo, 0, v[0:1]
	v_and_or_b32 v0, v0, 3, v3
	s_and_b32 s7, s7, vcc_lo
	s_delay_alu instid0(VALU_DEP_1) | instid1(SALU_CYCLE_1)
	v_cndmask_b32_e64 v0, v0, 0, s7
	s_delay_alu instid0(VALU_DEP_1)
	v_or_b32_e32 v101, v0, v102
.LBB6_7087:                             ;   in Loop: Header=BB6_4897 Depth=2
	s_or_b32 exec_lo, exec_lo, s26
                                        ; implicit-def: $vgpr102
.LBB6_7088:                             ;   in Loop: Header=BB6_4897 Depth=2
	s_and_not1_saveexec_b32 s7, s25
; %bb.7089:                             ;   in Loop: Header=BB6_4897 Depth=2
	v_or_b32_e32 v101, 0x7b, v102
; %bb.7090:                             ;   in Loop: Header=BB6_4897 Depth=2
	s_or_b32 exec_lo, exec_lo, s7
                                        ; implicit-def: $vgpr0
                                        ; implicit-def: $vgpr1
.LBB6_7091:                             ;   in Loop: Header=BB6_4897 Depth=2
	s_and_not1_saveexec_b32 s7, s24
	s_cbranch_execz .LBB6_7097
; %bb.7092:                             ;   in Loop: Header=BB6_4897 Depth=2
	s_mov_b32 s24, exec_lo
                                        ; implicit-def: $vgpr101
	v_cmpx_ne_u64_e32 0, v[4:5]
	s_xor_b32 s24, exec_lo, s24
; %bb.7093:                             ;   in Loop: Header=BB6_4897 Depth=2
	v_or_b32_e32 v101, 0x7f, v1
                                        ; implicit-def: $vgpr0
; %bb.7094:                             ;   in Loop: Header=BB6_4897 Depth=2
	s_and_not1_saveexec_b32 s24, s24
; %bb.7095:                             ;   in Loop: Header=BB6_4897 Depth=2
	v_cmp_lt_i32_e32 vcc_lo, -1, v0
	v_cndmask_b32_e32 v101, 0xfc, v104, vcc_lo
; %bb.7096:                             ;   in Loop: Header=BB6_4897 Depth=2
	s_or_b32 exec_lo, exec_lo, s24
.LBB6_7097:                             ;   in Loop: Header=BB6_4897 Depth=2
	s_delay_alu instid0(SALU_CYCLE_1)
	s_or_b32 exec_lo, exec_lo, s7
	v_dual_mov_b32 v1, 0 :: v_dual_mov_b32 v2, 0
	s_mov_b32 s7, exec_lo
	v_cmpx_lt_u64_e64 s[12:13], v[14:15]
	s_cbranch_execz .LBB6_7107
; %bb.7098:                             ;   in Loop: Header=BB6_4897 Depth=2
	v_lshrrev_b32_e32 v0, 24, v15
	v_bfrev_b32_e32 v2, 1
	s_mov_b32 s24, exec_lo
	s_delay_alu instid0(VALU_DEP_2)
	v_cmpx_ne_u32_e32 0x80, v0
	s_cbranch_execz .LBB6_7106
; %bb.7099:                             ;   in Loop: Header=BB6_4897 Depth=2
	v_and_b32_e32 v2, 0x7c000000, v15
	v_bfe_u32 v3, v15, 24, 2
	s_delay_alu instid0(VALU_DEP_2) | instskip(SKIP_1) | instid1(SALU_CYCLE_1)
	v_cmp_ne_u32_e32 vcc_lo, 0x7c000000, v2
                                        ; implicit-def: $vgpr2
	s_and_saveexec_b32 s25, vcc_lo
	s_xor_b32 s25, exec_lo, s25
	s_cbranch_execz .LBB6_7103
; %bb.7100:                             ;   in Loop: Header=BB6_4897 Depth=2
	v_bfe_u32 v2, v15, 26, 5
	s_mov_b32 s26, exec_lo
	s_delay_alu instid0(VALU_DEP_1)
	v_cmpx_eq_u32_e32 0, v2
; %bb.7101:                             ;   in Loop: Header=BB6_4897 Depth=2
	v_clz_i32_u32_e32 v2, v3
	s_delay_alu instid0(VALU_DEP_1) | instskip(NEXT) | instid1(VALU_DEP_1)
	v_min_u32_e32 v2, 32, v2
	v_subrev_nc_u32_e32 v3, 29, v2
	v_sub_nc_u32_e32 v2, 30, v2
	s_delay_alu instid0(VALU_DEP_2) | instskip(NEXT) | instid1(VALU_DEP_1)
	v_lshlrev_b64_e32 v[102:103], v3, v[0:1]
	v_and_b32_e32 v3, 3, v102
; %bb.7102:                             ;   in Loop: Header=BB6_4897 Depth=2
	s_or_b32 exec_lo, exec_lo, s26
	v_and_b32_e32 v0, 0x80000000, v15
	s_delay_alu instid0(VALU_DEP_1) | instskip(NEXT) | instid1(VALU_DEP_1)
	v_lshl_add_u32 v0, v2, 23, v0
	v_lshl_or_b32 v0, v3, 21, v0
                                        ; implicit-def: $vgpr3
	s_delay_alu instid0(VALU_DEP_1)
	v_add_nc_u32_e32 v2, 0x38000000, v0
.LBB6_7103:                             ;   in Loop: Header=BB6_4897 Depth=2
	s_and_not1_saveexec_b32 s25, s25
; %bb.7104:                             ;   in Loop: Header=BB6_4897 Depth=2
	v_cmp_lt_i64_e32 vcc_lo, -1, v[14:15]
	v_cndmask_b32_e32 v0, 0xff800000, v105, vcc_lo
	v_cmp_eq_u32_e32 vcc_lo, 0, v3
	s_delay_alu instid0(VALU_DEP_2)
	v_cndmask_b32_e32 v2, 0x7f800001, v0, vcc_lo
; %bb.7105:                             ;   in Loop: Header=BB6_4897 Depth=2
	s_or_b32 exec_lo, exec_lo, s25
.LBB6_7106:                             ;   in Loop: Header=BB6_4897 Depth=2
	s_delay_alu instid0(SALU_CYCLE_1)
	s_or_b32 exec_lo, exec_lo, s24
.LBB6_7107:                             ;   in Loop: Header=BB6_4897 Depth=2
	s_delay_alu instid0(SALU_CYCLE_1) | instskip(NEXT) | instid1(SALU_CYCLE_1)
	s_or_b32 exec_lo, exec_lo, s7
	s_mov_b32 s7, exec_lo
	v_cmpx_lt_u64_e64 s[12:13], v[10:11]
	s_cbranch_execz .LBB6_7117
; %bb.7108:                             ;   in Loop: Header=BB6_4897 Depth=2
	v_lshrrev_b32_e32 v0, 24, v11
	v_bfrev_b32_e32 v1, 1
	s_mov_b32 s24, exec_lo
	s_delay_alu instid0(VALU_DEP_2)
	v_cmpx_ne_u32_e32 0x80, v0
	s_cbranch_execz .LBB6_7116
; %bb.7109:                             ;   in Loop: Header=BB6_4897 Depth=2
	v_and_b32_e32 v1, 0x7c000000, v11
	v_bfe_u32 v3, v11, 24, 2
	s_delay_alu instid0(VALU_DEP_2) | instskip(SKIP_1) | instid1(SALU_CYCLE_1)
	v_cmp_ne_u32_e32 vcc_lo, 0x7c000000, v1
                                        ; implicit-def: $vgpr1
	s_and_saveexec_b32 s25, vcc_lo
	s_xor_b32 s25, exec_lo, s25
	s_cbranch_execz .LBB6_7113
; %bb.7110:                             ;   in Loop: Header=BB6_4897 Depth=2
	v_bfe_u32 v1, v11, 26, 5
	s_mov_b32 s26, exec_lo
	s_delay_alu instid0(VALU_DEP_1)
	v_cmpx_eq_u32_e32 0, v1
; %bb.7111:                             ;   in Loop: Header=BB6_4897 Depth=2
	v_clz_i32_u32_e32 v1, v3
	s_delay_alu instid0(VALU_DEP_1) | instskip(NEXT) | instid1(VALU_DEP_1)
	v_min_u32_e32 v3, 32, v1
	v_subrev_nc_u32_e32 v1, 29, v3
	s_delay_alu instid0(VALU_DEP_1) | instskip(NEXT) | instid1(VALU_DEP_1)
	v_lshlrev_b64_e32 v[0:1], v1, v[0:1]
	v_dual_sub_nc_u32 v1, 30, v3 :: v_dual_bitop2_b32 v3, 3, v0 bitop3:0x40
; %bb.7112:                             ;   in Loop: Header=BB6_4897 Depth=2
	s_or_b32 exec_lo, exec_lo, s26
	v_and_b32_e32 v0, 0x80000000, v11
	s_delay_alu instid0(VALU_DEP_1) | instskip(NEXT) | instid1(VALU_DEP_1)
	v_lshl_add_u32 v0, v1, 23, v0
	v_lshl_or_b32 v0, v3, 21, v0
                                        ; implicit-def: $vgpr3
	s_delay_alu instid0(VALU_DEP_1)
	v_add_nc_u32_e32 v1, 0x38000000, v0
.LBB6_7113:                             ;   in Loop: Header=BB6_4897 Depth=2
	s_and_not1_saveexec_b32 s25, s25
; %bb.7114:                             ;   in Loop: Header=BB6_4897 Depth=2
	v_cmp_lt_i64_e32 vcc_lo, -1, v[10:11]
	v_cndmask_b32_e32 v0, 0xff800000, v105, vcc_lo
	v_cmp_eq_u32_e32 vcc_lo, 0, v3
	s_delay_alu instid0(VALU_DEP_2)
	v_cndmask_b32_e32 v1, 0x7f800001, v0, vcc_lo
; %bb.7115:                             ;   in Loop: Header=BB6_4897 Depth=2
	s_or_b32 exec_lo, exec_lo, s25
.LBB6_7116:                             ;   in Loop: Header=BB6_4897 Depth=2
	s_delay_alu instid0(SALU_CYCLE_1)
	s_or_b32 exec_lo, exec_lo, s24
.LBB6_7117:                             ;   in Loop: Header=BB6_4897 Depth=2
	s_delay_alu instid0(SALU_CYCLE_1) | instskip(NEXT) | instid1(VALU_DEP_1)
	s_or_b32 exec_lo, exec_lo, s7
	v_dual_mul_f32 v0, v2, v1 :: v_dual_mov_b32 v3, v5
                                        ; implicit-def: $vgpr10
	s_mov_b32 s7, exec_lo
	s_delay_alu instid0(VALU_DEP_1) | instskip(SKIP_2) | instid1(VALU_DEP_3)
	v_and_b32_e32 v2, 0x7f800000, v0
	v_and_b32_e32 v4, 0x7fffff, v0
	v_lshrrev_b32_e32 v1, 24, v0
	v_cmpx_ne_u64_e32 0x7f800000, v[2:3]
	s_xor_b32 s24, exec_lo, s7
	s_cbranch_execz .LBB6_7131
; %bb.7118:                             ;   in Loop: Header=BB6_4897 Depth=2
	v_and_b32_e32 v2, 0x7fffffff, v0
	v_mov_b32_e32 v3, v5
	v_and_b32_e32 v11, 0x80, v1
                                        ; implicit-def: $vgpr10
	s_mov_b32 s7, exec_lo
	s_delay_alu instid0(VALU_DEP_2)
	v_cmpx_gt_u64_e32 0x47600001, v[2:3]
	s_xor_b32 s25, exec_lo, s7
	s_cbranch_execz .LBB6_7128
; %bb.7119:                             ;   in Loop: Header=BB6_4897 Depth=2
	v_mov_b32_e32 v10, 0
	s_mov_b32 s26, exec_lo
	v_cmpx_ne_u32_e32 0, v0
	s_cbranch_execz .LBB6_7127
; %bb.7120:                             ;   in Loop: Header=BB6_4897 Depth=2
	v_bfe_u32 v10, v0, 23, 8
	v_or_b32_e32 v1, 0x800000, v4
	s_delay_alu instid0(VALU_DEP_2) | instskip(SKIP_2) | instid1(VALU_DEP_2)
	v_cmp_gt_u32_e64 s7, 0x72, v10
	v_sub_nc_u32_e32 v0, 0x71, v10
	v_cmp_eq_u32_e32 vcc_lo, 0, v10
	v_cndmask_b32_e64 v0, 0, v0, s7
	s_delay_alu instid0(VALU_DEP_1) | instskip(SKIP_1) | instid1(VALU_DEP_2)
	v_cndmask_b32_e64 v14, v0, 0x70, vcc_lo
	v_cndmask_b32_e32 v0, v1, v4, vcc_lo
	v_dual_mov_b32 v1, v5 :: v_dual_add_nc_u32 v2, 21, v14
	v_add_nc_u32_e32 v4, 20, v14
	s_delay_alu instid0(VALU_DEP_2) | instskip(NEXT) | instid1(VALU_DEP_2)
	v_lshlrev_b64_e64 v[2:3], v2, -1
	v_lshlrev_b64_e64 v[102:103], v4, 1
	s_delay_alu instid0(VALU_DEP_2) | instskip(SKIP_1) | instid1(VALU_DEP_4)
	v_bfi_b32 v2, v2, 0, v0
	v_lshrrev_b64 v[0:1], v14, v[0:1]
	v_bfi_b32 v3, v3, 0, 0
	s_delay_alu instid0(VALU_DEP_1) | instskip(NEXT) | instid1(VALU_DEP_3)
	v_cmp_eq_u64_e64 s7, v[2:3], v[102:103]
	v_mov_b64_e32 v[2:3], v[0:1]
	s_and_saveexec_b32 s27, s7
; %bb.7121:                             ;   in Loop: Header=BB6_4897 Depth=2
	v_bfe_u32 v2, v0, 21, 1
	v_mov_b32_e32 v3, v5
	s_delay_alu instid0(VALU_DEP_1) | instskip(NEXT) | instid1(VALU_DEP_1)
	v_add_nc_u64_e32 v[2:3], v[0:1], v[2:3]
	v_add_nc_u64_e32 v[2:3], -1, v[2:3]
; %bb.7122:                             ;   in Loop: Header=BB6_4897 Depth=2
	s_or_b32 exec_lo, exec_lo, s27
	v_add_nc_u32_e32 v1, 0xffffff81, v10
	v_lshrrev_b32_e32 v3, 23, v0
	s_mov_b32 s7, exec_lo
	s_delay_alu instid0(VALU_DEP_2) | instskip(NEXT) | instid1(VALU_DEP_1)
	v_cndmask_b32_e64 v1, v1, 0xffffff82, vcc_lo
	v_add3_u32 v3, v14, v1, v3
	v_and_b32_e32 v1, 0x1fffff, v2
                                        ; implicit-def: $vgpr2
	s_delay_alu instid0(VALU_DEP_1) | instskip(NEXT) | instid1(VALU_DEP_1)
	v_dual_add_nc_u32 v10, 14, v3 :: v_dual_add_nc_u32 v4, v1, v0
                                        ; implicit-def: $vgpr0_vgpr1
	v_cmpx_ne_u32_e32 0, v10
	s_xor_b32 s7, exec_lo, s7
; %bb.7123:                             ;   in Loop: Header=BB6_4897 Depth=2
	s_delay_alu instid0(VALU_DEP_2) | instskip(SKIP_1) | instid1(VALU_DEP_1)
	v_cmp_lt_u64_e32 vcc_lo, 0xffffff, v[4:5]
	v_add_nc_u32_e32 v0, 15, v3
	v_cndmask_b32_e32 v2, v10, v0, vcc_lo
	v_cndmask_b32_e64 v0, 0, 1, vcc_lo
	s_delay_alu instid0(VALU_DEP_1)
	v_lshrrev_b64 v[0:1], v0, v[4:5]
; %bb.7124:                             ;   in Loop: Header=BB6_4897 Depth=2
	s_and_not1_saveexec_b32 s7, s7
; %bb.7125:                             ;   in Loop: Header=BB6_4897 Depth=2
	v_mov_b64_e32 v[0:1], v[4:5]
	v_bfe_u32 v2, v4, 23, 1
; %bb.7126:                             ;   in Loop: Header=BB6_4897 Depth=2
	s_or_b32 exec_lo, exec_lo, s7
	s_delay_alu instid0(VALU_DEP_2) | instskip(NEXT) | instid1(VALU_DEP_2)
	v_lshrrev_b64 v[0:1], 21, v[0:1]
	v_cmp_gt_i32_e32 vcc_lo, 32, v2
	v_min_i32_e32 v3, 31, v2
	v_cmp_eq_u32_e64 s7, 0, v2
	s_delay_alu instid0(VALU_DEP_2) | instskip(SKIP_1) | instid1(VALU_DEP_2)
	v_dual_cndmask_b32 v1, 0, v1, vcc_lo :: v_dual_lshlrev_b32 v3, 2, v3
	v_cndmask_b32_e32 v0, 3, v0, vcc_lo
	v_and_b32_e32 v3, 0xfc, v3
	s_delay_alu instid0(VALU_DEP_2) | instskip(NEXT) | instid1(VALU_DEP_2)
	v_cmp_eq_u64_e32 vcc_lo, 0, v[0:1]
	v_and_or_b32 v0, v0, 3, v3
	s_and_b32 s7, s7, vcc_lo
	s_delay_alu instid0(VALU_DEP_1) | instid1(SALU_CYCLE_1)
	v_cndmask_b32_e64 v0, v0, 0, s7
	s_delay_alu instid0(VALU_DEP_1)
	v_or_b32_e32 v10, v0, v11
.LBB6_7127:                             ;   in Loop: Header=BB6_4897 Depth=2
	s_or_b32 exec_lo, exec_lo, s26
                                        ; implicit-def: $vgpr11
.LBB6_7128:                             ;   in Loop: Header=BB6_4897 Depth=2
	s_and_not1_saveexec_b32 s7, s25
; %bb.7129:                             ;   in Loop: Header=BB6_4897 Depth=2
	v_or_b32_e32 v10, 0x7b, v11
; %bb.7130:                             ;   in Loop: Header=BB6_4897 Depth=2
	s_or_b32 exec_lo, exec_lo, s7
                                        ; implicit-def: $vgpr0
                                        ; implicit-def: $vgpr1
.LBB6_7131:                             ;   in Loop: Header=BB6_4897 Depth=2
	s_and_not1_saveexec_b32 s7, s24
	s_cbranch_execz .LBB6_7137
; %bb.7132:                             ;   in Loop: Header=BB6_4897 Depth=2
	s_mov_b32 s24, exec_lo
                                        ; implicit-def: $vgpr10
	v_cmpx_ne_u64_e32 0, v[4:5]
	s_xor_b32 s24, exec_lo, s24
; %bb.7133:                             ;   in Loop: Header=BB6_4897 Depth=2
	v_or_b32_e32 v10, 0x7f, v1
                                        ; implicit-def: $vgpr0
; %bb.7134:                             ;   in Loop: Header=BB6_4897 Depth=2
	s_and_not1_saveexec_b32 s24, s24
; %bb.7135:                             ;   in Loop: Header=BB6_4897 Depth=2
	v_cmp_lt_i32_e32 vcc_lo, -1, v0
	v_cndmask_b32_e32 v10, 0xfc, v104, vcc_lo
; %bb.7136:                             ;   in Loop: Header=BB6_4897 Depth=2
	s_or_b32 exec_lo, exec_lo, s24
.LBB6_7137:                             ;   in Loop: Header=BB6_4897 Depth=2
	s_delay_alu instid0(SALU_CYCLE_1) | instskip(SKIP_2) | instid1(VALU_DEP_2)
	s_or_b32 exec_lo, exec_lo, s7
	v_and_b32_e32 v1, 0xff, v16
	v_mov_b32_e32 v0, 0
	v_cmp_ne_u16_e32 vcc_lo, 0, v1
	v_mov_b32_e32 v1, 0
	s_and_saveexec_b32 s7, vcc_lo
	s_cbranch_execz .LBB6_7147
; %bb.7138:                             ;   in Loop: Header=BB6_4897 Depth=2
	v_bfe_i32 v3, v16, 0, 8
	v_bfrev_b32_e32 v1, 1
	s_mov_b32 s24, exec_lo
	s_delay_alu instid0(VALU_DEP_2)
	v_cmpx_ne_u16_e32 0xff80, v3
	s_cbranch_execz .LBB6_7146
; %bb.7139:                             ;   in Loop: Header=BB6_4897 Depth=2
	v_and_b32_e32 v1, 0x7c, v16
	v_and_b32_e32 v2, 3, v16
	s_delay_alu instid0(VALU_DEP_2) | instskip(SKIP_1) | instid1(SALU_CYCLE_1)
	v_cmp_ne_u32_e32 vcc_lo, 0x7c, v1
                                        ; implicit-def: $vgpr1
	s_and_saveexec_b32 s25, vcc_lo
	s_xor_b32 s25, exec_lo, s25
	s_cbranch_execz .LBB6_7143
; %bb.7140:                             ;   in Loop: Header=BB6_4897 Depth=2
	v_bfe_u32 v1, v16, 2, 5
	s_mov_b32 s26, exec_lo
	s_delay_alu instid0(VALU_DEP_1)
	v_cmpx_eq_u32_e32 0, v1
; %bb.7141:                             ;   in Loop: Header=BB6_4897 Depth=2
	v_clz_i32_u32_e32 v1, v2
	s_delay_alu instid0(VALU_DEP_1) | instskip(NEXT) | instid1(VALU_DEP_1)
	v_min_u32_e32 v1, 32, v1
	v_subrev_nc_u32_e32 v2, 29, v1
	s_delay_alu instid0(VALU_DEP_1) | instskip(NEXT) | instid1(VALU_DEP_1)
	v_lshlrev_b64_e32 v[2:3], v2, v[16:17]
	v_dual_sub_nc_u32 v1, 30, v1 :: v_dual_bitop2_b32 v2, 3, v2 bitop3:0x40
; %bb.7142:                             ;   in Loop: Header=BB6_4897 Depth=2
	s_or_b32 exec_lo, exec_lo, s26
	v_lshlrev_b32_e32 v3, 24, v16
	s_delay_alu instid0(VALU_DEP_1) | instskip(NEXT) | instid1(VALU_DEP_1)
	v_and_b32_e32 v3, 0x80000000, v3
	v_lshl_add_u32 v1, v1, 23, v3
                                        ; implicit-def: $vgpr3
	s_delay_alu instid0(VALU_DEP_1) | instskip(NEXT) | instid1(VALU_DEP_1)
	v_lshl_or_b32 v1, v2, 21, v1
                                        ; implicit-def: $vgpr2
	v_add_nc_u32_e32 v1, 0x38000000, v1
.LBB6_7143:                             ;   in Loop: Header=BB6_4897 Depth=2
	s_and_not1_saveexec_b32 s25, s25
; %bb.7144:                             ;   in Loop: Header=BB6_4897 Depth=2
	v_cmp_lt_i16_e32 vcc_lo, -1, v3
	v_cndmask_b32_e32 v1, 0xff800000, v105, vcc_lo
	v_cmp_eq_u32_e32 vcc_lo, 0, v2
	s_delay_alu instid0(VALU_DEP_2)
	v_cndmask_b32_e32 v1, 0x7f800001, v1, vcc_lo
; %bb.7145:                             ;   in Loop: Header=BB6_4897 Depth=2
	s_or_b32 exec_lo, exec_lo, s25
.LBB6_7146:                             ;   in Loop: Header=BB6_4897 Depth=2
	s_delay_alu instid0(SALU_CYCLE_1)
	s_or_b32 exec_lo, exec_lo, s24
.LBB6_7147:                             ;   in Loop: Header=BB6_4897 Depth=2
	s_delay_alu instid0(SALU_CYCLE_1) | instskip(SKIP_2) | instid1(VALU_DEP_1)
	s_or_b32 exec_lo, exec_lo, s7
	v_and_b32_e32 v2, 0xff, v12
	s_mov_b32 s7, exec_lo
	v_cmpx_ne_u16_e32 0, v2
	s_cbranch_execz .LBB6_7157
; %bb.7148:                             ;   in Loop: Header=BB6_4897 Depth=2
	v_bfe_i32 v3, v12, 0, 8
	v_bfrev_b32_e32 v0, 1
	s_mov_b32 s24, exec_lo
	s_delay_alu instid0(VALU_DEP_2)
	v_cmpx_ne_u16_e32 0xff80, v3
	s_cbranch_execz .LBB6_7156
; %bb.7149:                             ;   in Loop: Header=BB6_4897 Depth=2
	v_and_b32_e32 v0, 0x7c, v12
	v_and_b32_e32 v2, 3, v12
	s_delay_alu instid0(VALU_DEP_2) | instskip(SKIP_1) | instid1(SALU_CYCLE_1)
	v_cmp_ne_u32_e32 vcc_lo, 0x7c, v0
                                        ; implicit-def: $vgpr0
	s_and_saveexec_b32 s25, vcc_lo
	s_xor_b32 s25, exec_lo, s25
	s_cbranch_execz .LBB6_7153
; %bb.7150:                             ;   in Loop: Header=BB6_4897 Depth=2
	v_bfe_u32 v0, v12, 2, 5
	s_mov_b32 s26, exec_lo
	s_delay_alu instid0(VALU_DEP_1)
	v_cmpx_eq_u32_e32 0, v0
; %bb.7151:                             ;   in Loop: Header=BB6_4897 Depth=2
	v_clz_i32_u32_e32 v0, v2
	s_delay_alu instid0(VALU_DEP_1) | instskip(NEXT) | instid1(VALU_DEP_1)
	v_min_u32_e32 v0, 32, v0
	v_subrev_nc_u32_e32 v2, 29, v0
	s_delay_alu instid0(VALU_DEP_1) | instskip(NEXT) | instid1(VALU_DEP_1)
	v_lshlrev_b64_e32 v[2:3], v2, v[12:13]
	v_dual_sub_nc_u32 v0, 30, v0 :: v_dual_bitop2_b32 v2, 3, v2 bitop3:0x40
; %bb.7152:                             ;   in Loop: Header=BB6_4897 Depth=2
	s_or_b32 exec_lo, exec_lo, s26
	v_lshlrev_b32_e32 v3, 24, v12
	s_delay_alu instid0(VALU_DEP_1) | instskip(NEXT) | instid1(VALU_DEP_1)
	v_and_b32_e32 v3, 0x80000000, v3
	v_lshl_add_u32 v0, v0, 23, v3
                                        ; implicit-def: $vgpr3
	s_delay_alu instid0(VALU_DEP_1) | instskip(NEXT) | instid1(VALU_DEP_1)
	v_lshl_or_b32 v0, v2, 21, v0
                                        ; implicit-def: $vgpr2
	v_add_nc_u32_e32 v0, 0x38000000, v0
.LBB6_7153:                             ;   in Loop: Header=BB6_4897 Depth=2
	s_and_not1_saveexec_b32 s25, s25
; %bb.7154:                             ;   in Loop: Header=BB6_4897 Depth=2
	v_cmp_lt_i16_e32 vcc_lo, -1, v3
	v_cndmask_b32_e32 v0, 0xff800000, v105, vcc_lo
	v_cmp_eq_u32_e32 vcc_lo, 0, v2
	s_delay_alu instid0(VALU_DEP_2)
	v_cndmask_b32_e32 v0, 0x7f800001, v0, vcc_lo
; %bb.7155:                             ;   in Loop: Header=BB6_4897 Depth=2
	s_or_b32 exec_lo, exec_lo, s25
.LBB6_7156:                             ;   in Loop: Header=BB6_4897 Depth=2
	s_delay_alu instid0(SALU_CYCLE_1)
	s_or_b32 exec_lo, exec_lo, s24
.LBB6_7157:                             ;   in Loop: Header=BB6_4897 Depth=2
	s_delay_alu instid0(SALU_CYCLE_1) | instskip(NEXT) | instid1(VALU_DEP_1)
	s_or_b32 exec_lo, exec_lo, s7
	v_mul_f32_e32 v0, v1, v0
	v_mov_b32_e32 v3, v5
                                        ; implicit-def: $vgpr11
	s_mov_b32 s7, exec_lo
	s_delay_alu instid0(VALU_DEP_2) | instskip(SKIP_2) | instid1(VALU_DEP_3)
	v_and_b32_e32 v2, 0x7f800000, v0
	v_and_b32_e32 v4, 0x7fffff, v0
	v_lshrrev_b32_e32 v1, 24, v0
	v_cmpx_ne_u64_e32 0x7f800000, v[2:3]
	s_xor_b32 s24, exec_lo, s7
	s_cbranch_execz .LBB6_7171
; %bb.7158:                             ;   in Loop: Header=BB6_4897 Depth=2
	v_and_b32_e32 v2, 0x7fffffff, v0
	v_mov_b32_e32 v3, v5
	v_and_b32_e32 v14, 0x80, v1
                                        ; implicit-def: $vgpr11
	s_mov_b32 s7, exec_lo
	s_delay_alu instid0(VALU_DEP_2)
	v_cmpx_gt_u64_e32 0x47600001, v[2:3]
	s_xor_b32 s25, exec_lo, s7
	s_cbranch_execz .LBB6_7168
; %bb.7159:                             ;   in Loop: Header=BB6_4897 Depth=2
	v_mov_b32_e32 v11, 0
	s_mov_b32 s26, exec_lo
	v_cmpx_ne_u32_e32 0, v0
	s_cbranch_execz .LBB6_7167
; %bb.7160:                             ;   in Loop: Header=BB6_4897 Depth=2
	v_bfe_u32 v11, v0, 23, 8
	v_or_b32_e32 v1, 0x800000, v4
	s_delay_alu instid0(VALU_DEP_2) | instskip(SKIP_2) | instid1(VALU_DEP_2)
	v_cmp_gt_u32_e64 s7, 0x72, v11
	v_sub_nc_u32_e32 v0, 0x71, v11
	v_cmp_eq_u32_e32 vcc_lo, 0, v11
	v_cndmask_b32_e64 v0, 0, v0, s7
	s_delay_alu instid0(VALU_DEP_1) | instskip(SKIP_1) | instid1(VALU_DEP_2)
	v_cndmask_b32_e64 v15, v0, 0x70, vcc_lo
	v_cndmask_b32_e32 v0, v1, v4, vcc_lo
	v_dual_mov_b32 v1, v5 :: v_dual_add_nc_u32 v2, 21, v15
	v_add_nc_u32_e32 v4, 20, v15
	s_delay_alu instid0(VALU_DEP_2) | instskip(NEXT) | instid1(VALU_DEP_2)
	v_lshlrev_b64_e64 v[2:3], v2, -1
	v_lshlrev_b64_e64 v[102:103], v4, 1
	s_delay_alu instid0(VALU_DEP_2) | instskip(SKIP_1) | instid1(VALU_DEP_4)
	v_bfi_b32 v2, v2, 0, v0
	v_lshrrev_b64 v[0:1], v15, v[0:1]
	v_bfi_b32 v3, v3, 0, 0
	s_delay_alu instid0(VALU_DEP_1) | instskip(NEXT) | instid1(VALU_DEP_3)
	v_cmp_eq_u64_e64 s7, v[2:3], v[102:103]
	v_mov_b64_e32 v[2:3], v[0:1]
	s_and_saveexec_b32 s27, s7
; %bb.7161:                             ;   in Loop: Header=BB6_4897 Depth=2
	v_bfe_u32 v2, v0, 21, 1
	v_mov_b32_e32 v3, v5
	s_delay_alu instid0(VALU_DEP_1) | instskip(NEXT) | instid1(VALU_DEP_1)
	v_add_nc_u64_e32 v[2:3], v[0:1], v[2:3]
	v_add_nc_u64_e32 v[2:3], -1, v[2:3]
; %bb.7162:                             ;   in Loop: Header=BB6_4897 Depth=2
	s_or_b32 exec_lo, exec_lo, s27
	v_add_nc_u32_e32 v1, 0xffffff81, v11
	v_lshrrev_b32_e32 v3, 23, v0
	s_mov_b32 s7, exec_lo
	s_delay_alu instid0(VALU_DEP_2) | instskip(NEXT) | instid1(VALU_DEP_1)
	v_cndmask_b32_e64 v1, v1, 0xffffff82, vcc_lo
	v_add3_u32 v11, v15, v1, v3
	v_and_b32_e32 v1, 0x1fffff, v2
                                        ; implicit-def: $vgpr2
	s_delay_alu instid0(VALU_DEP_1) | instskip(NEXT) | instid1(VALU_DEP_1)
	v_dual_add_nc_u32 v3, 14, v11 :: v_dual_add_nc_u32 v4, v1, v0
                                        ; implicit-def: $vgpr0_vgpr1
	v_cmpx_ne_u32_e32 0, v3
	s_xor_b32 s7, exec_lo, s7
; %bb.7163:                             ;   in Loop: Header=BB6_4897 Depth=2
	s_delay_alu instid0(VALU_DEP_2) | instskip(SKIP_1) | instid1(VALU_DEP_1)
	v_cmp_lt_u64_e32 vcc_lo, 0xffffff, v[4:5]
	v_add_nc_u32_e32 v0, 15, v11
	v_cndmask_b32_e32 v2, v3, v0, vcc_lo
	v_cndmask_b32_e64 v0, 0, 1, vcc_lo
	s_delay_alu instid0(VALU_DEP_1)
	v_lshrrev_b64 v[0:1], v0, v[4:5]
; %bb.7164:                             ;   in Loop: Header=BB6_4897 Depth=2
	s_and_not1_saveexec_b32 s7, s7
; %bb.7165:                             ;   in Loop: Header=BB6_4897 Depth=2
	v_mov_b64_e32 v[0:1], v[4:5]
	v_bfe_u32 v2, v4, 23, 1
; %bb.7166:                             ;   in Loop: Header=BB6_4897 Depth=2
	s_or_b32 exec_lo, exec_lo, s7
	s_delay_alu instid0(VALU_DEP_2) | instskip(NEXT) | instid1(VALU_DEP_2)
	v_lshrrev_b64 v[0:1], 21, v[0:1]
	v_cmp_gt_i32_e32 vcc_lo, 32, v2
	v_min_i32_e32 v3, 31, v2
	v_cmp_eq_u32_e64 s7, 0, v2
	s_delay_alu instid0(VALU_DEP_2) | instskip(SKIP_1) | instid1(VALU_DEP_2)
	v_dual_cndmask_b32 v1, 0, v1, vcc_lo :: v_dual_lshlrev_b32 v3, 2, v3
	v_cndmask_b32_e32 v0, 3, v0, vcc_lo
	v_and_b32_e32 v3, 0xfc, v3
	s_delay_alu instid0(VALU_DEP_2) | instskip(NEXT) | instid1(VALU_DEP_2)
	v_cmp_eq_u64_e32 vcc_lo, 0, v[0:1]
	v_and_or_b32 v0, v0, 3, v3
	s_and_b32 s7, s7, vcc_lo
	s_delay_alu instid0(VALU_DEP_1) | instid1(SALU_CYCLE_1)
	v_cndmask_b32_e64 v0, v0, 0, s7
	s_delay_alu instid0(VALU_DEP_1)
	v_or_b32_e32 v11, v0, v14
.LBB6_7167:                             ;   in Loop: Header=BB6_4897 Depth=2
	s_or_b32 exec_lo, exec_lo, s26
                                        ; implicit-def: $vgpr14
.LBB6_7168:                             ;   in Loop: Header=BB6_4897 Depth=2
	s_and_not1_saveexec_b32 s7, s25
; %bb.7169:                             ;   in Loop: Header=BB6_4897 Depth=2
	v_or_b32_e32 v11, 0x7b, v14
; %bb.7170:                             ;   in Loop: Header=BB6_4897 Depth=2
	s_or_b32 exec_lo, exec_lo, s7
                                        ; implicit-def: $vgpr0
                                        ; implicit-def: $vgpr1
.LBB6_7171:                             ;   in Loop: Header=BB6_4897 Depth=2
	s_and_not1_saveexec_b32 s7, s24
	s_cbranch_execz .LBB6_7177
; %bb.7172:                             ;   in Loop: Header=BB6_4897 Depth=2
	s_mov_b32 s24, exec_lo
                                        ; implicit-def: $vgpr11
	v_cmpx_ne_u64_e32 0, v[4:5]
	s_xor_b32 s24, exec_lo, s24
; %bb.7173:                             ;   in Loop: Header=BB6_4897 Depth=2
	v_or_b32_e32 v11, 0x7f, v1
                                        ; implicit-def: $vgpr0
; %bb.7174:                             ;   in Loop: Header=BB6_4897 Depth=2
	s_and_not1_saveexec_b32 s24, s24
; %bb.7175:                             ;   in Loop: Header=BB6_4897 Depth=2
	v_cmp_lt_i32_e32 vcc_lo, -1, v0
	v_cndmask_b32_e32 v11, 0xfc, v104, vcc_lo
; %bb.7176:                             ;   in Loop: Header=BB6_4897 Depth=2
	s_or_b32 exec_lo, exec_lo, s24
.LBB6_7177:                             ;   in Loop: Header=BB6_4897 Depth=2
	s_delay_alu instid0(SALU_CYCLE_1) | instskip(SKIP_3) | instid1(VALU_DEP_2)
	s_or_b32 exec_lo, exec_lo, s7
	v_lshrrev_b16 v0, 8, v16
	v_dual_mov_b32 v2, 0 :: v_dual_mov_b32 v3, 0
	s_mov_b32 s7, exec_lo
	v_cmpx_ne_u16_e32 0, v0
	s_cbranch_execz .LBB6_7187
; %bb.7178:                             ;   in Loop: Header=BB6_4897 Depth=2
	v_bfrev_b32_e32 v3, 1
	s_mov_b32 s24, exec_lo
	v_cmpx_ne_u16_e32 0x80, v0
	s_cbranch_execz .LBB6_7186
; %bb.7179:                             ;   in Loop: Header=BB6_4897 Depth=2
	v_and_b32_e32 v4, 0xffff, v0
	s_delay_alu instid0(VALU_DEP_1) | instskip(SKIP_1) | instid1(VALU_DEP_2)
	v_and_b32_e32 v3, 0x7c, v4
	v_and_b32_e32 v1, 3, v4
	v_cmp_ne_u32_e32 vcc_lo, 0x7c, v3
                                        ; implicit-def: $vgpr3
	s_and_saveexec_b32 s25, vcc_lo
	s_delay_alu instid0(SALU_CYCLE_1)
	s_xor_b32 s25, exec_lo, s25
	s_cbranch_execz .LBB6_7183
; %bb.7180:                             ;   in Loop: Header=BB6_4897 Depth=2
	v_bfe_u32 v3, v4, 2, 5
	s_mov_b32 s26, exec_lo
	s_delay_alu instid0(VALU_DEP_1)
	v_cmpx_eq_u32_e32 0, v3
	s_cbranch_execz .LBB6_7182
; %bb.7181:                             ;   in Loop: Header=BB6_4897 Depth=2
	v_clz_i32_u32_e32 v1, v1
	s_delay_alu instid0(VALU_DEP_1) | instskip(SKIP_1) | instid1(VALU_DEP_2)
	v_min_u32_e32 v3, 32, v1
	v_mov_b32_e32 v1, v5
	v_subrev_nc_u32_e32 v4, 29, v3
	v_sub_nc_u32_e32 v3, 30, v3
	s_delay_alu instid0(VALU_DEP_2) | instskip(NEXT) | instid1(VALU_DEP_1)
	v_lshlrev_b64_e32 v[0:1], v4, v[0:1]
	v_and_b32_e32 v1, 3, v0
.LBB6_7182:                             ;   in Loop: Header=BB6_4897 Depth=2
	s_or_b32 exec_lo, exec_lo, s26
	v_lshlrev_b32_e32 v0, 16, v16
	s_delay_alu instid0(VALU_DEP_1) | instskip(NEXT) | instid1(VALU_DEP_1)
	v_and_b32_e32 v0, 0x80000000, v0
	v_lshl_add_u32 v0, v3, 23, v0
	s_delay_alu instid0(VALU_DEP_1) | instskip(NEXT) | instid1(VALU_DEP_1)
	v_lshl_or_b32 v0, v1, 21, v0
                                        ; implicit-def: $vgpr1
	v_add_nc_u32_e32 v3, 0x38000000, v0
.LBB6_7183:                             ;   in Loop: Header=BB6_4897 Depth=2
	s_and_not1_saveexec_b32 s25, s25
; %bb.7184:                             ;   in Loop: Header=BB6_4897 Depth=2
	v_cmp_lt_i16_e32 vcc_lo, -1, v16
	v_cndmask_b32_e32 v0, 0xff800000, v105, vcc_lo
	v_cmp_eq_u32_e32 vcc_lo, 0, v1
	s_delay_alu instid0(VALU_DEP_2)
	v_cndmask_b32_e32 v3, 0x7f800001, v0, vcc_lo
; %bb.7185:                             ;   in Loop: Header=BB6_4897 Depth=2
	s_or_b32 exec_lo, exec_lo, s25
.LBB6_7186:                             ;   in Loop: Header=BB6_4897 Depth=2
	s_delay_alu instid0(SALU_CYCLE_1)
	s_or_b32 exec_lo, exec_lo, s24
.LBB6_7187:                             ;   in Loop: Header=BB6_4897 Depth=2
	s_delay_alu instid0(SALU_CYCLE_1) | instskip(SKIP_2) | instid1(VALU_DEP_1)
	s_or_b32 exec_lo, exec_lo, s7
	v_lshrrev_b16 v0, 8, v12
	s_mov_b32 s7, exec_lo
	v_cmpx_ne_u16_e32 0, v0
	s_cbranch_execz .LBB6_7197
; %bb.7188:                             ;   in Loop: Header=BB6_4897 Depth=2
	v_bfrev_b32_e32 v2, 1
	s_mov_b32 s24, exec_lo
	v_cmpx_ne_u16_e32 0x80, v0
	s_cbranch_execz .LBB6_7196
; %bb.7189:                             ;   in Loop: Header=BB6_4897 Depth=2
	v_and_b32_e32 v4, 0xffff, v0
	s_delay_alu instid0(VALU_DEP_1) | instskip(SKIP_1) | instid1(VALU_DEP_2)
	v_and_b32_e32 v2, 0x7c, v4
	v_and_b32_e32 v1, 3, v4
	v_cmp_ne_u32_e32 vcc_lo, 0x7c, v2
                                        ; implicit-def: $vgpr2
	s_and_saveexec_b32 s25, vcc_lo
	s_delay_alu instid0(SALU_CYCLE_1)
	s_xor_b32 s25, exec_lo, s25
	s_cbranch_execz .LBB6_7193
; %bb.7190:                             ;   in Loop: Header=BB6_4897 Depth=2
	v_bfe_u32 v2, v4, 2, 5
	s_mov_b32 s26, exec_lo
	s_delay_alu instid0(VALU_DEP_1)
	v_cmpx_eq_u32_e32 0, v2
	s_cbranch_execz .LBB6_7192
; %bb.7191:                             ;   in Loop: Header=BB6_4897 Depth=2
	v_clz_i32_u32_e32 v1, v1
	s_delay_alu instid0(VALU_DEP_1) | instskip(SKIP_1) | instid1(VALU_DEP_2)
	v_min_u32_e32 v2, 32, v1
	v_mov_b32_e32 v1, v5
	v_subrev_nc_u32_e32 v4, 29, v2
	v_sub_nc_u32_e32 v2, 30, v2
	s_delay_alu instid0(VALU_DEP_2) | instskip(NEXT) | instid1(VALU_DEP_1)
	v_lshlrev_b64_e32 v[0:1], v4, v[0:1]
	v_and_b32_e32 v1, 3, v0
.LBB6_7192:                             ;   in Loop: Header=BB6_4897 Depth=2
	s_or_b32 exec_lo, exec_lo, s26
	v_lshlrev_b32_e32 v0, 16, v12
	s_delay_alu instid0(VALU_DEP_1) | instskip(NEXT) | instid1(VALU_DEP_1)
	v_and_b32_e32 v0, 0x80000000, v0
	v_lshl_add_u32 v0, v2, 23, v0
	s_delay_alu instid0(VALU_DEP_1) | instskip(NEXT) | instid1(VALU_DEP_1)
	v_lshl_or_b32 v0, v1, 21, v0
                                        ; implicit-def: $vgpr1
	v_add_nc_u32_e32 v2, 0x38000000, v0
.LBB6_7193:                             ;   in Loop: Header=BB6_4897 Depth=2
	s_and_not1_saveexec_b32 s25, s25
; %bb.7194:                             ;   in Loop: Header=BB6_4897 Depth=2
	v_cmp_lt_i16_e32 vcc_lo, -1, v12
	v_cndmask_b32_e32 v0, 0xff800000, v105, vcc_lo
	v_cmp_eq_u32_e32 vcc_lo, 0, v1
	s_delay_alu instid0(VALU_DEP_2)
	v_cndmask_b32_e32 v2, 0x7f800001, v0, vcc_lo
; %bb.7195:                             ;   in Loop: Header=BB6_4897 Depth=2
	s_or_b32 exec_lo, exec_lo, s25
.LBB6_7196:                             ;   in Loop: Header=BB6_4897 Depth=2
	s_delay_alu instid0(SALU_CYCLE_1)
	s_or_b32 exec_lo, exec_lo, s24
.LBB6_7197:                             ;   in Loop: Header=BB6_4897 Depth=2
	s_delay_alu instid0(SALU_CYCLE_1) | instskip(NEXT) | instid1(VALU_DEP_1)
	s_or_b32 exec_lo, exec_lo, s7
	v_dual_mul_f32 v0, v3, v2 :: v_dual_mov_b32 v3, v5
                                        ; implicit-def: $vgpr14
	s_mov_b32 s7, exec_lo
	s_delay_alu instid0(VALU_DEP_1) | instskip(SKIP_2) | instid1(VALU_DEP_3)
	v_and_b32_e32 v2, 0x7f800000, v0
	v_and_b32_e32 v4, 0x7fffff, v0
	v_lshrrev_b32_e32 v1, 24, v0
	v_cmpx_ne_u64_e32 0x7f800000, v[2:3]
	s_xor_b32 s24, exec_lo, s7
	s_cbranch_execz .LBB6_7211
; %bb.7198:                             ;   in Loop: Header=BB6_4897 Depth=2
	v_and_b32_e32 v2, 0x7fffffff, v0
	v_mov_b32_e32 v3, v5
	v_and_b32_e32 v15, 0x80, v1
                                        ; implicit-def: $vgpr14
	s_mov_b32 s7, exec_lo
	s_delay_alu instid0(VALU_DEP_2)
	v_cmpx_gt_u64_e32 0x47600001, v[2:3]
	s_xor_b32 s25, exec_lo, s7
	s_cbranch_execz .LBB6_7208
; %bb.7199:                             ;   in Loop: Header=BB6_4897 Depth=2
	v_mov_b32_e32 v14, 0
	s_mov_b32 s26, exec_lo
	v_cmpx_ne_u32_e32 0, v0
	s_cbranch_execz .LBB6_7207
; %bb.7200:                             ;   in Loop: Header=BB6_4897 Depth=2
	v_bfe_u32 v14, v0, 23, 8
	v_or_b32_e32 v1, 0x800000, v4
	s_delay_alu instid0(VALU_DEP_2) | instskip(SKIP_2) | instid1(VALU_DEP_2)
	v_cmp_gt_u32_e64 s7, 0x72, v14
	v_sub_nc_u32_e32 v0, 0x71, v14
	v_cmp_eq_u32_e32 vcc_lo, 0, v14
	v_cndmask_b32_e64 v0, 0, v0, s7
	s_delay_alu instid0(VALU_DEP_1) | instskip(SKIP_1) | instid1(VALU_DEP_2)
	v_cndmask_b32_e64 v102, v0, 0x70, vcc_lo
	v_cndmask_b32_e32 v0, v1, v4, vcc_lo
	v_dual_mov_b32 v1, v5 :: v_dual_add_nc_u32 v2, 21, v102
	v_add_nc_u32_e32 v4, 20, v102
	s_delay_alu instid0(VALU_DEP_2) | instskip(NEXT) | instid1(VALU_DEP_2)
	v_lshlrev_b64_e64 v[2:3], v2, -1
	v_lshlrev_b64_e64 v[112:113], v4, 1
	s_delay_alu instid0(VALU_DEP_2) | instskip(SKIP_1) | instid1(VALU_DEP_4)
	v_bfi_b32 v2, v2, 0, v0
	v_lshrrev_b64 v[0:1], v102, v[0:1]
	v_bfi_b32 v3, v3, 0, 0
	s_delay_alu instid0(VALU_DEP_1) | instskip(NEXT) | instid1(VALU_DEP_3)
	v_cmp_eq_u64_e64 s7, v[2:3], v[112:113]
	v_mov_b64_e32 v[2:3], v[0:1]
	s_and_saveexec_b32 s27, s7
; %bb.7201:                             ;   in Loop: Header=BB6_4897 Depth=2
	v_bfe_u32 v2, v0, 21, 1
	v_mov_b32_e32 v3, v5
	s_delay_alu instid0(VALU_DEP_1) | instskip(NEXT) | instid1(VALU_DEP_1)
	v_add_nc_u64_e32 v[2:3], v[0:1], v[2:3]
	v_add_nc_u64_e32 v[2:3], -1, v[2:3]
; %bb.7202:                             ;   in Loop: Header=BB6_4897 Depth=2
	s_or_b32 exec_lo, exec_lo, s27
	v_add_nc_u32_e32 v1, 0xffffff81, v14
	v_lshrrev_b32_e32 v3, 23, v0
	s_mov_b32 s7, exec_lo
	s_delay_alu instid0(VALU_DEP_2) | instskip(NEXT) | instid1(VALU_DEP_1)
	v_cndmask_b32_e64 v1, v1, 0xffffff82, vcc_lo
	v_add3_u32 v14, v102, v1, v3
	v_and_b32_e32 v1, 0x1fffff, v2
                                        ; implicit-def: $vgpr2
	s_delay_alu instid0(VALU_DEP_1) | instskip(NEXT) | instid1(VALU_DEP_1)
	v_dual_add_nc_u32 v3, 14, v14 :: v_dual_add_nc_u32 v4, v1, v0
                                        ; implicit-def: $vgpr0_vgpr1
	v_cmpx_ne_u32_e32 0, v3
	s_xor_b32 s7, exec_lo, s7
; %bb.7203:                             ;   in Loop: Header=BB6_4897 Depth=2
	s_delay_alu instid0(VALU_DEP_2) | instskip(SKIP_1) | instid1(VALU_DEP_1)
	v_cmp_lt_u64_e32 vcc_lo, 0xffffff, v[4:5]
	v_add_nc_u32_e32 v0, 15, v14
	v_cndmask_b32_e32 v2, v3, v0, vcc_lo
	v_cndmask_b32_e64 v0, 0, 1, vcc_lo
	s_delay_alu instid0(VALU_DEP_1)
	v_lshrrev_b64 v[0:1], v0, v[4:5]
; %bb.7204:                             ;   in Loop: Header=BB6_4897 Depth=2
	s_and_not1_saveexec_b32 s7, s7
; %bb.7205:                             ;   in Loop: Header=BB6_4897 Depth=2
	v_mov_b64_e32 v[0:1], v[4:5]
	v_bfe_u32 v2, v4, 23, 1
; %bb.7206:                             ;   in Loop: Header=BB6_4897 Depth=2
	s_or_b32 exec_lo, exec_lo, s7
	s_delay_alu instid0(VALU_DEP_2) | instskip(NEXT) | instid1(VALU_DEP_2)
	v_lshrrev_b64 v[0:1], 21, v[0:1]
	v_cmp_gt_i32_e32 vcc_lo, 32, v2
	v_min_i32_e32 v3, 31, v2
	v_cmp_eq_u32_e64 s7, 0, v2
	s_delay_alu instid0(VALU_DEP_2) | instskip(SKIP_1) | instid1(VALU_DEP_2)
	v_dual_cndmask_b32 v1, 0, v1, vcc_lo :: v_dual_lshlrev_b32 v3, 2, v3
	v_cndmask_b32_e32 v0, 3, v0, vcc_lo
	v_and_b32_e32 v3, 0xfc, v3
	s_delay_alu instid0(VALU_DEP_2) | instskip(NEXT) | instid1(VALU_DEP_2)
	v_cmp_eq_u64_e32 vcc_lo, 0, v[0:1]
	v_and_or_b32 v0, v0, 3, v3
	s_and_b32 s7, s7, vcc_lo
	s_delay_alu instid0(VALU_DEP_1) | instid1(SALU_CYCLE_1)
	v_cndmask_b32_e64 v0, v0, 0, s7
	s_delay_alu instid0(VALU_DEP_1)
	v_or_b32_e32 v14, v0, v15
.LBB6_7207:                             ;   in Loop: Header=BB6_4897 Depth=2
	s_or_b32 exec_lo, exec_lo, s26
                                        ; implicit-def: $vgpr15
.LBB6_7208:                             ;   in Loop: Header=BB6_4897 Depth=2
	s_and_not1_saveexec_b32 s7, s25
; %bb.7209:                             ;   in Loop: Header=BB6_4897 Depth=2
	v_or_b32_e32 v14, 0x7b, v15
; %bb.7210:                             ;   in Loop: Header=BB6_4897 Depth=2
	s_or_b32 exec_lo, exec_lo, s7
                                        ; implicit-def: $vgpr0
                                        ; implicit-def: $vgpr1
.LBB6_7211:                             ;   in Loop: Header=BB6_4897 Depth=2
	s_and_not1_saveexec_b32 s7, s24
	s_cbranch_execz .LBB6_7217
; %bb.7212:                             ;   in Loop: Header=BB6_4897 Depth=2
	s_mov_b32 s24, exec_lo
                                        ; implicit-def: $vgpr14
	v_cmpx_ne_u64_e32 0, v[4:5]
	s_xor_b32 s24, exec_lo, s24
; %bb.7213:                             ;   in Loop: Header=BB6_4897 Depth=2
	v_or_b32_e32 v14, 0x7f, v1
                                        ; implicit-def: $vgpr0
; %bb.7214:                             ;   in Loop: Header=BB6_4897 Depth=2
	s_and_not1_saveexec_b32 s24, s24
; %bb.7215:                             ;   in Loop: Header=BB6_4897 Depth=2
	v_cmp_lt_i32_e32 vcc_lo, -1, v0
	v_cndmask_b32_e32 v14, 0xfc, v104, vcc_lo
; %bb.7216:                             ;   in Loop: Header=BB6_4897 Depth=2
	s_or_b32 exec_lo, exec_lo, s24
.LBB6_7217:                             ;   in Loop: Header=BB6_4897 Depth=2
	s_delay_alu instid0(SALU_CYCLE_1) | instskip(SKIP_3) | instid1(VALU_DEP_2)
	s_or_b32 exec_lo, exec_lo, s7
	v_dual_mov_b32 v1, 0 :: v_dual_lshrrev_b32 v0, 16, v16
	v_mov_b32_e32 v2, 0
	s_mov_b32 s24, exec_lo
	v_and_b32_e32 v3, 0xff, v0
	s_delay_alu instid0(VALU_DEP_1)
	v_cmpx_ne_u16_e32 0, v3
	s_cbranch_execz .LBB6_7227
; %bb.7218:                             ;   in Loop: Header=BB6_4897 Depth=2
	v_bfrev_b32_e32 v2, 1
	s_mov_b32 s25, exec_lo
	v_cmpx_ne_u16_e32 0x80, v3
	s_cbranch_execz .LBB6_7226
; %bb.7219:                             ;   in Loop: Header=BB6_4897 Depth=2
	v_and_b32_e32 v2, 0x7c0000, v16
	v_bfe_u32 v3, v16, 16, 2
	s_delay_alu instid0(VALU_DEP_2) | instskip(SKIP_1) | instid1(SALU_CYCLE_1)
	v_cmp_ne_u32_e32 vcc_lo, 0x7c0000, v2
                                        ; implicit-def: $vgpr2
	s_and_saveexec_b32 s7, vcc_lo
	s_xor_b32 s7, exec_lo, s7
	s_cbranch_execz .LBB6_7223
; %bb.7220:                             ;   in Loop: Header=BB6_4897 Depth=2
	v_bfe_u32 v2, v16, 18, 5
	s_mov_b32 s26, exec_lo
	s_delay_alu instid0(VALU_DEP_1)
	v_cmpx_eq_u32_e32 0, v2
; %bb.7221:                             ;   in Loop: Header=BB6_4897 Depth=2
	v_clz_i32_u32_e32 v2, v3
	s_delay_alu instid0(VALU_DEP_1) | instskip(NEXT) | instid1(VALU_DEP_1)
	v_min_u32_e32 v2, 32, v2
	v_subrev_nc_u32_e32 v3, 29, v2
	v_sub_nc_u32_e32 v2, 30, v2
	s_delay_alu instid0(VALU_DEP_2) | instskip(NEXT) | instid1(VALU_DEP_1)
	v_lshlrev_b64_e32 v[102:103], v3, v[0:1]
	v_and_b32_e32 v3, 3, v102
; %bb.7222:                             ;   in Loop: Header=BB6_4897 Depth=2
	s_or_b32 exec_lo, exec_lo, s26
	v_lshlrev_b32_e32 v0, 24, v0
	s_delay_alu instid0(VALU_DEP_1) | instskip(NEXT) | instid1(VALU_DEP_1)
	v_and_b32_e32 v0, 0x80000000, v0
	v_lshl_add_u32 v0, v2, 23, v0
	s_delay_alu instid0(VALU_DEP_1) | instskip(NEXT) | instid1(VALU_DEP_1)
	v_lshl_or_b32 v0, v3, 21, v0
                                        ; implicit-def: $vgpr3
	v_add_nc_u32_e32 v2, 0x38000000, v0
                                        ; implicit-def: $vgpr0
.LBB6_7223:                             ;   in Loop: Header=BB6_4897 Depth=2
	s_and_not1_saveexec_b32 s26, s7
; %bb.7224:                             ;   in Loop: Header=BB6_4897 Depth=2
	v_bfe_i32 v0, v0, 0, 8
	v_cmp_eq_u32_e32 vcc_lo, 0, v3
	s_delay_alu instid0(VALU_DEP_2) | instskip(NEXT) | instid1(VALU_DEP_1)
	v_cmp_lt_i16_e64 s7, -1, v0
	v_cndmask_b32_e64 v0, 0xff800000, v105, s7
	s_delay_alu instid0(VALU_DEP_1)
	v_cndmask_b32_e32 v2, 0x7f800001, v0, vcc_lo
; %bb.7225:                             ;   in Loop: Header=BB6_4897 Depth=2
	s_or_b32 exec_lo, exec_lo, s26
.LBB6_7226:                             ;   in Loop: Header=BB6_4897 Depth=2
	s_delay_alu instid0(SALU_CYCLE_1)
	s_or_b32 exec_lo, exec_lo, s25
.LBB6_7227:                             ;   in Loop: Header=BB6_4897 Depth=2
	s_delay_alu instid0(SALU_CYCLE_1) | instskip(SKIP_2) | instid1(VALU_DEP_1)
	s_or_b32 exec_lo, exec_lo, s24
	v_lshrrev_b32_e32 v0, 16, v12
	s_mov_b32 s24, exec_lo
	v_and_b32_e32 v3, 0xff, v0
	s_delay_alu instid0(VALU_DEP_1)
	v_cmpx_ne_u16_e32 0, v3
	s_cbranch_execz .LBB6_7237
; %bb.7228:                             ;   in Loop: Header=BB6_4897 Depth=2
	v_bfrev_b32_e32 v1, 1
	s_mov_b32 s25, exec_lo
	v_cmpx_ne_u16_e32 0x80, v3
	s_cbranch_execz .LBB6_7236
; %bb.7229:                             ;   in Loop: Header=BB6_4897 Depth=2
	v_and_b32_e32 v1, 0x7c0000, v12
	v_bfe_u32 v3, v12, 16, 2
	s_delay_alu instid0(VALU_DEP_2) | instskip(SKIP_1) | instid1(SALU_CYCLE_1)
	v_cmp_ne_u32_e32 vcc_lo, 0x7c0000, v1
                                        ; implicit-def: $vgpr1
	s_and_saveexec_b32 s7, vcc_lo
	s_xor_b32 s7, exec_lo, s7
	s_cbranch_execz .LBB6_7233
; %bb.7230:                             ;   in Loop: Header=BB6_4897 Depth=2
	v_bfe_u32 v1, v12, 18, 5
	s_mov_b32 s26, exec_lo
	s_delay_alu instid0(VALU_DEP_1)
	v_cmpx_eq_u32_e32 0, v1
; %bb.7231:                             ;   in Loop: Header=BB6_4897 Depth=2
	v_clz_i32_u32_e32 v1, v3
	s_delay_alu instid0(VALU_DEP_1) | instskip(NEXT) | instid1(VALU_DEP_1)
	v_min_u32_e32 v1, 32, v1
	v_subrev_nc_u32_e32 v3, 29, v1
	s_delay_alu instid0(VALU_DEP_1) | instskip(NEXT) | instid1(VALU_DEP_1)
	v_lshlrev_b64_e32 v[102:103], v3, v[0:1]
	v_dual_sub_nc_u32 v1, 30, v1 :: v_dual_bitop2_b32 v3, 3, v102 bitop3:0x40
; %bb.7232:                             ;   in Loop: Header=BB6_4897 Depth=2
	s_or_b32 exec_lo, exec_lo, s26
	v_lshlrev_b32_e32 v0, 24, v0
	s_delay_alu instid0(VALU_DEP_1) | instskip(NEXT) | instid1(VALU_DEP_1)
	v_and_b32_e32 v0, 0x80000000, v0
	v_lshl_add_u32 v0, v1, 23, v0
	s_delay_alu instid0(VALU_DEP_1) | instskip(NEXT) | instid1(VALU_DEP_1)
	v_lshl_or_b32 v0, v3, 21, v0
                                        ; implicit-def: $vgpr3
	v_add_nc_u32_e32 v1, 0x38000000, v0
                                        ; implicit-def: $vgpr0
.LBB6_7233:                             ;   in Loop: Header=BB6_4897 Depth=2
	s_and_not1_saveexec_b32 s26, s7
; %bb.7234:                             ;   in Loop: Header=BB6_4897 Depth=2
	v_bfe_i32 v0, v0, 0, 8
	v_cmp_eq_u32_e32 vcc_lo, 0, v3
	s_delay_alu instid0(VALU_DEP_2) | instskip(NEXT) | instid1(VALU_DEP_1)
	v_cmp_lt_i16_e64 s7, -1, v0
	v_cndmask_b32_e64 v0, 0xff800000, v105, s7
	s_delay_alu instid0(VALU_DEP_1)
	v_cndmask_b32_e32 v1, 0x7f800001, v0, vcc_lo
; %bb.7235:                             ;   in Loop: Header=BB6_4897 Depth=2
	s_or_b32 exec_lo, exec_lo, s26
.LBB6_7236:                             ;   in Loop: Header=BB6_4897 Depth=2
	s_delay_alu instid0(SALU_CYCLE_1)
	s_or_b32 exec_lo, exec_lo, s25
.LBB6_7237:                             ;   in Loop: Header=BB6_4897 Depth=2
	s_delay_alu instid0(SALU_CYCLE_1) | instskip(NEXT) | instid1(VALU_DEP_1)
	s_or_b32 exec_lo, exec_lo, s24
	v_dual_mul_f32 v0, v2, v1 :: v_dual_mov_b32 v3, v5
                                        ; implicit-def: $vgpr15
	s_mov_b32 s7, exec_lo
	s_delay_alu instid0(VALU_DEP_1) | instskip(SKIP_2) | instid1(VALU_DEP_3)
	v_and_b32_e32 v2, 0x7f800000, v0
	v_and_b32_e32 v4, 0x7fffff, v0
	v_lshrrev_b32_e32 v1, 24, v0
	v_cmpx_ne_u64_e32 0x7f800000, v[2:3]
	s_xor_b32 s24, exec_lo, s7
	s_cbranch_execz .LBB6_7251
; %bb.7238:                             ;   in Loop: Header=BB6_4897 Depth=2
	v_and_b32_e32 v2, 0x7fffffff, v0
	v_mov_b32_e32 v3, v5
	v_and_b32_e32 v102, 0x80, v1
                                        ; implicit-def: $vgpr15
	s_mov_b32 s7, exec_lo
	s_delay_alu instid0(VALU_DEP_2)
	v_cmpx_gt_u64_e32 0x47600001, v[2:3]
	s_xor_b32 s25, exec_lo, s7
	s_cbranch_execz .LBB6_7248
; %bb.7239:                             ;   in Loop: Header=BB6_4897 Depth=2
	v_mov_b32_e32 v15, 0
	s_mov_b32 s26, exec_lo
	v_cmpx_ne_u32_e32 0, v0
	s_cbranch_execz .LBB6_7247
; %bb.7240:                             ;   in Loop: Header=BB6_4897 Depth=2
	v_bfe_u32 v15, v0, 23, 8
	v_or_b32_e32 v1, 0x800000, v4
	s_delay_alu instid0(VALU_DEP_2) | instskip(SKIP_2) | instid1(VALU_DEP_2)
	v_cmp_gt_u32_e64 s7, 0x72, v15
	v_sub_nc_u32_e32 v0, 0x71, v15
	v_cmp_eq_u32_e32 vcc_lo, 0, v15
	v_cndmask_b32_e64 v0, 0, v0, s7
	s_delay_alu instid0(VALU_DEP_1) | instskip(SKIP_1) | instid1(VALU_DEP_2)
	v_cndmask_b32_e64 v103, v0, 0x70, vcc_lo
	v_cndmask_b32_e32 v0, v1, v4, vcc_lo
	v_dual_mov_b32 v1, v5 :: v_dual_add_nc_u32 v2, 21, v103
	v_add_nc_u32_e32 v4, 20, v103
	s_delay_alu instid0(VALU_DEP_2) | instskip(NEXT) | instid1(VALU_DEP_2)
	v_lshlrev_b64_e64 v[2:3], v2, -1
	v_lshlrev_b64_e64 v[112:113], v4, 1
	s_delay_alu instid0(VALU_DEP_2) | instskip(SKIP_1) | instid1(VALU_DEP_4)
	v_bfi_b32 v2, v2, 0, v0
	v_lshrrev_b64 v[0:1], v103, v[0:1]
	v_bfi_b32 v3, v3, 0, 0
	s_delay_alu instid0(VALU_DEP_1) | instskip(NEXT) | instid1(VALU_DEP_3)
	v_cmp_eq_u64_e64 s7, v[2:3], v[112:113]
	v_mov_b64_e32 v[2:3], v[0:1]
	s_and_saveexec_b32 s27, s7
; %bb.7241:                             ;   in Loop: Header=BB6_4897 Depth=2
	v_bfe_u32 v2, v0, 21, 1
	v_mov_b32_e32 v3, v5
	s_delay_alu instid0(VALU_DEP_1) | instskip(NEXT) | instid1(VALU_DEP_1)
	v_add_nc_u64_e32 v[2:3], v[0:1], v[2:3]
	v_add_nc_u64_e32 v[2:3], -1, v[2:3]
; %bb.7242:                             ;   in Loop: Header=BB6_4897 Depth=2
	s_or_b32 exec_lo, exec_lo, s27
	v_add_nc_u32_e32 v1, 0xffffff81, v15
	v_lshrrev_b32_e32 v3, 23, v0
	s_mov_b32 s7, exec_lo
	s_delay_alu instid0(VALU_DEP_2) | instskip(NEXT) | instid1(VALU_DEP_1)
	v_cndmask_b32_e64 v1, v1, 0xffffff82, vcc_lo
	v_add3_u32 v15, v103, v1, v3
	v_and_b32_e32 v1, 0x1fffff, v2
                                        ; implicit-def: $vgpr2
	s_delay_alu instid0(VALU_DEP_1) | instskip(NEXT) | instid1(VALU_DEP_1)
	v_dual_add_nc_u32 v3, 14, v15 :: v_dual_add_nc_u32 v4, v1, v0
                                        ; implicit-def: $vgpr0_vgpr1
	v_cmpx_ne_u32_e32 0, v3
	s_xor_b32 s7, exec_lo, s7
; %bb.7243:                             ;   in Loop: Header=BB6_4897 Depth=2
	s_delay_alu instid0(VALU_DEP_2) | instskip(SKIP_1) | instid1(VALU_DEP_1)
	v_cmp_lt_u64_e32 vcc_lo, 0xffffff, v[4:5]
	v_add_nc_u32_e32 v0, 15, v15
	v_cndmask_b32_e32 v2, v3, v0, vcc_lo
	v_cndmask_b32_e64 v0, 0, 1, vcc_lo
	s_delay_alu instid0(VALU_DEP_1)
	v_lshrrev_b64 v[0:1], v0, v[4:5]
; %bb.7244:                             ;   in Loop: Header=BB6_4897 Depth=2
	s_and_not1_saveexec_b32 s7, s7
; %bb.7245:                             ;   in Loop: Header=BB6_4897 Depth=2
	v_mov_b64_e32 v[0:1], v[4:5]
	v_bfe_u32 v2, v4, 23, 1
; %bb.7246:                             ;   in Loop: Header=BB6_4897 Depth=2
	s_or_b32 exec_lo, exec_lo, s7
	s_delay_alu instid0(VALU_DEP_2) | instskip(NEXT) | instid1(VALU_DEP_2)
	v_lshrrev_b64 v[0:1], 21, v[0:1]
	v_cmp_gt_i32_e32 vcc_lo, 32, v2
	v_min_i32_e32 v3, 31, v2
	v_cmp_eq_u32_e64 s7, 0, v2
	s_delay_alu instid0(VALU_DEP_2) | instskip(SKIP_1) | instid1(VALU_DEP_2)
	v_dual_cndmask_b32 v1, 0, v1, vcc_lo :: v_dual_lshlrev_b32 v3, 2, v3
	v_cndmask_b32_e32 v0, 3, v0, vcc_lo
	v_and_b32_e32 v3, 0xfc, v3
	s_delay_alu instid0(VALU_DEP_2) | instskip(NEXT) | instid1(VALU_DEP_2)
	v_cmp_eq_u64_e32 vcc_lo, 0, v[0:1]
	v_and_or_b32 v0, v0, 3, v3
	s_and_b32 s7, s7, vcc_lo
	s_delay_alu instid0(VALU_DEP_1) | instid1(SALU_CYCLE_1)
	v_cndmask_b32_e64 v0, v0, 0, s7
	s_delay_alu instid0(VALU_DEP_1)
	v_or_b32_e32 v15, v0, v102
.LBB6_7247:                             ;   in Loop: Header=BB6_4897 Depth=2
	s_or_b32 exec_lo, exec_lo, s26
                                        ; implicit-def: $vgpr102
.LBB6_7248:                             ;   in Loop: Header=BB6_4897 Depth=2
	s_and_not1_saveexec_b32 s7, s25
; %bb.7249:                             ;   in Loop: Header=BB6_4897 Depth=2
	v_or_b32_e32 v15, 0x7b, v102
; %bb.7250:                             ;   in Loop: Header=BB6_4897 Depth=2
	s_or_b32 exec_lo, exec_lo, s7
                                        ; implicit-def: $vgpr0
                                        ; implicit-def: $vgpr1
.LBB6_7251:                             ;   in Loop: Header=BB6_4897 Depth=2
	s_and_not1_saveexec_b32 s7, s24
	s_cbranch_execz .LBB6_7257
; %bb.7252:                             ;   in Loop: Header=BB6_4897 Depth=2
	s_mov_b32 s24, exec_lo
                                        ; implicit-def: $vgpr15
	v_cmpx_ne_u64_e32 0, v[4:5]
	s_xor_b32 s24, exec_lo, s24
; %bb.7253:                             ;   in Loop: Header=BB6_4897 Depth=2
	v_or_b32_e32 v15, 0x7f, v1
                                        ; implicit-def: $vgpr0
; %bb.7254:                             ;   in Loop: Header=BB6_4897 Depth=2
	s_and_not1_saveexec_b32 s24, s24
; %bb.7255:                             ;   in Loop: Header=BB6_4897 Depth=2
	v_cmp_lt_i32_e32 vcc_lo, -1, v0
	v_cndmask_b32_e32 v15, 0xfc, v104, vcc_lo
; %bb.7256:                             ;   in Loop: Header=BB6_4897 Depth=2
	s_or_b32 exec_lo, exec_lo, s24
.LBB6_7257:                             ;   in Loop: Header=BB6_4897 Depth=2
	s_delay_alu instid0(SALU_CYCLE_1)
	s_or_b32 exec_lo, exec_lo, s7
	v_dual_mov_b32 v1, 0 :: v_dual_mov_b32 v2, 0
	s_mov_b32 s24, exec_lo
	v_cmpx_lt_u32_e32 0xffffff, v16
	s_cbranch_execz .LBB6_7267
; %bb.7258:                             ;   in Loop: Header=BB6_4897 Depth=2
	v_lshrrev_b32_e32 v0, 24, v16
	v_bfrev_b32_e32 v2, 1
	s_mov_b32 s25, exec_lo
	s_delay_alu instid0(VALU_DEP_2)
	v_cmpx_ne_u32_e32 0x80, v0
	s_cbranch_execz .LBB6_7266
; %bb.7259:                             ;   in Loop: Header=BB6_4897 Depth=2
	v_and_b32_e32 v2, 0x7c000000, v16
	v_bfe_u32 v3, v16, 24, 2
	s_delay_alu instid0(VALU_DEP_2) | instskip(SKIP_1) | instid1(SALU_CYCLE_1)
	v_cmp_ne_u32_e32 vcc_lo, 0x7c000000, v2
                                        ; implicit-def: $vgpr2
	s_and_saveexec_b32 s7, vcc_lo
	s_xor_b32 s7, exec_lo, s7
	s_cbranch_execz .LBB6_7263
; %bb.7260:                             ;   in Loop: Header=BB6_4897 Depth=2
	v_bfe_u32 v2, v16, 26, 5
	s_mov_b32 s26, exec_lo
	s_delay_alu instid0(VALU_DEP_1)
	v_cmpx_eq_u32_e32 0, v2
; %bb.7261:                             ;   in Loop: Header=BB6_4897 Depth=2
	v_clz_i32_u32_e32 v2, v3
	s_delay_alu instid0(VALU_DEP_1) | instskip(NEXT) | instid1(VALU_DEP_1)
	v_min_u32_e32 v2, 32, v2
	v_subrev_nc_u32_e32 v3, 29, v2
	v_sub_nc_u32_e32 v2, 30, v2
	s_delay_alu instid0(VALU_DEP_2) | instskip(NEXT) | instid1(VALU_DEP_1)
	v_lshlrev_b64_e32 v[102:103], v3, v[0:1]
	v_and_b32_e32 v3, 3, v102
; %bb.7262:                             ;   in Loop: Header=BB6_4897 Depth=2
	s_or_b32 exec_lo, exec_lo, s26
	v_and_b32_e32 v0, 0x80000000, v16
	s_delay_alu instid0(VALU_DEP_1) | instskip(NEXT) | instid1(VALU_DEP_1)
	v_lshl_add_u32 v0, v2, 23, v0
	v_lshl_or_b32 v0, v3, 21, v0
                                        ; implicit-def: $vgpr3
	s_delay_alu instid0(VALU_DEP_1)
	v_add_nc_u32_e32 v2, 0x38000000, v0
.LBB6_7263:                             ;   in Loop: Header=BB6_4897 Depth=2
	s_and_not1_saveexec_b32 s26, s7
; %bb.7264:                             ;   in Loop: Header=BB6_4897 Depth=2
	v_cmp_lt_i32_e64 s7, -1, v16
	v_cmp_eq_u32_e32 vcc_lo, 0, v3
	s_delay_alu instid0(VALU_DEP_2) | instskip(NEXT) | instid1(VALU_DEP_1)
	v_cndmask_b32_e64 v0, 0xff800000, v105, s7
	v_cndmask_b32_e32 v2, 0x7f800001, v0, vcc_lo
; %bb.7265:                             ;   in Loop: Header=BB6_4897 Depth=2
	s_or_b32 exec_lo, exec_lo, s26
.LBB6_7266:                             ;   in Loop: Header=BB6_4897 Depth=2
	s_delay_alu instid0(SALU_CYCLE_1)
	s_or_b32 exec_lo, exec_lo, s25
.LBB6_7267:                             ;   in Loop: Header=BB6_4897 Depth=2
	s_delay_alu instid0(SALU_CYCLE_1) | instskip(NEXT) | instid1(SALU_CYCLE_1)
	s_or_b32 exec_lo, exec_lo, s24
	s_mov_b32 s24, exec_lo
	v_cmpx_lt_u32_e32 0xffffff, v12
	s_cbranch_execz .LBB6_7277
; %bb.7268:                             ;   in Loop: Header=BB6_4897 Depth=2
	v_lshrrev_b32_e32 v0, 24, v12
	v_bfrev_b32_e32 v1, 1
	s_mov_b32 s25, exec_lo
	s_delay_alu instid0(VALU_DEP_2)
	v_cmpx_ne_u32_e32 0x80, v0
	s_cbranch_execz .LBB6_7276
; %bb.7269:                             ;   in Loop: Header=BB6_4897 Depth=2
	v_and_b32_e32 v1, 0x7c000000, v12
	v_bfe_u32 v3, v12, 24, 2
	s_delay_alu instid0(VALU_DEP_2) | instskip(SKIP_1) | instid1(SALU_CYCLE_1)
	v_cmp_ne_u32_e32 vcc_lo, 0x7c000000, v1
                                        ; implicit-def: $vgpr1
	s_and_saveexec_b32 s7, vcc_lo
	s_xor_b32 s7, exec_lo, s7
	s_cbranch_execz .LBB6_7273
; %bb.7270:                             ;   in Loop: Header=BB6_4897 Depth=2
	v_bfe_u32 v1, v12, 26, 5
	s_mov_b32 s26, exec_lo
	s_delay_alu instid0(VALU_DEP_1)
	v_cmpx_eq_u32_e32 0, v1
; %bb.7271:                             ;   in Loop: Header=BB6_4897 Depth=2
	v_clz_i32_u32_e32 v1, v3
	s_delay_alu instid0(VALU_DEP_1) | instskip(NEXT) | instid1(VALU_DEP_1)
	v_min_u32_e32 v3, 32, v1
	v_subrev_nc_u32_e32 v1, 29, v3
	s_delay_alu instid0(VALU_DEP_1) | instskip(NEXT) | instid1(VALU_DEP_1)
	v_lshlrev_b64_e32 v[0:1], v1, v[0:1]
	v_dual_sub_nc_u32 v1, 30, v3 :: v_dual_bitop2_b32 v3, 3, v0 bitop3:0x40
; %bb.7272:                             ;   in Loop: Header=BB6_4897 Depth=2
	s_or_b32 exec_lo, exec_lo, s26
	v_and_b32_e32 v0, 0x80000000, v12
	s_delay_alu instid0(VALU_DEP_1) | instskip(NEXT) | instid1(VALU_DEP_1)
	v_lshl_add_u32 v0, v1, 23, v0
	v_lshl_or_b32 v0, v3, 21, v0
                                        ; implicit-def: $vgpr3
	s_delay_alu instid0(VALU_DEP_1)
	v_add_nc_u32_e32 v1, 0x38000000, v0
.LBB6_7273:                             ;   in Loop: Header=BB6_4897 Depth=2
	s_and_not1_saveexec_b32 s26, s7
; %bb.7274:                             ;   in Loop: Header=BB6_4897 Depth=2
	v_cmp_lt_i32_e64 s7, -1, v12
	v_cmp_eq_u32_e32 vcc_lo, 0, v3
	s_delay_alu instid0(VALU_DEP_2) | instskip(NEXT) | instid1(VALU_DEP_1)
	v_cndmask_b32_e64 v0, 0xff800000, v105, s7
	v_cndmask_b32_e32 v1, 0x7f800001, v0, vcc_lo
; %bb.7275:                             ;   in Loop: Header=BB6_4897 Depth=2
	s_or_b32 exec_lo, exec_lo, s26
.LBB6_7276:                             ;   in Loop: Header=BB6_4897 Depth=2
	s_delay_alu instid0(SALU_CYCLE_1)
	s_or_b32 exec_lo, exec_lo, s25
.LBB6_7277:                             ;   in Loop: Header=BB6_4897 Depth=2
	s_delay_alu instid0(SALU_CYCLE_1) | instskip(NEXT) | instid1(VALU_DEP_1)
	s_or_b32 exec_lo, exec_lo, s24
	v_dual_mul_f32 v0, v2, v1 :: v_dual_mov_b32 v3, v5
                                        ; implicit-def: $vgpr102
	s_mov_b32 s7, exec_lo
	s_delay_alu instid0(VALU_DEP_1) | instskip(SKIP_2) | instid1(VALU_DEP_3)
	v_and_b32_e32 v2, 0x7f800000, v0
	v_and_b32_e32 v4, 0x7fffff, v0
	v_lshrrev_b32_e32 v1, 24, v0
	v_cmpx_ne_u64_e32 0x7f800000, v[2:3]
	s_xor_b32 s24, exec_lo, s7
	s_cbranch_execz .LBB6_7291
; %bb.7278:                             ;   in Loop: Header=BB6_4897 Depth=2
	v_and_b32_e32 v2, 0x7fffffff, v0
	v_mov_b32_e32 v3, v5
	v_and_b32_e32 v103, 0x80, v1
                                        ; implicit-def: $vgpr102
	s_mov_b32 s7, exec_lo
	s_delay_alu instid0(VALU_DEP_2)
	v_cmpx_gt_u64_e32 0x47600001, v[2:3]
	s_xor_b32 s25, exec_lo, s7
	s_cbranch_execz .LBB6_7288
; %bb.7279:                             ;   in Loop: Header=BB6_4897 Depth=2
	v_mov_b32_e32 v102, 0
	s_mov_b32 s26, exec_lo
	v_cmpx_ne_u32_e32 0, v0
	s_cbranch_execz .LBB6_7287
; %bb.7280:                             ;   in Loop: Header=BB6_4897 Depth=2
	v_bfe_u32 v102, v0, 23, 8
	v_or_b32_e32 v1, 0x800000, v4
	s_delay_alu instid0(VALU_DEP_2) | instskip(SKIP_2) | instid1(VALU_DEP_2)
	v_cmp_gt_u32_e64 s7, 0x72, v102
	v_sub_nc_u32_e32 v0, 0x71, v102
	v_cmp_eq_u32_e32 vcc_lo, 0, v102
	v_cndmask_b32_e64 v0, 0, v0, s7
	s_delay_alu instid0(VALU_DEP_1) | instskip(SKIP_1) | instid1(VALU_DEP_2)
	v_cndmask_b32_e64 v112, v0, 0x70, vcc_lo
	v_cndmask_b32_e32 v0, v1, v4, vcc_lo
	v_dual_mov_b32 v1, v5 :: v_dual_add_nc_u32 v2, 21, v112
	v_add_nc_u32_e32 v4, 20, v112
	s_delay_alu instid0(VALU_DEP_2) | instskip(NEXT) | instid1(VALU_DEP_2)
	v_lshlrev_b64_e64 v[2:3], v2, -1
	v_lshlrev_b64_e64 v[114:115], v4, 1
	s_delay_alu instid0(VALU_DEP_2) | instskip(SKIP_1) | instid1(VALU_DEP_4)
	v_bfi_b32 v2, v2, 0, v0
	v_lshrrev_b64 v[0:1], v112, v[0:1]
	v_bfi_b32 v3, v3, 0, 0
	s_delay_alu instid0(VALU_DEP_1) | instskip(NEXT) | instid1(VALU_DEP_3)
	v_cmp_eq_u64_e64 s7, v[2:3], v[114:115]
	v_mov_b64_e32 v[2:3], v[0:1]
	s_and_saveexec_b32 s27, s7
; %bb.7281:                             ;   in Loop: Header=BB6_4897 Depth=2
	v_bfe_u32 v2, v0, 21, 1
	v_mov_b32_e32 v3, v5
	s_delay_alu instid0(VALU_DEP_1) | instskip(NEXT) | instid1(VALU_DEP_1)
	v_add_nc_u64_e32 v[2:3], v[0:1], v[2:3]
	v_add_nc_u64_e32 v[2:3], -1, v[2:3]
; %bb.7282:                             ;   in Loop: Header=BB6_4897 Depth=2
	s_or_b32 exec_lo, exec_lo, s27
	v_add_nc_u32_e32 v1, 0xffffff81, v102
	v_lshrrev_b32_e32 v3, 23, v0
	s_mov_b32 s7, exec_lo
	s_delay_alu instid0(VALU_DEP_2) | instskip(NEXT) | instid1(VALU_DEP_1)
	v_cndmask_b32_e64 v1, v1, 0xffffff82, vcc_lo
	v_add3_u32 v102, v112, v1, v3
	v_and_b32_e32 v1, 0x1fffff, v2
                                        ; implicit-def: $vgpr2
	s_delay_alu instid0(VALU_DEP_1) | instskip(NEXT) | instid1(VALU_DEP_1)
	v_dual_add_nc_u32 v3, 14, v102 :: v_dual_add_nc_u32 v4, v1, v0
                                        ; implicit-def: $vgpr0_vgpr1
	v_cmpx_ne_u32_e32 0, v3
	s_xor_b32 s7, exec_lo, s7
; %bb.7283:                             ;   in Loop: Header=BB6_4897 Depth=2
	s_delay_alu instid0(VALU_DEP_2) | instskip(SKIP_1) | instid1(VALU_DEP_1)
	v_cmp_lt_u64_e32 vcc_lo, 0xffffff, v[4:5]
	v_add_nc_u32_e32 v0, 15, v102
	v_cndmask_b32_e32 v2, v3, v0, vcc_lo
	v_cndmask_b32_e64 v0, 0, 1, vcc_lo
	s_delay_alu instid0(VALU_DEP_1)
	v_lshrrev_b64 v[0:1], v0, v[4:5]
; %bb.7284:                             ;   in Loop: Header=BB6_4897 Depth=2
	s_and_not1_saveexec_b32 s7, s7
; %bb.7285:                             ;   in Loop: Header=BB6_4897 Depth=2
	v_mov_b64_e32 v[0:1], v[4:5]
	v_bfe_u32 v2, v4, 23, 1
; %bb.7286:                             ;   in Loop: Header=BB6_4897 Depth=2
	s_or_b32 exec_lo, exec_lo, s7
	s_delay_alu instid0(VALU_DEP_2) | instskip(NEXT) | instid1(VALU_DEP_2)
	v_lshrrev_b64 v[0:1], 21, v[0:1]
	v_cmp_gt_i32_e32 vcc_lo, 32, v2
	v_min_i32_e32 v3, 31, v2
	v_cmp_eq_u32_e64 s7, 0, v2
	s_delay_alu instid0(VALU_DEP_2) | instskip(SKIP_1) | instid1(VALU_DEP_2)
	v_dual_cndmask_b32 v1, 0, v1, vcc_lo :: v_dual_lshlrev_b32 v3, 2, v3
	v_cndmask_b32_e32 v0, 3, v0, vcc_lo
	v_and_b32_e32 v3, 0xfc, v3
	s_delay_alu instid0(VALU_DEP_2) | instskip(NEXT) | instid1(VALU_DEP_2)
	v_cmp_eq_u64_e32 vcc_lo, 0, v[0:1]
	v_and_or_b32 v0, v0, 3, v3
	s_and_b32 s7, s7, vcc_lo
	s_delay_alu instid0(VALU_DEP_1) | instid1(SALU_CYCLE_1)
	v_cndmask_b32_e64 v0, v0, 0, s7
	s_delay_alu instid0(VALU_DEP_1)
	v_or_b32_e32 v102, v0, v103
.LBB6_7287:                             ;   in Loop: Header=BB6_4897 Depth=2
	s_or_b32 exec_lo, exec_lo, s26
                                        ; implicit-def: $vgpr103
.LBB6_7288:                             ;   in Loop: Header=BB6_4897 Depth=2
	s_and_not1_saveexec_b32 s7, s25
; %bb.7289:                             ;   in Loop: Header=BB6_4897 Depth=2
	v_or_b32_e32 v102, 0x7b, v103
; %bb.7290:                             ;   in Loop: Header=BB6_4897 Depth=2
	s_or_b32 exec_lo, exec_lo, s7
                                        ; implicit-def: $vgpr0
                                        ; implicit-def: $vgpr1
.LBB6_7291:                             ;   in Loop: Header=BB6_4897 Depth=2
	s_and_not1_saveexec_b32 s7, s24
	s_cbranch_execz .LBB6_7297
; %bb.7292:                             ;   in Loop: Header=BB6_4897 Depth=2
	s_mov_b32 s24, exec_lo
                                        ; implicit-def: $vgpr102
	v_cmpx_ne_u64_e32 0, v[4:5]
	s_xor_b32 s24, exec_lo, s24
; %bb.7293:                             ;   in Loop: Header=BB6_4897 Depth=2
	v_or_b32_e32 v102, 0x7f, v1
                                        ; implicit-def: $vgpr0
; %bb.7294:                             ;   in Loop: Header=BB6_4897 Depth=2
	s_and_not1_saveexec_b32 s24, s24
; %bb.7295:                             ;   in Loop: Header=BB6_4897 Depth=2
	v_cmp_lt_i32_e32 vcc_lo, -1, v0
	v_cndmask_b32_e32 v102, 0xfc, v104, vcc_lo
; %bb.7296:                             ;   in Loop: Header=BB6_4897 Depth=2
	s_or_b32 exec_lo, exec_lo, s24
.LBB6_7297:                             ;   in Loop: Header=BB6_4897 Depth=2
	s_delay_alu instid0(SALU_CYCLE_1) | instskip(SKIP_4) | instid1(VALU_DEP_3)
	s_or_b32 exec_lo, exec_lo, s7
	v_and_b32_e32 v2, 0xff, v17
	v_dual_mov_b32 v4, v17 :: v_dual_mov_b32 v1, 0
	v_mov_b32_e32 v0, 0
	s_mov_b32 s24, exec_lo
	v_cmpx_ne_u16_e32 0, v2
	s_cbranch_execz .LBB6_7307
; %bb.7298:                             ;   in Loop: Header=BB6_4897 Depth=2
	v_bfrev_b32_e32 v0, 1
	s_mov_b32 s25, exec_lo
	v_cmpx_ne_u16_e32 0x80, v2
	s_cbranch_execz .LBB6_7306
; %bb.7299:                             ;   in Loop: Header=BB6_4897 Depth=2
	v_and_b32_e32 v0, 0x7c, v17
	v_and_b32_e32 v2, 3, v17
	s_delay_alu instid0(VALU_DEP_2) | instskip(SKIP_1) | instid1(SALU_CYCLE_1)
	v_cmp_ne_u32_e32 vcc_lo, 0x7c, v0
                                        ; implicit-def: $vgpr0
	s_and_saveexec_b32 s7, vcc_lo
	s_xor_b32 s7, exec_lo, s7
	s_cbranch_execz .LBB6_7303
; %bb.7300:                             ;   in Loop: Header=BB6_4897 Depth=2
	v_bfe_u32 v0, v17, 2, 5
	s_mov_b32 s26, exec_lo
	s_delay_alu instid0(VALU_DEP_1)
	v_cmpx_eq_u32_e32 0, v0
; %bb.7301:                             ;   in Loop: Header=BB6_4897 Depth=2
	v_clz_i32_u32_e32 v0, v2
	s_delay_alu instid0(VALU_DEP_1) | instskip(NEXT) | instid1(VALU_DEP_1)
	v_min_u32_e32 v0, 32, v0
	v_subrev_nc_u32_e32 v2, 29, v0
	s_delay_alu instid0(VALU_DEP_1) | instskip(NEXT) | instid1(VALU_DEP_1)
	v_lshlrev_b64_e32 v[2:3], v2, v[4:5]
	v_dual_sub_nc_u32 v0, 30, v0 :: v_dual_bitop2_b32 v2, 3, v2 bitop3:0x40
; %bb.7302:                             ;   in Loop: Header=BB6_4897 Depth=2
	s_or_b32 exec_lo, exec_lo, s26
	v_lshlrev_b32_e32 v3, 24, v17
	s_delay_alu instid0(VALU_DEP_1) | instskip(NEXT) | instid1(VALU_DEP_1)
	v_and_b32_e32 v3, 0x80000000, v3
	v_lshl_add_u32 v0, v0, 23, v3
	s_delay_alu instid0(VALU_DEP_1) | instskip(NEXT) | instid1(VALU_DEP_1)
	v_lshl_or_b32 v0, v2, 21, v0
                                        ; implicit-def: $vgpr2
	v_add_nc_u32_e32 v0, 0x38000000, v0
.LBB6_7303:                             ;   in Loop: Header=BB6_4897 Depth=2
	s_and_not1_saveexec_b32 s26, s7
; %bb.7304:                             ;   in Loop: Header=BB6_4897 Depth=2
	v_bfe_i32 v0, v17, 0, 8
	v_cmp_eq_u32_e32 vcc_lo, 0, v2
	s_delay_alu instid0(VALU_DEP_2) | instskip(NEXT) | instid1(VALU_DEP_1)
	v_cmp_lt_i16_e64 s7, -1, v0
	v_cndmask_b32_e64 v0, 0xff800000, v105, s7
	s_delay_alu instid0(VALU_DEP_1)
	v_cndmask_b32_e32 v0, 0x7f800001, v0, vcc_lo
; %bb.7305:                             ;   in Loop: Header=BB6_4897 Depth=2
	s_or_b32 exec_lo, exec_lo, s26
.LBB6_7306:                             ;   in Loop: Header=BB6_4897 Depth=2
	s_delay_alu instid0(SALU_CYCLE_1)
	s_or_b32 exec_lo, exec_lo, s25
.LBB6_7307:                             ;   in Loop: Header=BB6_4897 Depth=2
	s_delay_alu instid0(SALU_CYCLE_1) | instskip(SKIP_2) | instid1(VALU_DEP_1)
	s_or_b32 exec_lo, exec_lo, s24
	v_and_b32_e32 v2, 0xff, v13
	s_mov_b32 s24, exec_lo
	v_cmpx_ne_u16_e32 0, v2
	s_cbranch_execz .LBB6_7317
; %bb.7308:                             ;   in Loop: Header=BB6_4897 Depth=2
	v_bfrev_b32_e32 v1, 1
	s_mov_b32 s25, exec_lo
	v_cmpx_ne_u16_e32 0x80, v2
	s_cbranch_execz .LBB6_7316
; %bb.7309:                             ;   in Loop: Header=BB6_4897 Depth=2
	v_and_b32_e32 v1, 0x7c, v13
	v_and_b32_e32 v2, 3, v13
	s_delay_alu instid0(VALU_DEP_2) | instskip(SKIP_1) | instid1(SALU_CYCLE_1)
	v_cmp_ne_u32_e32 vcc_lo, 0x7c, v1
                                        ; implicit-def: $vgpr1
	s_and_saveexec_b32 s7, vcc_lo
	s_xor_b32 s7, exec_lo, s7
	s_cbranch_execz .LBB6_7313
; %bb.7310:                             ;   in Loop: Header=BB6_4897 Depth=2
	v_bfe_u32 v1, v13, 2, 5
	s_mov_b32 s26, exec_lo
	s_delay_alu instid0(VALU_DEP_1)
	v_cmpx_eq_u32_e32 0, v1
; %bb.7311:                             ;   in Loop: Header=BB6_4897 Depth=2
	v_clz_i32_u32_e32 v1, v2
	v_dual_mov_b32 v2, v13 :: v_dual_mov_b32 v3, v5
	s_delay_alu instid0(VALU_DEP_2) | instskip(NEXT) | instid1(VALU_DEP_1)
	v_min_u32_e32 v1, 32, v1
	v_subrev_nc_u32_e32 v103, 29, v1
	s_delay_alu instid0(VALU_DEP_1) | instskip(NEXT) | instid1(VALU_DEP_1)
	v_lshlrev_b64_e32 v[2:3], v103, v[2:3]
	v_dual_sub_nc_u32 v1, 30, v1 :: v_dual_bitop2_b32 v2, 3, v2 bitop3:0x40
; %bb.7312:                             ;   in Loop: Header=BB6_4897 Depth=2
	s_or_b32 exec_lo, exec_lo, s26
	v_lshlrev_b32_e32 v3, 24, v13
	s_delay_alu instid0(VALU_DEP_1) | instskip(NEXT) | instid1(VALU_DEP_1)
	v_and_b32_e32 v3, 0x80000000, v3
	v_lshl_add_u32 v1, v1, 23, v3
	s_delay_alu instid0(VALU_DEP_1) | instskip(NEXT) | instid1(VALU_DEP_1)
	v_lshl_or_b32 v1, v2, 21, v1
                                        ; implicit-def: $vgpr2
	v_add_nc_u32_e32 v1, 0x38000000, v1
.LBB6_7313:                             ;   in Loop: Header=BB6_4897 Depth=2
	s_and_not1_saveexec_b32 s26, s7
; %bb.7314:                             ;   in Loop: Header=BB6_4897 Depth=2
	v_bfe_i32 v1, v13, 0, 8
	v_cmp_eq_u32_e32 vcc_lo, 0, v2
	s_delay_alu instid0(VALU_DEP_2) | instskip(NEXT) | instid1(VALU_DEP_1)
	v_cmp_lt_i16_e64 s7, -1, v1
	v_cndmask_b32_e64 v1, 0xff800000, v105, s7
	s_delay_alu instid0(VALU_DEP_1)
	v_cndmask_b32_e32 v1, 0x7f800001, v1, vcc_lo
; %bb.7315:                             ;   in Loop: Header=BB6_4897 Depth=2
	s_or_b32 exec_lo, exec_lo, s26
.LBB6_7316:                             ;   in Loop: Header=BB6_4897 Depth=2
	s_delay_alu instid0(SALU_CYCLE_1)
	s_or_b32 exec_lo, exec_lo, s25
.LBB6_7317:                             ;   in Loop: Header=BB6_4897 Depth=2
	s_delay_alu instid0(SALU_CYCLE_1) | instskip(NEXT) | instid1(VALU_DEP_1)
	s_or_b32 exec_lo, exec_lo, s24
	v_dual_mul_f32 v2, v0, v1 :: v_dual_mov_b32 v113, v5
	v_mov_b32_e32 v1, v5
                                        ; implicit-def: $vgpr103
	s_mov_b32 s7, exec_lo
	s_delay_alu instid0(VALU_DEP_2) | instskip(SKIP_2) | instid1(VALU_DEP_3)
	v_and_b32_e32 v112, 0x7f800000, v2
	v_and_b32_e32 v0, 0x7fffff, v2
	v_lshrrev_b32_e32 v3, 24, v2
	v_cmpx_ne_u64_e32 0x7f800000, v[112:113]
	s_xor_b32 s24, exec_lo, s7
	s_cbranch_execz .LBB6_7331
; %bb.7318:                             ;   in Loop: Header=BB6_4897 Depth=2
	v_and_b32_e32 v112, 0x7fffffff, v2
	v_mov_b32_e32 v113, v5
                                        ; implicit-def: $vgpr103
	s_delay_alu instid0(VALU_DEP_1) | instskip(SKIP_2) | instid1(SALU_CYCLE_1)
	v_cmp_gt_u64_e32 vcc_lo, 0x47600001, v[112:113]
	v_and_b32_e32 v112, 0x80, v3
	s_and_saveexec_b32 s7, vcc_lo
	s_xor_b32 s25, exec_lo, s7
	s_cbranch_execz .LBB6_7328
; %bb.7319:                             ;   in Loop: Header=BB6_4897 Depth=2
	v_mov_b32_e32 v103, 0
	s_mov_b32 s26, exec_lo
	v_cmpx_ne_u32_e32 0, v2
	s_cbranch_execz .LBB6_7327
; %bb.7320:                             ;   in Loop: Header=BB6_4897 Depth=2
	v_bfe_u32 v103, v2, 23, 8
	v_or_b32_e32 v3, 0x800000, v0
	s_delay_alu instid0(VALU_DEP_2) | instskip(SKIP_2) | instid1(VALU_DEP_2)
	v_cmp_gt_u32_e64 s7, 0x72, v103
	v_sub_nc_u32_e32 v2, 0x71, v103
	v_cmp_eq_u32_e32 vcc_lo, 0, v103
	v_dual_cndmask_b32 v2, 0, v2, s7 :: v_dual_cndmask_b32 v0, v3, v0, vcc_lo
	s_delay_alu instid0(VALU_DEP_1) | instskip(NEXT) | instid1(VALU_DEP_1)
	v_cndmask_b32_e64 v113, v2, 0x70, vcc_lo
	v_dual_add_nc_u32 v2, 21, v113 :: v_dual_add_nc_u32 v114, 20, v113
	s_delay_alu instid0(VALU_DEP_1) | instskip(NEXT) | instid1(VALU_DEP_2)
	v_lshlrev_b64_e64 v[2:3], v2, -1
	v_lshlrev_b64_e64 v[114:115], v114, 1
	s_delay_alu instid0(VALU_DEP_2) | instskip(SKIP_1) | instid1(VALU_DEP_4)
	v_bfi_b32 v2, v2, 0, v0
	v_lshrrev_b64 v[0:1], v113, v[0:1]
	v_bfi_b32 v3, v3, 0, 0
	s_delay_alu instid0(VALU_DEP_1) | instskip(NEXT) | instid1(VALU_DEP_3)
	v_cmp_eq_u64_e64 s7, v[2:3], v[114:115]
	v_mov_b64_e32 v[2:3], v[0:1]
	s_and_saveexec_b32 s27, s7
; %bb.7321:                             ;   in Loop: Header=BB6_4897 Depth=2
	v_bfe_u32 v2, v0, 21, 1
	v_mov_b32_e32 v3, v5
	s_delay_alu instid0(VALU_DEP_1) | instskip(NEXT) | instid1(VALU_DEP_1)
	v_add_nc_u64_e32 v[2:3], v[0:1], v[2:3]
	v_add_nc_u64_e32 v[2:3], -1, v[2:3]
; %bb.7322:                             ;   in Loop: Header=BB6_4897 Depth=2
	s_or_b32 exec_lo, exec_lo, s27
	v_add_nc_u32_e32 v1, 0xffffff81, v103
	v_lshrrev_b32_e32 v3, 23, v0
	s_mov_b32 s7, exec_lo
	s_delay_alu instid0(VALU_DEP_2) | instskip(NEXT) | instid1(VALU_DEP_1)
	v_cndmask_b32_e64 v1, v1, 0xffffff82, vcc_lo
	v_add3_u32 v103, v113, v1, v3
	v_and_b32_e32 v1, 0x1fffff, v2
                                        ; implicit-def: $vgpr2
	s_delay_alu instid0(VALU_DEP_1) | instskip(SKIP_1) | instid1(VALU_DEP_2)
	v_dual_add_nc_u32 v3, 14, v103 :: v_dual_add_nc_u32 v0, v1, v0
	v_mov_b32_e32 v1, v5
	v_cmpx_ne_u32_e32 0, v3
	s_xor_b32 s7, exec_lo, s7
; %bb.7323:                             ;   in Loop: Header=BB6_4897 Depth=2
	s_delay_alu instid0(VALU_DEP_2) | instskip(SKIP_1) | instid1(VALU_DEP_1)
	v_cmp_lt_u64_e32 vcc_lo, 0xffffff, v[0:1]
	v_add_nc_u32_e32 v2, 15, v103
	v_cndmask_b32_e32 v2, v3, v2, vcc_lo
	v_cndmask_b32_e64 v3, 0, 1, vcc_lo
	s_delay_alu instid0(VALU_DEP_1)
	v_lshrrev_b64 v[0:1], v3, v[0:1]
; %bb.7324:                             ;   in Loop: Header=BB6_4897 Depth=2
	s_and_not1_saveexec_b32 s7, s7
; %bb.7325:                             ;   in Loop: Header=BB6_4897 Depth=2
	s_delay_alu instid0(VALU_DEP_1)
	v_bfe_u32 v2, v0, 23, 1
; %bb.7326:                             ;   in Loop: Header=BB6_4897 Depth=2
	s_or_b32 exec_lo, exec_lo, s7
	s_delay_alu instid0(VALU_DEP_2) | instskip(NEXT) | instid1(VALU_DEP_2)
	v_lshrrev_b64 v[0:1], 21, v[0:1]
	v_cmp_gt_i32_e32 vcc_lo, 32, v2
	v_min_i32_e32 v3, 31, v2
	v_cmp_eq_u32_e64 s7, 0, v2
	s_delay_alu instid0(VALU_DEP_2) | instskip(SKIP_1) | instid1(VALU_DEP_2)
	v_dual_cndmask_b32 v1, 0, v1, vcc_lo :: v_dual_lshlrev_b32 v3, 2, v3
	v_cndmask_b32_e32 v0, 3, v0, vcc_lo
	v_and_b32_e32 v3, 0xfc, v3
	s_delay_alu instid0(VALU_DEP_2) | instskip(NEXT) | instid1(VALU_DEP_2)
	v_cmp_eq_u64_e32 vcc_lo, 0, v[0:1]
	v_and_or_b32 v0, v0, 3, v3
	s_and_b32 s7, s7, vcc_lo
	s_delay_alu instid0(VALU_DEP_1) | instid1(SALU_CYCLE_1)
	v_cndmask_b32_e64 v0, v0, 0, s7
	s_delay_alu instid0(VALU_DEP_1)
	v_or_b32_e32 v103, v0, v112
.LBB6_7327:                             ;   in Loop: Header=BB6_4897 Depth=2
	s_or_b32 exec_lo, exec_lo, s26
                                        ; implicit-def: $vgpr112
.LBB6_7328:                             ;   in Loop: Header=BB6_4897 Depth=2
	s_and_not1_saveexec_b32 s7, s25
; %bb.7329:                             ;   in Loop: Header=BB6_4897 Depth=2
	v_or_b32_e32 v103, 0x7b, v112
; %bb.7330:                             ;   in Loop: Header=BB6_4897 Depth=2
	s_or_b32 exec_lo, exec_lo, s7
                                        ; implicit-def: $vgpr2
                                        ; implicit-def: $vgpr0_vgpr1
                                        ; implicit-def: $vgpr3
.LBB6_7331:                             ;   in Loop: Header=BB6_4897 Depth=2
	s_and_not1_saveexec_b32 s7, s24
	s_cbranch_execz .LBB6_7337
; %bb.7332:                             ;   in Loop: Header=BB6_4897 Depth=2
	s_mov_b32 s24, exec_lo
                                        ; implicit-def: $vgpr103
	v_cmpx_ne_u64_e32 0, v[0:1]
	s_xor_b32 s24, exec_lo, s24
; %bb.7333:                             ;   in Loop: Header=BB6_4897 Depth=2
	v_or_b32_e32 v103, 0x7f, v3
                                        ; implicit-def: $vgpr2
; %bb.7334:                             ;   in Loop: Header=BB6_4897 Depth=2
	s_and_not1_saveexec_b32 s24, s24
; %bb.7335:                             ;   in Loop: Header=BB6_4897 Depth=2
	v_cmp_lt_i32_e32 vcc_lo, -1, v2
	v_cndmask_b32_e32 v103, 0xfc, v104, vcc_lo
; %bb.7336:                             ;   in Loop: Header=BB6_4897 Depth=2
	s_or_b32 exec_lo, exec_lo, s24
.LBB6_7337:                             ;   in Loop: Header=BB6_4897 Depth=2
	s_delay_alu instid0(SALU_CYCLE_1) | instskip(SKIP_3) | instid1(VALU_DEP_2)
	s_or_b32 exec_lo, exec_lo, s7
	v_lshrrev_b16 v0, 8, v4
	v_dual_mov_b32 v2, 0 :: v_dual_mov_b32 v3, 0
	s_mov_b32 s24, exec_lo
	v_cmpx_ne_u16_e32 0, v0
	s_cbranch_execz .LBB6_7347
; %bb.7338:                             ;   in Loop: Header=BB6_4897 Depth=2
	v_bfrev_b32_e32 v3, 1
	s_mov_b32 s25, exec_lo
	v_cmpx_ne_u16_e32 0x80, v0
	s_cbranch_execz .LBB6_7346
; %bb.7339:                             ;   in Loop: Header=BB6_4897 Depth=2
	v_and_b32_e32 v112, 0xffff, v0
	s_delay_alu instid0(VALU_DEP_1) | instskip(SKIP_1) | instid1(VALU_DEP_2)
	v_and_b32_e32 v3, 0x7c, v112
	v_and_b32_e32 v1, 3, v112
	v_cmp_ne_u32_e32 vcc_lo, 0x7c, v3
                                        ; implicit-def: $vgpr3
	s_and_saveexec_b32 s7, vcc_lo
	s_delay_alu instid0(SALU_CYCLE_1)
	s_xor_b32 s7, exec_lo, s7
	s_cbranch_execz .LBB6_7343
; %bb.7340:                             ;   in Loop: Header=BB6_4897 Depth=2
	v_bfe_u32 v3, v112, 2, 5
	s_mov_b32 s26, exec_lo
	s_delay_alu instid0(VALU_DEP_1)
	v_cmpx_eq_u32_e32 0, v3
	s_cbranch_execz .LBB6_7342
; %bb.7341:                             ;   in Loop: Header=BB6_4897 Depth=2
	v_clz_i32_u32_e32 v1, v1
	s_delay_alu instid0(VALU_DEP_1) | instskip(SKIP_1) | instid1(VALU_DEP_2)
	v_min_u32_e32 v3, 32, v1
	v_mov_b32_e32 v1, v5
	v_subrev_nc_u32_e32 v112, 29, v3
	v_sub_nc_u32_e32 v3, 30, v3
	s_delay_alu instid0(VALU_DEP_2) | instskip(NEXT) | instid1(VALU_DEP_1)
	v_lshlrev_b64_e32 v[0:1], v112, v[0:1]
	v_and_b32_e32 v1, 3, v0
.LBB6_7342:                             ;   in Loop: Header=BB6_4897 Depth=2
	s_or_b32 exec_lo, exec_lo, s26
	v_lshlrev_b32_e32 v0, 16, v4
	s_delay_alu instid0(VALU_DEP_1) | instskip(NEXT) | instid1(VALU_DEP_1)
	v_and_b32_e32 v0, 0x80000000, v0
	v_lshl_add_u32 v0, v3, 23, v0
	s_delay_alu instid0(VALU_DEP_1) | instskip(NEXT) | instid1(VALU_DEP_1)
	v_lshl_or_b32 v0, v1, 21, v0
                                        ; implicit-def: $vgpr1
	v_add_nc_u32_e32 v3, 0x38000000, v0
.LBB6_7343:                             ;   in Loop: Header=BB6_4897 Depth=2
	s_and_not1_saveexec_b32 s26, s7
; %bb.7344:                             ;   in Loop: Header=BB6_4897 Depth=2
	v_cmp_lt_i16_e64 s7, -1, v4
	v_cmp_eq_u32_e32 vcc_lo, 0, v1
	s_delay_alu instid0(VALU_DEP_2) | instskip(NEXT) | instid1(VALU_DEP_1)
	v_cndmask_b32_e64 v0, 0xff800000, v105, s7
	v_cndmask_b32_e32 v3, 0x7f800001, v0, vcc_lo
; %bb.7345:                             ;   in Loop: Header=BB6_4897 Depth=2
	s_or_b32 exec_lo, exec_lo, s26
.LBB6_7346:                             ;   in Loop: Header=BB6_4897 Depth=2
	s_delay_alu instid0(SALU_CYCLE_1)
	s_or_b32 exec_lo, exec_lo, s25
.LBB6_7347:                             ;   in Loop: Header=BB6_4897 Depth=2
	s_delay_alu instid0(SALU_CYCLE_1) | instskip(SKIP_2) | instid1(VALU_DEP_1)
	s_or_b32 exec_lo, exec_lo, s24
	v_lshrrev_b16 v0, 8, v13
	s_mov_b32 s24, exec_lo
	v_cmpx_ne_u16_e32 0, v0
	s_cbranch_execz .LBB6_7357
; %bb.7348:                             ;   in Loop: Header=BB6_4897 Depth=2
	v_bfrev_b32_e32 v2, 1
	s_mov_b32 s25, exec_lo
	v_cmpx_ne_u16_e32 0x80, v0
	s_cbranch_execz .LBB6_7356
; %bb.7349:                             ;   in Loop: Header=BB6_4897 Depth=2
	v_and_b32_e32 v4, 0xffff, v0
	s_delay_alu instid0(VALU_DEP_1) | instskip(SKIP_1) | instid1(VALU_DEP_2)
	v_and_b32_e32 v2, 0x7c, v4
	v_and_b32_e32 v1, 3, v4
	v_cmp_ne_u32_e32 vcc_lo, 0x7c, v2
                                        ; implicit-def: $vgpr2
	s_and_saveexec_b32 s7, vcc_lo
	s_delay_alu instid0(SALU_CYCLE_1)
	s_xor_b32 s7, exec_lo, s7
	s_cbranch_execz .LBB6_7353
; %bb.7350:                             ;   in Loop: Header=BB6_4897 Depth=2
	v_bfe_u32 v2, v4, 2, 5
	s_mov_b32 s26, exec_lo
	s_delay_alu instid0(VALU_DEP_1)
	v_cmpx_eq_u32_e32 0, v2
	s_cbranch_execz .LBB6_7352
; %bb.7351:                             ;   in Loop: Header=BB6_4897 Depth=2
	v_clz_i32_u32_e32 v1, v1
	s_delay_alu instid0(VALU_DEP_1) | instskip(SKIP_1) | instid1(VALU_DEP_2)
	v_min_u32_e32 v2, 32, v1
	v_mov_b32_e32 v1, v5
	v_subrev_nc_u32_e32 v4, 29, v2
	v_sub_nc_u32_e32 v2, 30, v2
	s_delay_alu instid0(VALU_DEP_2) | instskip(NEXT) | instid1(VALU_DEP_1)
	v_lshlrev_b64_e32 v[0:1], v4, v[0:1]
	v_and_b32_e32 v1, 3, v0
.LBB6_7352:                             ;   in Loop: Header=BB6_4897 Depth=2
	s_or_b32 exec_lo, exec_lo, s26
	v_lshlrev_b32_e32 v0, 16, v13
	s_delay_alu instid0(VALU_DEP_1) | instskip(NEXT) | instid1(VALU_DEP_1)
	v_and_b32_e32 v0, 0x80000000, v0
	v_lshl_add_u32 v0, v2, 23, v0
	s_delay_alu instid0(VALU_DEP_1) | instskip(NEXT) | instid1(VALU_DEP_1)
	v_lshl_or_b32 v0, v1, 21, v0
                                        ; implicit-def: $vgpr1
	v_add_nc_u32_e32 v2, 0x38000000, v0
.LBB6_7353:                             ;   in Loop: Header=BB6_4897 Depth=2
	s_and_not1_saveexec_b32 s26, s7
; %bb.7354:                             ;   in Loop: Header=BB6_4897 Depth=2
	v_cmp_lt_i16_e64 s7, -1, v13
	v_cmp_eq_u32_e32 vcc_lo, 0, v1
	s_delay_alu instid0(VALU_DEP_2) | instskip(NEXT) | instid1(VALU_DEP_1)
	v_cndmask_b32_e64 v0, 0xff800000, v105, s7
	v_cndmask_b32_e32 v2, 0x7f800001, v0, vcc_lo
; %bb.7355:                             ;   in Loop: Header=BB6_4897 Depth=2
	s_or_b32 exec_lo, exec_lo, s26
.LBB6_7356:                             ;   in Loop: Header=BB6_4897 Depth=2
	s_delay_alu instid0(SALU_CYCLE_1)
	s_or_b32 exec_lo, exec_lo, s25
.LBB6_7357:                             ;   in Loop: Header=BB6_4897 Depth=2
	s_delay_alu instid0(SALU_CYCLE_1) | instskip(NEXT) | instid1(VALU_DEP_1)
	s_or_b32 exec_lo, exec_lo, s24
	v_dual_mul_f32 v0, v3, v2 :: v_dual_mov_b32 v3, v5
                                        ; implicit-def: $vgpr112
	s_mov_b32 s7, exec_lo
	s_delay_alu instid0(VALU_DEP_1) | instskip(SKIP_2) | instid1(VALU_DEP_3)
	v_and_b32_e32 v2, 0x7f800000, v0
	v_and_b32_e32 v4, 0x7fffff, v0
	v_lshrrev_b32_e32 v1, 24, v0
	v_cmpx_ne_u64_e32 0x7f800000, v[2:3]
	s_xor_b32 s24, exec_lo, s7
	s_cbranch_execz .LBB6_7371
; %bb.7358:                             ;   in Loop: Header=BB6_4897 Depth=2
	v_and_b32_e32 v2, 0x7fffffff, v0
	v_mov_b32_e32 v3, v5
	v_and_b32_e32 v113, 0x80, v1
                                        ; implicit-def: $vgpr112
	s_mov_b32 s7, exec_lo
	s_delay_alu instid0(VALU_DEP_2)
	v_cmpx_gt_u64_e32 0x47600001, v[2:3]
	s_xor_b32 s25, exec_lo, s7
	s_cbranch_execz .LBB6_7368
; %bb.7359:                             ;   in Loop: Header=BB6_4897 Depth=2
	v_mov_b32_e32 v112, 0
	s_mov_b32 s26, exec_lo
	v_cmpx_ne_u32_e32 0, v0
	s_cbranch_execz .LBB6_7367
; %bb.7360:                             ;   in Loop: Header=BB6_4897 Depth=2
	v_bfe_u32 v112, v0, 23, 8
	v_or_b32_e32 v1, 0x800000, v4
	s_delay_alu instid0(VALU_DEP_2) | instskip(SKIP_2) | instid1(VALU_DEP_2)
	v_cmp_gt_u32_e64 s7, 0x72, v112
	v_sub_nc_u32_e32 v0, 0x71, v112
	v_cmp_eq_u32_e32 vcc_lo, 0, v112
	v_cndmask_b32_e64 v0, 0, v0, s7
	s_delay_alu instid0(VALU_DEP_1) | instskip(SKIP_1) | instid1(VALU_DEP_2)
	v_cndmask_b32_e64 v114, v0, 0x70, vcc_lo
	v_cndmask_b32_e32 v0, v1, v4, vcc_lo
	v_dual_mov_b32 v1, v5 :: v_dual_add_nc_u32 v2, 21, v114
	v_add_nc_u32_e32 v4, 20, v114
	s_delay_alu instid0(VALU_DEP_2) | instskip(NEXT) | instid1(VALU_DEP_2)
	v_lshlrev_b64_e64 v[2:3], v2, -1
	v_lshlrev_b64_e64 v[116:117], v4, 1
	s_delay_alu instid0(VALU_DEP_2) | instskip(SKIP_1) | instid1(VALU_DEP_4)
	v_bfi_b32 v2, v2, 0, v0
	v_lshrrev_b64 v[0:1], v114, v[0:1]
	v_bfi_b32 v3, v3, 0, 0
	s_delay_alu instid0(VALU_DEP_1) | instskip(NEXT) | instid1(VALU_DEP_3)
	v_cmp_eq_u64_e64 s7, v[2:3], v[116:117]
	v_mov_b64_e32 v[2:3], v[0:1]
	s_and_saveexec_b32 s27, s7
; %bb.7361:                             ;   in Loop: Header=BB6_4897 Depth=2
	v_bfe_u32 v2, v0, 21, 1
	v_mov_b32_e32 v3, v5
	s_delay_alu instid0(VALU_DEP_1) | instskip(NEXT) | instid1(VALU_DEP_1)
	v_add_nc_u64_e32 v[2:3], v[0:1], v[2:3]
	v_add_nc_u64_e32 v[2:3], -1, v[2:3]
; %bb.7362:                             ;   in Loop: Header=BB6_4897 Depth=2
	s_or_b32 exec_lo, exec_lo, s27
	v_add_nc_u32_e32 v1, 0xffffff81, v112
	v_lshrrev_b32_e32 v3, 23, v0
	s_mov_b32 s7, exec_lo
	s_delay_alu instid0(VALU_DEP_2) | instskip(NEXT) | instid1(VALU_DEP_1)
	v_cndmask_b32_e64 v1, v1, 0xffffff82, vcc_lo
	v_add3_u32 v112, v114, v1, v3
	v_and_b32_e32 v1, 0x1fffff, v2
                                        ; implicit-def: $vgpr2
	s_delay_alu instid0(VALU_DEP_2) | instskip(NEXT) | instid1(VALU_DEP_2)
	v_add_nc_u32_e32 v3, 14, v112
	v_add_nc_u32_e32 v4, v1, v0
                                        ; implicit-def: $vgpr0_vgpr1
	s_delay_alu instid0(VALU_DEP_2)
	v_cmpx_ne_u32_e32 0, v3
	s_xor_b32 s7, exec_lo, s7
; %bb.7363:                             ;   in Loop: Header=BB6_4897 Depth=2
	s_delay_alu instid0(VALU_DEP_2) | instskip(SKIP_1) | instid1(VALU_DEP_1)
	v_cmp_lt_u64_e32 vcc_lo, 0xffffff, v[4:5]
	v_add_nc_u32_e32 v0, 15, v112
	v_cndmask_b32_e32 v2, v3, v0, vcc_lo
	v_cndmask_b32_e64 v0, 0, 1, vcc_lo
	s_delay_alu instid0(VALU_DEP_1)
	v_lshrrev_b64 v[0:1], v0, v[4:5]
; %bb.7364:                             ;   in Loop: Header=BB6_4897 Depth=2
	s_and_not1_saveexec_b32 s7, s7
; %bb.7365:                             ;   in Loop: Header=BB6_4897 Depth=2
	v_mov_b64_e32 v[0:1], v[4:5]
	v_bfe_u32 v2, v4, 23, 1
; %bb.7366:                             ;   in Loop: Header=BB6_4897 Depth=2
	s_or_b32 exec_lo, exec_lo, s7
	s_delay_alu instid0(VALU_DEP_2) | instskip(NEXT) | instid1(VALU_DEP_2)
	v_lshrrev_b64 v[0:1], 21, v[0:1]
	v_cmp_gt_i32_e32 vcc_lo, 32, v2
	v_min_i32_e32 v3, 31, v2
	v_cmp_eq_u32_e64 s7, 0, v2
	s_delay_alu instid0(VALU_DEP_2) | instskip(SKIP_1) | instid1(VALU_DEP_2)
	v_dual_cndmask_b32 v1, 0, v1, vcc_lo :: v_dual_lshlrev_b32 v3, 2, v3
	v_cndmask_b32_e32 v0, 3, v0, vcc_lo
	v_and_b32_e32 v3, 0xfc, v3
	s_delay_alu instid0(VALU_DEP_2) | instskip(NEXT) | instid1(VALU_DEP_2)
	v_cmp_eq_u64_e32 vcc_lo, 0, v[0:1]
	v_and_or_b32 v0, v0, 3, v3
	s_and_b32 s7, s7, vcc_lo
	s_delay_alu instid0(VALU_DEP_1) | instid1(SALU_CYCLE_1)
	v_cndmask_b32_e64 v0, v0, 0, s7
	s_delay_alu instid0(VALU_DEP_1)
	v_or_b32_e32 v112, v0, v113
.LBB6_7367:                             ;   in Loop: Header=BB6_4897 Depth=2
	s_or_b32 exec_lo, exec_lo, s26
                                        ; implicit-def: $vgpr113
.LBB6_7368:                             ;   in Loop: Header=BB6_4897 Depth=2
	s_and_not1_saveexec_b32 s7, s25
; %bb.7369:                             ;   in Loop: Header=BB6_4897 Depth=2
	v_or_b32_e32 v112, 0x7b, v113
; %bb.7370:                             ;   in Loop: Header=BB6_4897 Depth=2
	s_or_b32 exec_lo, exec_lo, s7
                                        ; implicit-def: $vgpr0
                                        ; implicit-def: $vgpr1
.LBB6_7371:                             ;   in Loop: Header=BB6_4897 Depth=2
	s_and_not1_saveexec_b32 s7, s24
	s_cbranch_execz .LBB6_7377
; %bb.7372:                             ;   in Loop: Header=BB6_4897 Depth=2
	s_mov_b32 s24, exec_lo
                                        ; implicit-def: $vgpr112
	v_cmpx_ne_u64_e32 0, v[4:5]
	s_xor_b32 s24, exec_lo, s24
; %bb.7373:                             ;   in Loop: Header=BB6_4897 Depth=2
	v_or_b32_e32 v112, 0x7f, v1
                                        ; implicit-def: $vgpr0
; %bb.7374:                             ;   in Loop: Header=BB6_4897 Depth=2
	s_and_not1_saveexec_b32 s24, s24
; %bb.7375:                             ;   in Loop: Header=BB6_4897 Depth=2
	v_cmp_lt_i32_e32 vcc_lo, -1, v0
	v_cndmask_b32_e32 v112, 0xfc, v104, vcc_lo
; %bb.7376:                             ;   in Loop: Header=BB6_4897 Depth=2
	s_or_b32 exec_lo, exec_lo, s24
.LBB6_7377:                             ;   in Loop: Header=BB6_4897 Depth=2
	s_delay_alu instid0(SALU_CYCLE_1) | instskip(SKIP_3) | instid1(VALU_DEP_2)
	s_or_b32 exec_lo, exec_lo, s7
	v_dual_mov_b32 v1, 0 :: v_dual_lshrrev_b32 v0, 16, v17
	v_mov_b32_e32 v2, 0
	s_mov_b32 s24, exec_lo
	v_and_b32_e32 v3, 0xff, v0
	s_delay_alu instid0(VALU_DEP_1)
	v_cmpx_ne_u16_e32 0, v3
	s_cbranch_execz .LBB6_7387
; %bb.7378:                             ;   in Loop: Header=BB6_4897 Depth=2
	v_bfrev_b32_e32 v2, 1
	s_mov_b32 s25, exec_lo
	v_cmpx_ne_u16_e32 0x80, v3
	s_cbranch_execz .LBB6_7386
; %bb.7379:                             ;   in Loop: Header=BB6_4897 Depth=2
	v_and_b32_e32 v2, 0x7c0000, v17
	v_bfe_u32 v3, v17, 16, 2
	s_delay_alu instid0(VALU_DEP_2) | instskip(SKIP_1) | instid1(SALU_CYCLE_1)
	v_cmp_ne_u32_e32 vcc_lo, 0x7c0000, v2
                                        ; implicit-def: $vgpr2
	s_and_saveexec_b32 s7, vcc_lo
	s_xor_b32 s7, exec_lo, s7
	s_cbranch_execz .LBB6_7383
; %bb.7380:                             ;   in Loop: Header=BB6_4897 Depth=2
	v_bfe_u32 v2, v17, 18, 5
	s_mov_b32 s26, exec_lo
	s_delay_alu instid0(VALU_DEP_1)
	v_cmpx_eq_u32_e32 0, v2
; %bb.7381:                             ;   in Loop: Header=BB6_4897 Depth=2
	v_clz_i32_u32_e32 v2, v3
	s_delay_alu instid0(VALU_DEP_1) | instskip(NEXT) | instid1(VALU_DEP_1)
	v_min_u32_e32 v2, 32, v2
	v_subrev_nc_u32_e32 v3, 29, v2
	v_sub_nc_u32_e32 v2, 30, v2
	s_delay_alu instid0(VALU_DEP_2) | instskip(NEXT) | instid1(VALU_DEP_1)
	v_lshlrev_b64_e32 v[114:115], v3, v[0:1]
	v_and_b32_e32 v3, 3, v114
; %bb.7382:                             ;   in Loop: Header=BB6_4897 Depth=2
	s_or_b32 exec_lo, exec_lo, s26
	v_lshlrev_b32_e32 v0, 24, v0
	s_delay_alu instid0(VALU_DEP_1) | instskip(NEXT) | instid1(VALU_DEP_1)
	v_and_b32_e32 v0, 0x80000000, v0
	v_lshl_add_u32 v0, v2, 23, v0
	s_delay_alu instid0(VALU_DEP_1) | instskip(NEXT) | instid1(VALU_DEP_1)
	v_lshl_or_b32 v0, v3, 21, v0
                                        ; implicit-def: $vgpr3
	v_add_nc_u32_e32 v2, 0x38000000, v0
                                        ; implicit-def: $vgpr0
.LBB6_7383:                             ;   in Loop: Header=BB6_4897 Depth=2
	s_and_not1_saveexec_b32 s26, s7
; %bb.7384:                             ;   in Loop: Header=BB6_4897 Depth=2
	v_bfe_i32 v0, v0, 0, 8
	v_cmp_eq_u32_e32 vcc_lo, 0, v3
	s_delay_alu instid0(VALU_DEP_2) | instskip(NEXT) | instid1(VALU_DEP_1)
	v_cmp_lt_i16_e64 s7, -1, v0
	v_cndmask_b32_e64 v0, 0xff800000, v105, s7
	s_delay_alu instid0(VALU_DEP_1)
	v_cndmask_b32_e32 v2, 0x7f800001, v0, vcc_lo
; %bb.7385:                             ;   in Loop: Header=BB6_4897 Depth=2
	s_or_b32 exec_lo, exec_lo, s26
.LBB6_7386:                             ;   in Loop: Header=BB6_4897 Depth=2
	s_delay_alu instid0(SALU_CYCLE_1)
	s_or_b32 exec_lo, exec_lo, s25
.LBB6_7387:                             ;   in Loop: Header=BB6_4897 Depth=2
	s_delay_alu instid0(SALU_CYCLE_1) | instskip(SKIP_2) | instid1(VALU_DEP_1)
	s_or_b32 exec_lo, exec_lo, s24
	v_lshrrev_b32_e32 v0, 16, v13
	s_mov_b32 s24, exec_lo
	v_and_b32_e32 v3, 0xff, v0
	s_delay_alu instid0(VALU_DEP_1)
	v_cmpx_ne_u16_e32 0, v3
	s_cbranch_execz .LBB6_7397
; %bb.7388:                             ;   in Loop: Header=BB6_4897 Depth=2
	v_bfrev_b32_e32 v1, 1
	s_mov_b32 s25, exec_lo
	v_cmpx_ne_u16_e32 0x80, v3
	s_cbranch_execz .LBB6_7396
; %bb.7389:                             ;   in Loop: Header=BB6_4897 Depth=2
	v_and_b32_e32 v1, 0x7c0000, v13
	v_bfe_u32 v3, v13, 16, 2
	s_delay_alu instid0(VALU_DEP_2) | instskip(SKIP_1) | instid1(SALU_CYCLE_1)
	v_cmp_ne_u32_e32 vcc_lo, 0x7c0000, v1
                                        ; implicit-def: $vgpr1
	s_and_saveexec_b32 s7, vcc_lo
	s_xor_b32 s7, exec_lo, s7
	s_cbranch_execz .LBB6_7393
; %bb.7390:                             ;   in Loop: Header=BB6_4897 Depth=2
	v_bfe_u32 v1, v13, 18, 5
	s_mov_b32 s26, exec_lo
	s_delay_alu instid0(VALU_DEP_1)
	v_cmpx_eq_u32_e32 0, v1
; %bb.7391:                             ;   in Loop: Header=BB6_4897 Depth=2
	v_clz_i32_u32_e32 v1, v3
	s_delay_alu instid0(VALU_DEP_1) | instskip(NEXT) | instid1(VALU_DEP_1)
	v_min_u32_e32 v1, 32, v1
	v_subrev_nc_u32_e32 v3, 29, v1
	s_delay_alu instid0(VALU_DEP_1) | instskip(NEXT) | instid1(VALU_DEP_1)
	v_lshlrev_b64_e32 v[114:115], v3, v[0:1]
	v_dual_sub_nc_u32 v1, 30, v1 :: v_dual_bitop2_b32 v3, 3, v114 bitop3:0x40
; %bb.7392:                             ;   in Loop: Header=BB6_4897 Depth=2
	s_or_b32 exec_lo, exec_lo, s26
	v_lshlrev_b32_e32 v0, 24, v0
	s_delay_alu instid0(VALU_DEP_1) | instskip(NEXT) | instid1(VALU_DEP_1)
	v_and_b32_e32 v0, 0x80000000, v0
	v_lshl_add_u32 v0, v1, 23, v0
	s_delay_alu instid0(VALU_DEP_1) | instskip(NEXT) | instid1(VALU_DEP_1)
	v_lshl_or_b32 v0, v3, 21, v0
                                        ; implicit-def: $vgpr3
	v_add_nc_u32_e32 v1, 0x38000000, v0
                                        ; implicit-def: $vgpr0
.LBB6_7393:                             ;   in Loop: Header=BB6_4897 Depth=2
	s_and_not1_saveexec_b32 s26, s7
; %bb.7394:                             ;   in Loop: Header=BB6_4897 Depth=2
	v_bfe_i32 v0, v0, 0, 8
	v_cmp_eq_u32_e32 vcc_lo, 0, v3
	s_delay_alu instid0(VALU_DEP_2) | instskip(NEXT) | instid1(VALU_DEP_1)
	v_cmp_lt_i16_e64 s7, -1, v0
	v_cndmask_b32_e64 v0, 0xff800000, v105, s7
	s_delay_alu instid0(VALU_DEP_1)
	v_cndmask_b32_e32 v1, 0x7f800001, v0, vcc_lo
; %bb.7395:                             ;   in Loop: Header=BB6_4897 Depth=2
	s_or_b32 exec_lo, exec_lo, s26
.LBB6_7396:                             ;   in Loop: Header=BB6_4897 Depth=2
	s_delay_alu instid0(SALU_CYCLE_1)
	s_or_b32 exec_lo, exec_lo, s25
.LBB6_7397:                             ;   in Loop: Header=BB6_4897 Depth=2
	s_delay_alu instid0(SALU_CYCLE_1) | instskip(NEXT) | instid1(VALU_DEP_1)
	s_or_b32 exec_lo, exec_lo, s24
	v_dual_mul_f32 v0, v2, v1 :: v_dual_mov_b32 v3, v5
                                        ; implicit-def: $vgpr113
	s_mov_b32 s7, exec_lo
	s_delay_alu instid0(VALU_DEP_1) | instskip(SKIP_2) | instid1(VALU_DEP_3)
	v_and_b32_e32 v2, 0x7f800000, v0
	v_and_b32_e32 v4, 0x7fffff, v0
	v_lshrrev_b32_e32 v1, 24, v0
	v_cmpx_ne_u64_e32 0x7f800000, v[2:3]
	s_xor_b32 s24, exec_lo, s7
	s_cbranch_execz .LBB6_7411
; %bb.7398:                             ;   in Loop: Header=BB6_4897 Depth=2
	v_and_b32_e32 v2, 0x7fffffff, v0
	v_mov_b32_e32 v3, v5
	v_and_b32_e32 v114, 0x80, v1
                                        ; implicit-def: $vgpr113
	s_mov_b32 s7, exec_lo
	s_delay_alu instid0(VALU_DEP_2)
	v_cmpx_gt_u64_e32 0x47600001, v[2:3]
	s_xor_b32 s25, exec_lo, s7
	s_cbranch_execz .LBB6_7408
; %bb.7399:                             ;   in Loop: Header=BB6_4897 Depth=2
	v_mov_b32_e32 v113, 0
	s_mov_b32 s26, exec_lo
	v_cmpx_ne_u32_e32 0, v0
	s_cbranch_execz .LBB6_7407
; %bb.7400:                             ;   in Loop: Header=BB6_4897 Depth=2
	v_bfe_u32 v113, v0, 23, 8
	v_or_b32_e32 v1, 0x800000, v4
	s_delay_alu instid0(VALU_DEP_2) | instskip(SKIP_2) | instid1(VALU_DEP_2)
	v_cmp_gt_u32_e64 s7, 0x72, v113
	v_sub_nc_u32_e32 v0, 0x71, v113
	v_cmp_eq_u32_e32 vcc_lo, 0, v113
	v_cndmask_b32_e64 v0, 0, v0, s7
	s_delay_alu instid0(VALU_DEP_1) | instskip(SKIP_1) | instid1(VALU_DEP_2)
	v_cndmask_b32_e64 v115, v0, 0x70, vcc_lo
	v_cndmask_b32_e32 v0, v1, v4, vcc_lo
	v_dual_mov_b32 v1, v5 :: v_dual_add_nc_u32 v2, 21, v115
	v_add_nc_u32_e32 v4, 20, v115
	s_delay_alu instid0(VALU_DEP_2) | instskip(NEXT) | instid1(VALU_DEP_2)
	v_lshlrev_b64_e64 v[2:3], v2, -1
	v_lshlrev_b64_e64 v[116:117], v4, 1
	s_delay_alu instid0(VALU_DEP_2) | instskip(SKIP_1) | instid1(VALU_DEP_4)
	v_bfi_b32 v2, v2, 0, v0
	v_lshrrev_b64 v[0:1], v115, v[0:1]
	v_bfi_b32 v3, v3, 0, 0
	s_delay_alu instid0(VALU_DEP_1) | instskip(NEXT) | instid1(VALU_DEP_3)
	v_cmp_eq_u64_e64 s7, v[2:3], v[116:117]
	v_mov_b64_e32 v[2:3], v[0:1]
	s_and_saveexec_b32 s27, s7
; %bb.7401:                             ;   in Loop: Header=BB6_4897 Depth=2
	v_bfe_u32 v2, v0, 21, 1
	v_mov_b32_e32 v3, v5
	s_delay_alu instid0(VALU_DEP_1) | instskip(NEXT) | instid1(VALU_DEP_1)
	v_add_nc_u64_e32 v[2:3], v[0:1], v[2:3]
	v_add_nc_u64_e32 v[2:3], -1, v[2:3]
; %bb.7402:                             ;   in Loop: Header=BB6_4897 Depth=2
	s_or_b32 exec_lo, exec_lo, s27
	v_add_nc_u32_e32 v1, 0xffffff81, v113
	v_lshrrev_b32_e32 v3, 23, v0
	s_mov_b32 s7, exec_lo
	s_delay_alu instid0(VALU_DEP_2) | instskip(NEXT) | instid1(VALU_DEP_1)
	v_cndmask_b32_e64 v1, v1, 0xffffff82, vcc_lo
	v_add3_u32 v113, v115, v1, v3
	v_and_b32_e32 v1, 0x1fffff, v2
                                        ; implicit-def: $vgpr2
	s_delay_alu instid0(VALU_DEP_1) | instskip(NEXT) | instid1(VALU_DEP_1)
	v_dual_add_nc_u32 v3, 14, v113 :: v_dual_add_nc_u32 v4, v1, v0
                                        ; implicit-def: $vgpr0_vgpr1
	v_cmpx_ne_u32_e32 0, v3
	s_xor_b32 s7, exec_lo, s7
; %bb.7403:                             ;   in Loop: Header=BB6_4897 Depth=2
	s_delay_alu instid0(VALU_DEP_2) | instskip(SKIP_1) | instid1(VALU_DEP_1)
	v_cmp_lt_u64_e32 vcc_lo, 0xffffff, v[4:5]
	v_add_nc_u32_e32 v0, 15, v113
	v_cndmask_b32_e32 v2, v3, v0, vcc_lo
	v_cndmask_b32_e64 v0, 0, 1, vcc_lo
	s_delay_alu instid0(VALU_DEP_1)
	v_lshrrev_b64 v[0:1], v0, v[4:5]
; %bb.7404:                             ;   in Loop: Header=BB6_4897 Depth=2
	s_and_not1_saveexec_b32 s7, s7
; %bb.7405:                             ;   in Loop: Header=BB6_4897 Depth=2
	v_mov_b64_e32 v[0:1], v[4:5]
	v_bfe_u32 v2, v4, 23, 1
; %bb.7406:                             ;   in Loop: Header=BB6_4897 Depth=2
	s_or_b32 exec_lo, exec_lo, s7
	s_delay_alu instid0(VALU_DEP_2) | instskip(NEXT) | instid1(VALU_DEP_2)
	v_lshrrev_b64 v[0:1], 21, v[0:1]
	v_cmp_gt_i32_e32 vcc_lo, 32, v2
	v_min_i32_e32 v3, 31, v2
	v_cmp_eq_u32_e64 s7, 0, v2
	s_delay_alu instid0(VALU_DEP_2) | instskip(SKIP_1) | instid1(VALU_DEP_2)
	v_dual_cndmask_b32 v1, 0, v1, vcc_lo :: v_dual_lshlrev_b32 v3, 2, v3
	v_cndmask_b32_e32 v0, 3, v0, vcc_lo
	v_and_b32_e32 v3, 0xfc, v3
	s_delay_alu instid0(VALU_DEP_2) | instskip(NEXT) | instid1(VALU_DEP_2)
	v_cmp_eq_u64_e32 vcc_lo, 0, v[0:1]
	v_and_or_b32 v0, v0, 3, v3
	s_and_b32 s7, s7, vcc_lo
	s_delay_alu instid0(VALU_DEP_1) | instid1(SALU_CYCLE_1)
	v_cndmask_b32_e64 v0, v0, 0, s7
	s_delay_alu instid0(VALU_DEP_1)
	v_or_b32_e32 v113, v0, v114
.LBB6_7407:                             ;   in Loop: Header=BB6_4897 Depth=2
	s_or_b32 exec_lo, exec_lo, s26
                                        ; implicit-def: $vgpr114
.LBB6_7408:                             ;   in Loop: Header=BB6_4897 Depth=2
	s_and_not1_saveexec_b32 s7, s25
; %bb.7409:                             ;   in Loop: Header=BB6_4897 Depth=2
	v_or_b32_e32 v113, 0x7b, v114
; %bb.7410:                             ;   in Loop: Header=BB6_4897 Depth=2
	s_or_b32 exec_lo, exec_lo, s7
                                        ; implicit-def: $vgpr0
                                        ; implicit-def: $vgpr1
.LBB6_7411:                             ;   in Loop: Header=BB6_4897 Depth=2
	s_and_not1_saveexec_b32 s7, s24
	s_cbranch_execz .LBB6_7417
; %bb.7412:                             ;   in Loop: Header=BB6_4897 Depth=2
	s_mov_b32 s24, exec_lo
                                        ; implicit-def: $vgpr113
	v_cmpx_ne_u64_e32 0, v[4:5]
	s_xor_b32 s24, exec_lo, s24
; %bb.7413:                             ;   in Loop: Header=BB6_4897 Depth=2
	v_or_b32_e32 v113, 0x7f, v1
                                        ; implicit-def: $vgpr0
; %bb.7414:                             ;   in Loop: Header=BB6_4897 Depth=2
	s_and_not1_saveexec_b32 s24, s24
; %bb.7415:                             ;   in Loop: Header=BB6_4897 Depth=2
	v_cmp_lt_i32_e32 vcc_lo, -1, v0
	v_cndmask_b32_e32 v113, 0xfc, v104, vcc_lo
; %bb.7416:                             ;   in Loop: Header=BB6_4897 Depth=2
	s_or_b32 exec_lo, exec_lo, s24
.LBB6_7417:                             ;   in Loop: Header=BB6_4897 Depth=2
	s_delay_alu instid0(SALU_CYCLE_1)
	s_or_b32 exec_lo, exec_lo, s7
	v_dual_mov_b32 v1, 0 :: v_dual_mov_b32 v2, 0
	s_mov_b32 s24, exec_lo
	v_cmpx_lt_u64_e64 s[12:13], v[16:17]
	s_cbranch_execz .LBB6_7427
; %bb.7418:                             ;   in Loop: Header=BB6_4897 Depth=2
	v_lshrrev_b32_e32 v0, 24, v17
	v_bfrev_b32_e32 v2, 1
	s_mov_b32 s25, exec_lo
	s_delay_alu instid0(VALU_DEP_2)
	v_cmpx_ne_u32_e32 0x80, v0
	s_cbranch_execz .LBB6_7426
; %bb.7419:                             ;   in Loop: Header=BB6_4897 Depth=2
	v_and_b32_e32 v2, 0x7c000000, v17
	v_bfe_u32 v3, v17, 24, 2
	s_delay_alu instid0(VALU_DEP_2) | instskip(SKIP_1) | instid1(SALU_CYCLE_1)
	v_cmp_ne_u32_e32 vcc_lo, 0x7c000000, v2
                                        ; implicit-def: $vgpr2
	s_and_saveexec_b32 s7, vcc_lo
	s_xor_b32 s7, exec_lo, s7
	s_cbranch_execz .LBB6_7423
; %bb.7420:                             ;   in Loop: Header=BB6_4897 Depth=2
	v_bfe_u32 v2, v17, 26, 5
	s_mov_b32 s26, exec_lo
	s_delay_alu instid0(VALU_DEP_1)
	v_cmpx_eq_u32_e32 0, v2
; %bb.7421:                             ;   in Loop: Header=BB6_4897 Depth=2
	v_clz_i32_u32_e32 v2, v3
	s_delay_alu instid0(VALU_DEP_1) | instskip(NEXT) | instid1(VALU_DEP_1)
	v_min_u32_e32 v2, 32, v2
	v_subrev_nc_u32_e32 v3, 29, v2
	v_sub_nc_u32_e32 v2, 30, v2
	s_delay_alu instid0(VALU_DEP_2) | instskip(NEXT) | instid1(VALU_DEP_1)
	v_lshlrev_b64_e32 v[114:115], v3, v[0:1]
	v_and_b32_e32 v3, 3, v114
; %bb.7422:                             ;   in Loop: Header=BB6_4897 Depth=2
	s_or_b32 exec_lo, exec_lo, s26
	v_and_b32_e32 v0, 0x80000000, v17
                                        ; implicit-def: $vgpr16_vgpr17
	s_delay_alu instid0(VALU_DEP_1) | instskip(NEXT) | instid1(VALU_DEP_1)
	v_lshl_add_u32 v0, v2, 23, v0
	v_lshl_or_b32 v0, v3, 21, v0
                                        ; implicit-def: $vgpr3
	s_delay_alu instid0(VALU_DEP_1)
	v_add_nc_u32_e32 v2, 0x38000000, v0
.LBB6_7423:                             ;   in Loop: Header=BB6_4897 Depth=2
	s_and_not1_saveexec_b32 s26, s7
; %bb.7424:                             ;   in Loop: Header=BB6_4897 Depth=2
	v_cmp_lt_i64_e64 s7, -1, v[16:17]
	v_cmp_eq_u32_e32 vcc_lo, 0, v3
	s_delay_alu instid0(VALU_DEP_2) | instskip(NEXT) | instid1(VALU_DEP_1)
	v_cndmask_b32_e64 v0, 0xff800000, v105, s7
	v_cndmask_b32_e32 v2, 0x7f800001, v0, vcc_lo
; %bb.7425:                             ;   in Loop: Header=BB6_4897 Depth=2
	s_or_b32 exec_lo, exec_lo, s26
.LBB6_7426:                             ;   in Loop: Header=BB6_4897 Depth=2
	s_delay_alu instid0(SALU_CYCLE_1)
	s_or_b32 exec_lo, exec_lo, s25
.LBB6_7427:                             ;   in Loop: Header=BB6_4897 Depth=2
	s_delay_alu instid0(SALU_CYCLE_1) | instskip(NEXT) | instid1(SALU_CYCLE_1)
	s_or_b32 exec_lo, exec_lo, s24
	s_mov_b32 s24, exec_lo
	v_cmpx_lt_u64_e64 s[12:13], v[12:13]
	s_cbranch_execz .LBB6_7437
; %bb.7428:                             ;   in Loop: Header=BB6_4897 Depth=2
	v_lshrrev_b32_e32 v0, 24, v13
	v_bfrev_b32_e32 v1, 1
	s_mov_b32 s25, exec_lo
	s_delay_alu instid0(VALU_DEP_2)
	v_cmpx_ne_u32_e32 0x80, v0
	s_cbranch_execz .LBB6_7436
; %bb.7429:                             ;   in Loop: Header=BB6_4897 Depth=2
	v_and_b32_e32 v1, 0x7c000000, v13
	v_bfe_u32 v3, v13, 24, 2
	s_delay_alu instid0(VALU_DEP_2) | instskip(SKIP_1) | instid1(SALU_CYCLE_1)
	v_cmp_ne_u32_e32 vcc_lo, 0x7c000000, v1
                                        ; implicit-def: $vgpr1
	s_and_saveexec_b32 s7, vcc_lo
	s_xor_b32 s7, exec_lo, s7
	s_cbranch_execz .LBB6_7433
; %bb.7430:                             ;   in Loop: Header=BB6_4897 Depth=2
	v_bfe_u32 v1, v13, 26, 5
	s_mov_b32 s26, exec_lo
	s_delay_alu instid0(VALU_DEP_1)
	v_cmpx_eq_u32_e32 0, v1
; %bb.7431:                             ;   in Loop: Header=BB6_4897 Depth=2
	v_clz_i32_u32_e32 v1, v3
	s_delay_alu instid0(VALU_DEP_1) | instskip(NEXT) | instid1(VALU_DEP_1)
	v_min_u32_e32 v3, 32, v1
	v_subrev_nc_u32_e32 v1, 29, v3
	s_delay_alu instid0(VALU_DEP_1) | instskip(NEXT) | instid1(VALU_DEP_1)
	v_lshlrev_b64_e32 v[0:1], v1, v[0:1]
	v_dual_sub_nc_u32 v1, 30, v3 :: v_dual_bitop2_b32 v3, 3, v0 bitop3:0x40
; %bb.7432:                             ;   in Loop: Header=BB6_4897 Depth=2
	s_or_b32 exec_lo, exec_lo, s26
	v_and_b32_e32 v0, 0x80000000, v13
                                        ; implicit-def: $vgpr12_vgpr13
	s_delay_alu instid0(VALU_DEP_1) | instskip(NEXT) | instid1(VALU_DEP_1)
	v_lshl_add_u32 v0, v1, 23, v0
	v_lshl_or_b32 v0, v3, 21, v0
                                        ; implicit-def: $vgpr3
	s_delay_alu instid0(VALU_DEP_1)
	v_add_nc_u32_e32 v1, 0x38000000, v0
.LBB6_7433:                             ;   in Loop: Header=BB6_4897 Depth=2
	s_and_not1_saveexec_b32 s26, s7
; %bb.7434:                             ;   in Loop: Header=BB6_4897 Depth=2
	v_cmp_lt_i64_e64 s7, -1, v[12:13]
	v_cmp_eq_u32_e32 vcc_lo, 0, v3
	s_delay_alu instid0(VALU_DEP_2) | instskip(NEXT) | instid1(VALU_DEP_1)
	v_cndmask_b32_e64 v0, 0xff800000, v105, s7
	v_cndmask_b32_e32 v1, 0x7f800001, v0, vcc_lo
; %bb.7435:                             ;   in Loop: Header=BB6_4897 Depth=2
	s_or_b32 exec_lo, exec_lo, s26
.LBB6_7436:                             ;   in Loop: Header=BB6_4897 Depth=2
	s_delay_alu instid0(SALU_CYCLE_1)
	s_or_b32 exec_lo, exec_lo, s25
.LBB6_7437:                             ;   in Loop: Header=BB6_4897 Depth=2
	s_delay_alu instid0(SALU_CYCLE_1) | instskip(NEXT) | instid1(VALU_DEP_1)
	s_or_b32 exec_lo, exec_lo, s24
	v_dual_mul_f32 v1, v2, v1 :: v_dual_mov_b32 v3, v5
                                        ; implicit-def: $vgpr0
	s_delay_alu instid0(VALU_DEP_1) | instskip(SKIP_1) | instid1(VALU_DEP_2)
	v_and_b32_e32 v2, 0x7f800000, v1
	v_and_b32_e32 v4, 0x7fffff, v1
	v_cmp_ne_u64_e32 vcc_lo, 0x7f800000, v[2:3]
	v_lshrrev_b32_e32 v2, 24, v1
	s_and_saveexec_b32 s7, vcc_lo
	s_delay_alu instid0(SALU_CYCLE_1)
	s_xor_b32 s24, exec_lo, s7
	s_cbranch_execz .LBB6_7451
; %bb.7438:                             ;   in Loop: Header=BB6_4897 Depth=2
	v_and_b32_e32 v12, 0x7fffffff, v1
	v_mov_b32_e32 v13, v5
                                        ; implicit-def: $vgpr0
	s_delay_alu instid0(VALU_DEP_1) | instskip(SKIP_2) | instid1(SALU_CYCLE_1)
	v_cmp_gt_u64_e32 vcc_lo, 0x47600001, v[12:13]
	v_and_b32_e32 v12, 0x80, v2
	s_and_saveexec_b32 s7, vcc_lo
	s_xor_b32 s25, exec_lo, s7
	s_cbranch_execz .LBB6_7448
; %bb.7439:                             ;   in Loop: Header=BB6_4897 Depth=2
	v_mov_b32_e32 v0, 0
	s_mov_b32 s26, exec_lo
	v_cmpx_ne_u32_e32 0, v1
	s_cbranch_execz .LBB6_7447
; %bb.7440:                             ;   in Loop: Header=BB6_4897 Depth=2
	v_bfe_u32 v13, v1, 23, 8
	v_or_b32_e32 v1, 0x800000, v4
	s_delay_alu instid0(VALU_DEP_2) | instskip(SKIP_2) | instid1(VALU_DEP_2)
	v_cmp_gt_u32_e64 s7, 0x72, v13
	v_sub_nc_u32_e32 v0, 0x71, v13
	v_cmp_eq_u32_e32 vcc_lo, 0, v13
	v_cndmask_b32_e64 v0, 0, v0, s7
	s_delay_alu instid0(VALU_DEP_1) | instskip(SKIP_1) | instid1(VALU_DEP_2)
	v_cndmask_b32_e64 v16, v0, 0x70, vcc_lo
	v_cndmask_b32_e32 v0, v1, v4, vcc_lo
	v_dual_mov_b32 v1, v5 :: v_dual_add_nc_u32 v2, 21, v16
	v_add_nc_u32_e32 v4, 20, v16
	s_delay_alu instid0(VALU_DEP_2) | instskip(NEXT) | instid1(VALU_DEP_2)
	v_lshlrev_b64_e64 v[2:3], v2, -1
	v_lshlrev_b64_e64 v[114:115], v4, 1
	s_delay_alu instid0(VALU_DEP_2) | instskip(SKIP_1) | instid1(VALU_DEP_4)
	v_bfi_b32 v2, v2, 0, v0
	v_lshrrev_b64 v[0:1], v16, v[0:1]
	v_bfi_b32 v3, v3, 0, 0
	s_delay_alu instid0(VALU_DEP_1) | instskip(NEXT) | instid1(VALU_DEP_3)
	v_cmp_eq_u64_e64 s7, v[2:3], v[114:115]
	v_mov_b64_e32 v[2:3], v[0:1]
	s_and_saveexec_b32 s27, s7
; %bb.7441:                             ;   in Loop: Header=BB6_4897 Depth=2
	v_bfe_u32 v2, v0, 21, 1
	v_mov_b32_e32 v3, v5
	s_delay_alu instid0(VALU_DEP_1) | instskip(NEXT) | instid1(VALU_DEP_1)
	v_add_nc_u64_e32 v[2:3], v[0:1], v[2:3]
	v_add_nc_u64_e32 v[2:3], -1, v[2:3]
; %bb.7442:                             ;   in Loop: Header=BB6_4897 Depth=2
	s_or_b32 exec_lo, exec_lo, s27
	v_add_nc_u32_e32 v1, 0xffffff81, v13
	v_lshrrev_b32_e32 v3, 23, v0
	s_mov_b32 s7, exec_lo
	s_delay_alu instid0(VALU_DEP_2) | instskip(NEXT) | instid1(VALU_DEP_1)
	v_cndmask_b32_e64 v1, v1, 0xffffff82, vcc_lo
	v_add3_u32 v13, v16, v1, v3
	v_and_b32_e32 v1, 0x1fffff, v2
                                        ; implicit-def: $vgpr2
	s_delay_alu instid0(VALU_DEP_1) | instskip(NEXT) | instid1(VALU_DEP_1)
	v_dual_add_nc_u32 v3, 14, v13 :: v_dual_add_nc_u32 v4, v1, v0
                                        ; implicit-def: $vgpr0_vgpr1
	v_cmpx_ne_u32_e32 0, v3
	s_xor_b32 s7, exec_lo, s7
; %bb.7443:                             ;   in Loop: Header=BB6_4897 Depth=2
	s_delay_alu instid0(VALU_DEP_2) | instskip(SKIP_1) | instid1(VALU_DEP_1)
	v_cmp_lt_u64_e32 vcc_lo, 0xffffff, v[4:5]
	v_add_nc_u32_e32 v0, 15, v13
	v_cndmask_b32_e32 v2, v3, v0, vcc_lo
	v_cndmask_b32_e64 v0, 0, 1, vcc_lo
	s_delay_alu instid0(VALU_DEP_1)
	v_lshrrev_b64 v[0:1], v0, v[4:5]
; %bb.7444:                             ;   in Loop: Header=BB6_4897 Depth=2
	s_and_not1_saveexec_b32 s7, s7
; %bb.7445:                             ;   in Loop: Header=BB6_4897 Depth=2
	v_mov_b64_e32 v[0:1], v[4:5]
	v_bfe_u32 v2, v4, 23, 1
; %bb.7446:                             ;   in Loop: Header=BB6_4897 Depth=2
	s_or_b32 exec_lo, exec_lo, s7
	s_delay_alu instid0(VALU_DEP_2) | instskip(NEXT) | instid1(VALU_DEP_2)
	v_lshrrev_b64 v[0:1], 21, v[0:1]
	v_cmp_gt_i32_e32 vcc_lo, 32, v2
	v_min_i32_e32 v3, 31, v2
	v_cmp_eq_u32_e64 s7, 0, v2
	s_delay_alu instid0(VALU_DEP_2) | instskip(SKIP_1) | instid1(VALU_DEP_2)
	v_dual_cndmask_b32 v1, 0, v1, vcc_lo :: v_dual_lshlrev_b32 v3, 2, v3
	v_cndmask_b32_e32 v0, 3, v0, vcc_lo
	v_and_b32_e32 v3, 0xfc, v3
	s_delay_alu instid0(VALU_DEP_2) | instskip(NEXT) | instid1(VALU_DEP_2)
	v_cmp_eq_u64_e32 vcc_lo, 0, v[0:1]
	v_and_or_b32 v0, v0, 3, v3
	s_and_b32 s7, s7, vcc_lo
	s_delay_alu instid0(VALU_DEP_1) | instid1(SALU_CYCLE_1)
	v_cndmask_b32_e64 v0, v0, 0, s7
	s_delay_alu instid0(VALU_DEP_1)
	v_or_b32_e32 v0, v0, v12
.LBB6_7447:                             ;   in Loop: Header=BB6_4897 Depth=2
	s_or_b32 exec_lo, exec_lo, s26
                                        ; implicit-def: $vgpr12
.LBB6_7448:                             ;   in Loop: Header=BB6_4897 Depth=2
	s_and_not1_saveexec_b32 s7, s25
; %bb.7449:                             ;   in Loop: Header=BB6_4897 Depth=2
	v_or_b32_e32 v0, 0x7b, v12
; %bb.7450:                             ;   in Loop: Header=BB6_4897 Depth=2
	s_or_b32 exec_lo, exec_lo, s7
                                        ; implicit-def: $vgpr1
                                        ; implicit-def: $vgpr2
.LBB6_7451:                             ;   in Loop: Header=BB6_4897 Depth=2
	s_and_not1_saveexec_b32 s7, s24
	s_cbranch_execz .LBB6_4896
; %bb.7452:                             ;   in Loop: Header=BB6_4897 Depth=2
	s_mov_b32 s24, exec_lo
                                        ; implicit-def: $vgpr0
	v_cmpx_ne_u64_e32 0, v[4:5]
	s_xor_b32 s24, exec_lo, s24
; %bb.7453:                             ;   in Loop: Header=BB6_4897 Depth=2
	v_or_b32_e32 v0, 0x7f, v2
                                        ; implicit-def: $vgpr1
; %bb.7454:                             ;   in Loop: Header=BB6_4897 Depth=2
	s_and_not1_saveexec_b32 s24, s24
	s_cbranch_execz .LBB6_4895
; %bb.7455:                             ;   in Loop: Header=BB6_4897 Depth=2
	v_cmp_lt_i32_e32 vcc_lo, -1, v1
	v_cndmask_b32_e32 v0, 0xfc, v104, vcc_lo
	s_branch .LBB6_4895
.LBB6_7456:                             ;   in Loop: Header=BB6_4821 Depth=1
	s_or_b32 exec_lo, exec_lo, s23
	s_clause 0x4
	scratch_load_b64 v[100:101], off, s33 offset:308
	scratch_load_b128 v[112:115], off, s33 offset:284
	scratch_load_b64 v[102:103], off, s33 offset:316
	scratch_load_b64 v[116:117], off, s33 offset:324
	;; [unrolled: 1-line block ×3, first 2 shown]
	s_wait_loadcnt 0x3
	scratch_load_b64 v[114:115], off, s33 offset:300 ; 8-byte Folded Reload
.LBB6_7457:                             ;   in Loop: Header=BB6_4821 Depth=1
	s_wait_xcnt 0x0
	s_or_b32 exec_lo, exec_lo, s10
	v_and_b32_e32 v1, 0x3ffff800, v108
	v_mov_b32_e32 v4, 0
	s_mov_b32 s7, 0
	s_mov_b32 s23, exec_lo
                                        ; implicit-def: $vgpr3
                                        ; implicit-def: $vgpr7
                                        ; implicit-def: $vgpr0
	s_delay_alu instid0(VALU_DEP_2)
	v_cmpx_ne_u32_e64 v108, v1
	s_cbranch_execz .LBB6_8041
; %bb.7458:                             ;   in Loop: Header=BB6_4821 Depth=1
	scratch_load_b32 v2, off, s33 offset:452 ; 4-byte Folded Reload
	v_lshlrev_b32_e32 v0, 5, v6
	v_and_b32_e32 v24, 0x1ff, v108
	v_bfe_u32 v4, v108, 9, 2
	s_mov_b32 s24, exec_lo
	s_delay_alu instid0(VALU_DEP_2) | instskip(NEXT) | instid1(VALU_DEP_2)
	v_cmp_lt_u32_e32 vcc_lo, 15, v24
	v_add_co_ci_u32_e64 v4, null, 0, v4, vcc_lo
	s_wait_loadcnt 0x0
	v_sub_nc_u32_e32 v0, v2, v0
	s_delay_alu instid0(VALU_DEP_1) | instskip(NEXT) | instid1(VALU_DEP_1)
	v_ashrrev_i32_e32 v2, 31, v0
	v_lshrrev_b32_e32 v2, 27, v2
	s_delay_alu instid0(VALU_DEP_1) | instskip(NEXT) | instid1(VALU_DEP_1)
	v_add_nc_u32_e32 v2, v0, v2
	v_and_b32_e32 v3, 0xffffffe0, v2
	s_delay_alu instid0(VALU_DEP_1) | instskip(SKIP_1) | instid1(VALU_DEP_2)
	v_dual_ashrrev_i32 v2, 5, v2 :: v_dual_sub_nc_u32 v22, v0, v3
	v_and_b32_e32 v3, 0x7ff, v108
	v_sub_nc_u32_e32 v23, v4, v2
	s_delay_alu instid0(VALU_DEP_3) | instskip(NEXT) | instid1(VALU_DEP_1)
	v_lshlrev_b32_e32 v0, 4, v22
	v_lshl_add_u32 v0, v2, 9, v0
	s_delay_alu instid0(VALU_DEP_1) | instskip(SKIP_1) | instid1(VALU_DEP_1)
	v_sub_nc_u32_e32 v25, v3, v0
	s_wait_xcnt 0x0
	v_cmpx_lt_i32_e32 15, v25
	s_cbranch_execz .LBB6_8038
; %bb.7459:                             ;   in Loop: Header=BB6_4821 Depth=1
	s_trap 2
	ds_load_b64 v[6:7], v0
	v_add_nc_u32_e32 v0, v0, v1
	s_mov_b32 s25, 0
	s_delay_alu instid0(VALU_DEP_1) | instskip(NEXT) | instid1(VALU_DEP_1)
	v_ashrrev_i32_e32 v1, 31, v0
	v_add_nc_u64_e32 v[2:3], v[0:1], v[118:119]
	v_add_nc_u64_e32 v[20:21], v[0:1], v[40:41]
	s_wait_dscnt 0x0
	v_add_nc_u64_e32 v[18:19], v[6:7], v[0:1]
	s_branch .LBB6_7462
.LBB6_7460:                             ;   in Loop: Header=BB6_7462 Depth=2
	s_or_b32 exec_lo, exec_lo, s26
.LBB6_7461:                             ;   in Loop: Header=BB6_7462 Depth=2
	s_delay_alu instid0(SALU_CYCLE_1)
	s_or_b32 exec_lo, exec_lo, s10
	v_lshl_or_b32 v1, v31, 8, v30
	v_dual_lshlrev_b32 v4, 16, v32 :: v_dual_lshlrev_b32 v6, 24, v10
	v_dual_lshlrev_b32 v0, 24, v0 :: v_dual_lshlrev_b32 v16, 16, v34
	v_lshl_or_b32 v9, v9, 8, v8
	v_lshl_or_b32 v10, v27, 8, v26
	s_delay_alu instid0(VALU_DEP_4) | instskip(SKIP_1) | instid1(VALU_DEP_4)
	v_or3_b32 v7, v1, v4, v6
	v_dual_lshlrev_b32 v12, 16, v28 :: v_dual_lshlrev_b32 v13, 24, v29
	v_or3_b32 v9, v9, v16, v0
	scratch_load_b64 v[0:1], off, s33 offset:236 ; 8-byte Folded Reload
	v_lshl_or_b32 v11, v14, 8, v11
	v_dual_lshlrev_b32 v14, 16, v15 :: v_dual_lshlrev_b32 v15, 24, v33
	v_or3_b32 v6, v10, v12, v13
	v_sub_nc_u32_e32 v25, v25, v92
	v_add_nc_u64_e32 v[2:3], v[2:3], v[92:93]
	v_add_nc_u64_e32 v[18:19], v[18:19], v[92:93]
	v_or3_b32 v8, v11, v14, v15
	s_delay_alu instid0(VALU_DEP_4)
	v_cmp_gt_i32_e64 s7, 16, v25
	global_store_b128 v[20:21], v[6:9], off th:TH_STORE_NT
	s_wait_xcnt 0x0
	v_add_nc_u64_e32 v[20:21], v[20:21], v[92:93]
	s_or_b32 s25, s7, s25
	s_wait_loadcnt 0x0
	v_sub_nc_u32_e32 v23, v23, v0
	s_and_not1_b32 exec_lo, exec_lo, s25
	s_cbranch_execz .LBB6_8037
.LBB6_7462:                             ;   Parent Loop BB6_4821 Depth=1
                                        ; =>  This Inner Loop Header: Depth=2
	global_load_b128 v[14:17], v[2:3], off th:TH_LOAD_NT
	global_load_b128 v[10:13], v[18:19], off th:TH_LOAD_NT
	s_wait_loadcnt 0x1
	v_and_b32_e32 v0, 0xff, v14
	s_delay_alu instid0(VALU_DEP_1)
	v_cmp_ne_u16_e64 s7, 0, v0
	v_mov_b32_e32 v0, 0
	s_wait_xcnt 0x0
	s_and_saveexec_b32 s10, s7
	s_cbranch_execz .LBB6_7472
; %bb.7463:                             ;   in Loop: Header=BB6_7462 Depth=2
	v_bfe_i32 v4, v14, 0, 8
	v_bfrev_b32_e32 v0, 1
	s_mov_b32 s26, exec_lo
	s_delay_alu instid0(VALU_DEP_2)
	v_cmpx_ne_u16_e32 0xff80, v4
	s_cbranch_execz .LBB6_7471
; %bb.7464:                             ;   in Loop: Header=BB6_7462 Depth=2
	v_and_b32_e32 v0, 0x7c, v14
	v_and_b32_e32 v1, 3, v14
	s_delay_alu instid0(VALU_DEP_2) | instskip(SKIP_1) | instid1(SALU_CYCLE_1)
	v_cmp_ne_u32_e64 s7, 0x7c, v0
                                        ; implicit-def: $vgpr0
	s_and_saveexec_b32 s27, s7
	s_xor_b32 s27, exec_lo, s27
	s_cbranch_execz .LBB6_7468
; %bb.7465:                             ;   in Loop: Header=BB6_7462 Depth=2
	v_bfe_u32 v0, v14, 2, 5
	s_mov_b32 s28, exec_lo
	s_delay_alu instid0(VALU_DEP_1)
	v_cmpx_eq_u32_e32 0, v0
; %bb.7466:                             ;   in Loop: Header=BB6_7462 Depth=2
	v_clz_i32_u32_e32 v0, v1
	s_delay_alu instid0(VALU_DEP_1) | instskip(NEXT) | instid1(VALU_DEP_1)
	v_min_u32_e32 v0, 32, v0
	v_subrev_nc_u32_e32 v1, 29, v0
	s_delay_alu instid0(VALU_DEP_1) | instskip(NEXT) | instid1(VALU_DEP_1)
	v_lshlrev_b64_e32 v[6:7], v1, v[14:15]
	v_dual_sub_nc_u32 v0, 30, v0 :: v_dual_bitop2_b32 v1, 3, v6 bitop3:0x40
; %bb.7467:                             ;   in Loop: Header=BB6_7462 Depth=2
	s_or_b32 exec_lo, exec_lo, s28
	v_lshlrev_b32_e32 v4, 24, v14
	s_delay_alu instid0(VALU_DEP_1) | instskip(NEXT) | instid1(VALU_DEP_1)
	v_and_b32_e32 v4, 0x80000000, v4
	v_lshl_add_u32 v0, v0, 23, v4
                                        ; implicit-def: $vgpr4
	s_delay_alu instid0(VALU_DEP_1) | instskip(NEXT) | instid1(VALU_DEP_1)
	v_lshl_or_b32 v0, v1, 21, v0
                                        ; implicit-def: $vgpr1
	v_add_nc_u32_e32 v0, 0x38000000, v0
.LBB6_7468:                             ;   in Loop: Header=BB6_7462 Depth=2
	s_and_not1_saveexec_b32 s27, s27
; %bb.7469:                             ;   in Loop: Header=BB6_7462 Depth=2
	v_cmp_lt_i16_e64 s7, -1, v4
	s_delay_alu instid0(VALU_DEP_1) | instskip(SKIP_1) | instid1(VALU_DEP_1)
	v_cndmask_b32_e64 v0, 0xff800000, v105, s7
	v_cmp_eq_u32_e64 s7, 0, v1
	v_cndmask_b32_e64 v0, 0x7f800001, v0, s7
; %bb.7470:                             ;   in Loop: Header=BB6_7462 Depth=2
	s_or_b32 exec_lo, exec_lo, s27
.LBB6_7471:                             ;   in Loop: Header=BB6_7462 Depth=2
	s_delay_alu instid0(SALU_CYCLE_1)
	s_or_b32 exec_lo, exec_lo, s26
.LBB6_7472:                             ;   in Loop: Header=BB6_7462 Depth=2
	s_delay_alu instid0(SALU_CYCLE_1) | instskip(SKIP_4) | instid1(VALU_DEP_1)
	s_or_b32 exec_lo, exec_lo, s10
	s_wait_loadcnt 0x0
	v_and_b32_e32 v4, 0xff, v10
	s_mov_b32 s26, 0
	s_mov_b32 s10, exec_lo
	v_cmpx_lt_i16_e32 0x7f, v4
	s_xor_b32 s10, exec_lo, s10
	s_cbranch_execz .LBB6_8013
; %bb.7473:                             ;   in Loop: Header=BB6_7462 Depth=2
	s_mov_b32 s26, -1
	s_mov_b32 s27, exec_lo
	v_cmpx_eq_u16_e32 0x80, v4
; %bb.7474:                             ;   in Loop: Header=BB6_7462 Depth=2
	s_xor_b32 s26, exec_lo, -1
; %bb.7475:                             ;   in Loop: Header=BB6_7462 Depth=2
	s_or_b32 exec_lo, exec_lo, s27
	s_delay_alu instid0(SALU_CYCLE_1)
	s_and_b32 s26, s26, exec_lo
                                        ; implicit-def: $vgpr4
	s_or_saveexec_b32 s10, s10
	v_bfrev_b32_e32 v1, 1
	s_xor_b32 exec_lo, exec_lo, s10
	s_cbranch_execnz .LBB6_8014
.LBB6_7476:                             ;   in Loop: Header=BB6_7462 Depth=2
	s_or_b32 exec_lo, exec_lo, s10
	s_and_saveexec_b32 s10, s26
	s_cbranch_execz .LBB6_7478
.LBB6_7477:                             ;   in Loop: Header=BB6_7462 Depth=2
	v_and_b32_e32 v1, 3, v10
	v_bfe_u32 v8, v10, 2, 5
	s_delay_alu instid0(VALU_DEP_2) | instskip(NEXT) | instid1(VALU_DEP_2)
	v_clz_i32_u32_e32 v4, v1
	v_cmp_eq_u32_e64 s7, 0, v8
	s_delay_alu instid0(VALU_DEP_2) | instskip(NEXT) | instid1(VALU_DEP_1)
	v_min_u32_e32 v4, 32, v4
	v_subrev_nc_u32_e32 v6, 29, v4
	s_delay_alu instid0(VALU_DEP_1) | instskip(SKIP_1) | instid1(VALU_DEP_1)
	v_lshlrev_b64_e32 v[6:7], v6, v[10:11]
	v_dual_lshlrev_b32 v7, 24, v10 :: v_dual_sub_nc_u32 v4, 30, v4
	v_and_b32_e32 v7, 0x80000000, v7
	s_delay_alu instid0(VALU_DEP_2) | instskip(SKIP_1) | instid1(VALU_DEP_2)
	v_dual_cndmask_b32 v4, v8, v4, s7 :: v_dual_bitop2_b32 v6, 3, v6 bitop3:0x40
	v_bfe_i32 v8, v10, 0, 8
	v_cndmask_b32_e64 v6, v1, v6, s7
	s_delay_alu instid0(VALU_DEP_3) | instskip(NEXT) | instid1(VALU_DEP_3)
	v_lshl_add_u32 v4, v4, 23, v7
	v_cmp_lt_i16_e64 s7, -1, v8
	s_delay_alu instid0(VALU_DEP_2) | instskip(NEXT) | instid1(VALU_DEP_2)
	v_lshl_or_b32 v4, v6, 21, v4
	v_cndmask_b32_e64 v7, 0xff800000, v105, s7
	v_and_b32_e32 v6, 0x7c, v10
	v_cmp_eq_u32_e64 s7, 0, v1
	s_delay_alu instid0(VALU_DEP_4) | instskip(NEXT) | instid1(VALU_DEP_2)
	v_add_nc_u32_e32 v4, 0x38000000, v4
	v_cndmask_b32_e64 v1, 0x7f800001, v7, s7
	s_delay_alu instid0(VALU_DEP_4) | instskip(NEXT) | instid1(VALU_DEP_1)
	v_cmp_eq_u32_e64 s7, 0x7c, v6
	v_cndmask_b32_e64 v1, v4, v1, s7
.LBB6_7478:                             ;   in Loop: Header=BB6_7462 Depth=2
	s_or_b32 exec_lo, exec_lo, s10
	s_delay_alu instid0(VALU_DEP_1) | instskip(SKIP_1) | instid1(VALU_DEP_1)
	v_dual_mul_f32 v0, v0, v1 :: v_dual_mov_b32 v7, v5
                                        ; implicit-def: $vgpr26
	s_mov_b32 s10, exec_lo
	v_and_b32_e32 v6, 0x7f800000, v0
	v_and_b32_e32 v4, 0x7fffff, v0
	v_lshrrev_b32_e32 v1, 24, v0
	s_delay_alu instid0(VALU_DEP_3)
	v_cmpx_ne_u64_e32 0x7f800000, v[6:7]
	s_xor_b32 s26, exec_lo, s10
	s_cbranch_execz .LBB6_7492
; %bb.7479:                             ;   in Loop: Header=BB6_7462 Depth=2
	v_and_b32_e32 v6, 0x7fffffff, v0
	v_mov_b32_e32 v7, v5
	v_and_b32_e32 v8, 0x80, v1
                                        ; implicit-def: $vgpr26
	s_mov_b32 s10, exec_lo
	s_delay_alu instid0(VALU_DEP_2)
	v_cmpx_gt_u64_e32 0x47600001, v[6:7]
	s_xor_b32 s27, exec_lo, s10
	s_cbranch_execz .LBB6_7489
; %bb.7480:                             ;   in Loop: Header=BB6_7462 Depth=2
	v_mov_b32_e32 v26, 0
	s_mov_b32 s28, exec_lo
	v_cmpx_ne_u32_e32 0, v0
	s_cbranch_execz .LBB6_7488
; %bb.7481:                             ;   in Loop: Header=BB6_7462 Depth=2
	v_bfe_u32 v9, v0, 23, 8
	v_or_b32_e32 v6, 0x800000, v4
	s_mov_b32 s29, exec_lo
	s_delay_alu instid0(VALU_DEP_2) | instskip(SKIP_1) | instid1(VALU_DEP_1)
	v_dual_mov_b32 v7, v5 :: v_dual_sub_nc_u32 v0, 0x71, v9
	v_cmp_gt_u32_e64 s7, 0x72, v9
	v_cndmask_b32_e64 v0, 0, v0, s7
	v_cmp_eq_u32_e64 s7, 0, v9
	s_delay_alu instid0(VALU_DEP_1) | instskip(NEXT) | instid1(VALU_DEP_1)
	v_cndmask_b32_e64 v26, v0, 0x70, s7
	v_dual_cndmask_b32 v6, v6, v4, s7 :: v_dual_add_nc_u32 v0, 21, v26
	v_add_nc_u32_e32 v27, 20, v26
	s_delay_alu instid0(VALU_DEP_2) | instskip(NEXT) | instid1(VALU_DEP_2)
	v_lshlrev_b64_e64 v[0:1], v0, -1
	v_lshlrev_b64_e64 v[28:29], v27, 1
	s_delay_alu instid0(VALU_DEP_2) | instskip(NEXT) | instid1(VALU_DEP_3)
	v_bfi_b32 v31, v1, 0, 0
	v_bfi_b32 v30, v0, 0, v6
	v_lshrrev_b64 v[0:1], v26, v[6:7]
	s_delay_alu instid0(VALU_DEP_1) | instskip(NEXT) | instid1(VALU_DEP_3)
	v_mov_b64_e32 v[6:7], v[0:1]
	v_cmpx_eq_u64_e64 v[30:31], v[28:29]
; %bb.7482:                             ;   in Loop: Header=BB6_7462 Depth=2
	v_bfe_u32 v6, v0, 21, 1
	v_mov_b32_e32 v7, v5
	s_delay_alu instid0(VALU_DEP_1) | instskip(NEXT) | instid1(VALU_DEP_1)
	v_add_nc_u64_e32 v[6:7], v[0:1], v[6:7]
	v_add_nc_u64_e32 v[6:7], -1, v[6:7]
; %bb.7483:                             ;   in Loop: Header=BB6_7462 Depth=2
	s_or_b32 exec_lo, exec_lo, s29
	v_add_nc_u32_e32 v1, 0xffffff81, v9
	v_lshrrev_b32_e32 v4, 23, v0
	s_mov_b32 s10, exec_lo
	s_delay_alu instid0(VALU_DEP_2) | instskip(NEXT) | instid1(VALU_DEP_1)
	v_cndmask_b32_e64 v1, v1, 0xffffff82, s7
	v_add3_u32 v7, v26, v1, v4
	v_and_b32_e32 v1, 0x1fffff, v6
                                        ; implicit-def: $vgpr6
	s_delay_alu instid0(VALU_DEP_1) | instskip(NEXT) | instid1(VALU_DEP_1)
	v_dual_add_nc_u32 v9, 14, v7 :: v_dual_add_nc_u32 v4, v1, v0
                                        ; implicit-def: $vgpr0_vgpr1
	v_cmpx_ne_u32_e32 0, v9
	s_xor_b32 s10, exec_lo, s10
; %bb.7484:                             ;   in Loop: Header=BB6_7462 Depth=2
	s_delay_alu instid0(VALU_DEP_2) | instskip(SKIP_1) | instid1(VALU_DEP_1)
	v_cmp_lt_u64_e64 s7, 0xffffff, v[4:5]
	v_add_nc_u32_e32 v0, 15, v7
	v_cndmask_b32_e64 v6, v9, v0, s7
	v_cndmask_b32_e64 v0, 0, 1, s7
	s_delay_alu instid0(VALU_DEP_1)
	v_lshrrev_b64 v[0:1], v0, v[4:5]
; %bb.7485:                             ;   in Loop: Header=BB6_7462 Depth=2
	s_and_not1_saveexec_b32 s7, s10
; %bb.7486:                             ;   in Loop: Header=BB6_7462 Depth=2
	v_mov_b64_e32 v[0:1], v[4:5]
	v_bfe_u32 v6, v4, 23, 1
; %bb.7487:                             ;   in Loop: Header=BB6_7462 Depth=2
	s_or_b32 exec_lo, exec_lo, s7
	s_delay_alu instid0(VALU_DEP_2) | instskip(NEXT) | instid1(VALU_DEP_2)
	v_lshrrev_b64 v[0:1], 21, v[0:1]
	v_cmp_gt_i32_e64 s7, 32, v6
	v_min_i32_e32 v4, 31, v6
	v_cmp_eq_u32_e64 s10, 0, v6
	s_delay_alu instid0(VALU_DEP_2) | instskip(SKIP_1) | instid1(VALU_DEP_2)
	v_dual_cndmask_b32 v1, 0, v1, s7 :: v_dual_lshlrev_b32 v4, 2, v4
	v_cndmask_b32_e64 v0, 3, v0, s7
	v_and_b32_e32 v4, 0xfc, v4
	s_delay_alu instid0(VALU_DEP_2) | instskip(NEXT) | instid1(VALU_DEP_2)
	v_cmp_eq_u64_e64 s7, 0, v[0:1]
	v_and_or_b32 v0, v0, 3, v4
	s_and_b32 s7, s10, s7
	s_delay_alu instid0(VALU_DEP_1) | instid1(SALU_CYCLE_1)
	v_cndmask_b32_e64 v0, v0, 0, s7
	s_delay_alu instid0(VALU_DEP_1)
	v_or_b32_e32 v26, v0, v8
.LBB6_7488:                             ;   in Loop: Header=BB6_7462 Depth=2
	s_or_b32 exec_lo, exec_lo, s28
                                        ; implicit-def: $vgpr8
.LBB6_7489:                             ;   in Loop: Header=BB6_7462 Depth=2
	s_and_not1_saveexec_b32 s7, s27
; %bb.7490:                             ;   in Loop: Header=BB6_7462 Depth=2
	v_or_b32_e32 v26, 0x7b, v8
; %bb.7491:                             ;   in Loop: Header=BB6_7462 Depth=2
	s_or_b32 exec_lo, exec_lo, s7
                                        ; implicit-def: $vgpr0
                                        ; implicit-def: $vgpr1
.LBB6_7492:                             ;   in Loop: Header=BB6_7462 Depth=2
	s_and_not1_saveexec_b32 s10, s26
	s_cbranch_execz .LBB6_7498
; %bb.7493:                             ;   in Loop: Header=BB6_7462 Depth=2
	v_cmp_ne_u64_e64 s7, 0, v[4:5]
                                        ; implicit-def: $vgpr26
	s_and_saveexec_b32 s26, s7
	s_delay_alu instid0(SALU_CYCLE_1)
	s_xor_b32 s7, exec_lo, s26
; %bb.7494:                             ;   in Loop: Header=BB6_7462 Depth=2
	v_or_b32_e32 v26, 0x7f, v1
                                        ; implicit-def: $vgpr0
; %bb.7495:                             ;   in Loop: Header=BB6_7462 Depth=2
	s_and_not1_saveexec_b32 s26, s7
; %bb.7496:                             ;   in Loop: Header=BB6_7462 Depth=2
	v_cmp_lt_i32_e64 s7, -1, v0
	s_delay_alu instid0(VALU_DEP_1)
	v_cndmask_b32_e64 v26, 0xfc, v104, s7
; %bb.7497:                             ;   in Loop: Header=BB6_7462 Depth=2
	s_or_b32 exec_lo, exec_lo, s26
.LBB6_7498:                             ;   in Loop: Header=BB6_7462 Depth=2
	s_delay_alu instid0(SALU_CYCLE_1) | instskip(SKIP_3) | instid1(VALU_DEP_2)
	s_or_b32 exec_lo, exec_lo, s10
	v_lshrrev_b16 v0, 8, v14
	v_mov_b32_e32 v4, 0
	s_mov_b32 s10, exec_lo
	v_cmpx_ne_u16_e32 0, v0
	s_cbranch_execz .LBB6_7508
; %bb.7499:                             ;   in Loop: Header=BB6_7462 Depth=2
	v_bfrev_b32_e32 v4, 1
	s_mov_b32 s26, exec_lo
	v_cmpx_ne_u16_e32 0x80, v0
	s_cbranch_execz .LBB6_7507
; %bb.7500:                             ;   in Loop: Header=BB6_7462 Depth=2
	v_and_b32_e32 v6, 0xffff, v0
	s_delay_alu instid0(VALU_DEP_1) | instskip(SKIP_1) | instid1(VALU_DEP_2)
	v_and_b32_e32 v4, 0x7c, v6
	v_and_b32_e32 v1, 3, v6
	v_cmp_ne_u32_e64 s7, 0x7c, v4
                                        ; implicit-def: $vgpr4
	s_and_saveexec_b32 s27, s7
	s_delay_alu instid0(SALU_CYCLE_1)
	s_xor_b32 s27, exec_lo, s27
	s_cbranch_execz .LBB6_7504
; %bb.7501:                             ;   in Loop: Header=BB6_7462 Depth=2
	v_bfe_u32 v4, v6, 2, 5
	s_mov_b32 s28, exec_lo
	s_delay_alu instid0(VALU_DEP_1)
	v_cmpx_eq_u32_e32 0, v4
	s_cbranch_execz .LBB6_7503
; %bb.7502:                             ;   in Loop: Header=BB6_7462 Depth=2
	v_clz_i32_u32_e32 v1, v1
	s_delay_alu instid0(VALU_DEP_1) | instskip(SKIP_1) | instid1(VALU_DEP_2)
	v_min_u32_e32 v4, 32, v1
	v_mov_b32_e32 v1, v5
	v_subrev_nc_u32_e32 v6, 29, v4
	v_sub_nc_u32_e32 v4, 30, v4
	s_delay_alu instid0(VALU_DEP_2) | instskip(NEXT) | instid1(VALU_DEP_1)
	v_lshlrev_b64_e32 v[0:1], v6, v[0:1]
	v_and_b32_e32 v1, 3, v0
.LBB6_7503:                             ;   in Loop: Header=BB6_7462 Depth=2
	s_or_b32 exec_lo, exec_lo, s28
	v_lshlrev_b32_e32 v0, 16, v14
	s_delay_alu instid0(VALU_DEP_1) | instskip(NEXT) | instid1(VALU_DEP_1)
	v_and_b32_e32 v0, 0x80000000, v0
	v_lshl_add_u32 v0, v4, 23, v0
	s_delay_alu instid0(VALU_DEP_1) | instskip(NEXT) | instid1(VALU_DEP_1)
	v_lshl_or_b32 v0, v1, 21, v0
                                        ; implicit-def: $vgpr1
	v_add_nc_u32_e32 v4, 0x38000000, v0
.LBB6_7504:                             ;   in Loop: Header=BB6_7462 Depth=2
	s_and_not1_saveexec_b32 s27, s27
; %bb.7505:                             ;   in Loop: Header=BB6_7462 Depth=2
	v_cmp_lt_i16_e64 s7, -1, v14
	s_delay_alu instid0(VALU_DEP_1) | instskip(SKIP_1) | instid1(VALU_DEP_1)
	v_cndmask_b32_e64 v0, 0xff800000, v105, s7
	v_cmp_eq_u32_e64 s7, 0, v1
	v_cndmask_b32_e64 v4, 0x7f800001, v0, s7
; %bb.7506:                             ;   in Loop: Header=BB6_7462 Depth=2
	s_or_b32 exec_lo, exec_lo, s27
.LBB6_7507:                             ;   in Loop: Header=BB6_7462 Depth=2
	s_delay_alu instid0(SALU_CYCLE_1)
	s_or_b32 exec_lo, exec_lo, s26
.LBB6_7508:                             ;   in Loop: Header=BB6_7462 Depth=2
	s_delay_alu instid0(SALU_CYCLE_1) | instskip(SKIP_3) | instid1(VALU_DEP_1)
	s_or_b32 exec_lo, exec_lo, s10
	v_lshrrev_b16 v0, 8, v10
	s_mov_b32 s26, 0
	s_mov_b32 s10, exec_lo
	v_cmpx_lt_i16_e32 0x7f, v0
	s_xor_b32 s10, exec_lo, s10
	s_cbranch_execz .LBB6_8015
; %bb.7509:                             ;   in Loop: Header=BB6_7462 Depth=2
	s_mov_b32 s26, -1
	s_mov_b32 s27, exec_lo
	v_cmpx_eq_u16_e32 0x80, v0
; %bb.7510:                             ;   in Loop: Header=BB6_7462 Depth=2
	s_xor_b32 s26, exec_lo, -1
; %bb.7511:                             ;   in Loop: Header=BB6_7462 Depth=2
	s_or_b32 exec_lo, exec_lo, s27
	s_delay_alu instid0(SALU_CYCLE_1)
	s_and_b32 s26, s26, exec_lo
	s_or_saveexec_b32 s10, s10
	v_bfrev_b32_e32 v1, 1
	s_xor_b32 exec_lo, exec_lo, s10
	s_cbranch_execnz .LBB6_8016
.LBB6_7512:                             ;   in Loop: Header=BB6_7462 Depth=2
	s_or_b32 exec_lo, exec_lo, s10
	s_and_saveexec_b32 s10, s26
	s_cbranch_execz .LBB6_7514
.LBB6_7513:                             ;   in Loop: Header=BB6_7462 Depth=2
	v_and_b32_e32 v8, 0xffff, v0
	s_delay_alu instid0(VALU_DEP_1) | instskip(NEXT) | instid1(VALU_DEP_1)
	v_and_b32_e32 v9, 3, v8
	v_clz_i32_u32_e32 v1, v9
	s_delay_alu instid0(VALU_DEP_1) | instskip(SKIP_1) | instid1(VALU_DEP_2)
	v_min_u32_e32 v27, 32, v1
	v_mov_b32_e32 v1, v5
	v_subrev_nc_u32_e32 v6, 29, v27
	s_delay_alu instid0(VALU_DEP_1) | instskip(SKIP_2) | instid1(VALU_DEP_2)
	v_lshlrev_b64_e32 v[6:7], v6, v[0:1]
	v_bfe_u32 v1, v8, 2, 5
	v_dual_lshlrev_b32 v0, 24, v0 :: v_dual_sub_nc_u32 v7, 30, v27
	v_cmp_eq_u32_e64 s7, 0, v1
	s_delay_alu instid0(VALU_DEP_2) | instskip(NEXT) | instid1(VALU_DEP_2)
	v_and_b32_e32 v0, 0x80000000, v0
	v_dual_cndmask_b32 v1, v1, v7, s7 :: v_dual_bitop2_b32 v6, 3, v6 bitop3:0x40
	s_delay_alu instid0(VALU_DEP_1) | instskip(SKIP_1) | instid1(VALU_DEP_3)
	v_cndmask_b32_e64 v6, v9, v6, s7
	v_cmp_lt_i16_e64 s7, -1, v10
	v_lshl_add_u32 v0, v1, 23, v0
	s_delay_alu instid0(VALU_DEP_2) | instskip(SKIP_1) | instid1(VALU_DEP_3)
	v_cndmask_b32_e64 v1, 0xff800000, v105, s7
	v_cmp_eq_u32_e64 s7, 0, v9
	v_lshl_or_b32 v0, v6, 21, v0
	v_and_b32_e32 v6, 0x7c, v8
	s_delay_alu instid0(VALU_DEP_3) | instskip(NEXT) | instid1(VALU_DEP_3)
	v_cndmask_b32_e64 v1, 0x7f800001, v1, s7
	v_add_nc_u32_e32 v0, 0x38000000, v0
	s_delay_alu instid0(VALU_DEP_3) | instskip(NEXT) | instid1(VALU_DEP_1)
	v_cmp_eq_u32_e64 s7, 0x7c, v6
	v_cndmask_b32_e64 v1, v0, v1, s7
.LBB6_7514:                             ;   in Loop: Header=BB6_7462 Depth=2
	s_or_b32 exec_lo, exec_lo, s10
	s_delay_alu instid0(VALU_DEP_1) | instskip(SKIP_1) | instid1(VALU_DEP_1)
	v_dual_mul_f32 v0, v4, v1 :: v_dual_mov_b32 v7, v5
                                        ; implicit-def: $vgpr27
	s_mov_b32 s10, exec_lo
	v_and_b32_e32 v6, 0x7f800000, v0
	v_and_b32_e32 v4, 0x7fffff, v0
	v_lshrrev_b32_e32 v1, 24, v0
	s_delay_alu instid0(VALU_DEP_3)
	v_cmpx_ne_u64_e32 0x7f800000, v[6:7]
	s_xor_b32 s26, exec_lo, s10
	s_cbranch_execz .LBB6_7528
; %bb.7515:                             ;   in Loop: Header=BB6_7462 Depth=2
	v_and_b32_e32 v6, 0x7fffffff, v0
	v_mov_b32_e32 v7, v5
	v_and_b32_e32 v8, 0x80, v1
                                        ; implicit-def: $vgpr27
	s_mov_b32 s10, exec_lo
	s_delay_alu instid0(VALU_DEP_2)
	v_cmpx_gt_u64_e32 0x47600001, v[6:7]
	s_xor_b32 s27, exec_lo, s10
	s_cbranch_execz .LBB6_7525
; %bb.7516:                             ;   in Loop: Header=BB6_7462 Depth=2
	v_mov_b32_e32 v27, 0
	s_mov_b32 s28, exec_lo
	v_cmpx_ne_u32_e32 0, v0
	s_cbranch_execz .LBB6_7524
; %bb.7517:                             ;   in Loop: Header=BB6_7462 Depth=2
	v_bfe_u32 v9, v0, 23, 8
	v_or_b32_e32 v6, 0x800000, v4
	s_mov_b32 s29, exec_lo
	s_delay_alu instid0(VALU_DEP_2) | instskip(SKIP_1) | instid1(VALU_DEP_1)
	v_dual_mov_b32 v7, v5 :: v_dual_sub_nc_u32 v0, 0x71, v9
	v_cmp_gt_u32_e64 s7, 0x72, v9
	v_cndmask_b32_e64 v0, 0, v0, s7
	v_cmp_eq_u32_e64 s7, 0, v9
	s_delay_alu instid0(VALU_DEP_1) | instskip(NEXT) | instid1(VALU_DEP_1)
	v_cndmask_b32_e64 v27, v0, 0x70, s7
	v_dual_cndmask_b32 v6, v6, v4, s7 :: v_dual_add_nc_u32 v0, 21, v27
	v_add_nc_u32_e32 v28, 20, v27
	s_delay_alu instid0(VALU_DEP_2) | instskip(NEXT) | instid1(VALU_DEP_2)
	v_lshlrev_b64_e64 v[0:1], v0, -1
	v_lshlrev_b64_e64 v[28:29], v28, 1
	s_delay_alu instid0(VALU_DEP_2) | instskip(NEXT) | instid1(VALU_DEP_3)
	v_bfi_b32 v31, v1, 0, 0
	v_bfi_b32 v30, v0, 0, v6
	v_lshrrev_b64 v[0:1], v27, v[6:7]
	s_delay_alu instid0(VALU_DEP_1) | instskip(NEXT) | instid1(VALU_DEP_3)
	v_mov_b64_e32 v[6:7], v[0:1]
	v_cmpx_eq_u64_e64 v[30:31], v[28:29]
; %bb.7518:                             ;   in Loop: Header=BB6_7462 Depth=2
	v_bfe_u32 v6, v0, 21, 1
	v_mov_b32_e32 v7, v5
	s_delay_alu instid0(VALU_DEP_1) | instskip(NEXT) | instid1(VALU_DEP_1)
	v_add_nc_u64_e32 v[6:7], v[0:1], v[6:7]
	v_add_nc_u64_e32 v[6:7], -1, v[6:7]
; %bb.7519:                             ;   in Loop: Header=BB6_7462 Depth=2
	s_or_b32 exec_lo, exec_lo, s29
	v_add_nc_u32_e32 v1, 0xffffff81, v9
	v_lshrrev_b32_e32 v4, 23, v0
	s_mov_b32 s10, exec_lo
	s_delay_alu instid0(VALU_DEP_2) | instskip(NEXT) | instid1(VALU_DEP_1)
	v_cndmask_b32_e64 v1, v1, 0xffffff82, s7
	v_add3_u32 v7, v27, v1, v4
	v_and_b32_e32 v1, 0x1fffff, v6
                                        ; implicit-def: $vgpr6
	s_delay_alu instid0(VALU_DEP_1) | instskip(NEXT) | instid1(VALU_DEP_1)
	v_dual_add_nc_u32 v9, 14, v7 :: v_dual_add_nc_u32 v4, v1, v0
                                        ; implicit-def: $vgpr0_vgpr1
	v_cmpx_ne_u32_e32 0, v9
	s_xor_b32 s10, exec_lo, s10
; %bb.7520:                             ;   in Loop: Header=BB6_7462 Depth=2
	s_delay_alu instid0(VALU_DEP_2) | instskip(SKIP_1) | instid1(VALU_DEP_1)
	v_cmp_lt_u64_e64 s7, 0xffffff, v[4:5]
	v_add_nc_u32_e32 v0, 15, v7
	v_cndmask_b32_e64 v6, v9, v0, s7
	v_cndmask_b32_e64 v0, 0, 1, s7
	s_delay_alu instid0(VALU_DEP_1)
	v_lshrrev_b64 v[0:1], v0, v[4:5]
; %bb.7521:                             ;   in Loop: Header=BB6_7462 Depth=2
	s_and_not1_saveexec_b32 s7, s10
; %bb.7522:                             ;   in Loop: Header=BB6_7462 Depth=2
	v_mov_b64_e32 v[0:1], v[4:5]
	v_bfe_u32 v6, v4, 23, 1
; %bb.7523:                             ;   in Loop: Header=BB6_7462 Depth=2
	s_or_b32 exec_lo, exec_lo, s7
	s_delay_alu instid0(VALU_DEP_2) | instskip(NEXT) | instid1(VALU_DEP_2)
	v_lshrrev_b64 v[0:1], 21, v[0:1]
	v_cmp_gt_i32_e64 s7, 32, v6
	v_min_i32_e32 v4, 31, v6
	v_cmp_eq_u32_e64 s10, 0, v6
	s_delay_alu instid0(VALU_DEP_2) | instskip(SKIP_1) | instid1(VALU_DEP_2)
	v_dual_cndmask_b32 v1, 0, v1, s7 :: v_dual_lshlrev_b32 v4, 2, v4
	v_cndmask_b32_e64 v0, 3, v0, s7
	v_and_b32_e32 v4, 0xfc, v4
	s_delay_alu instid0(VALU_DEP_2) | instskip(NEXT) | instid1(VALU_DEP_2)
	v_cmp_eq_u64_e64 s7, 0, v[0:1]
	v_and_or_b32 v0, v0, 3, v4
	s_and_b32 s7, s10, s7
	s_delay_alu instid0(VALU_DEP_1) | instid1(SALU_CYCLE_1)
	v_cndmask_b32_e64 v0, v0, 0, s7
	s_delay_alu instid0(VALU_DEP_1)
	v_or_b32_e32 v27, v0, v8
.LBB6_7524:                             ;   in Loop: Header=BB6_7462 Depth=2
	s_or_b32 exec_lo, exec_lo, s28
                                        ; implicit-def: $vgpr8
.LBB6_7525:                             ;   in Loop: Header=BB6_7462 Depth=2
	s_and_not1_saveexec_b32 s7, s27
; %bb.7526:                             ;   in Loop: Header=BB6_7462 Depth=2
	v_or_b32_e32 v27, 0x7b, v8
; %bb.7527:                             ;   in Loop: Header=BB6_7462 Depth=2
	s_or_b32 exec_lo, exec_lo, s7
                                        ; implicit-def: $vgpr0
                                        ; implicit-def: $vgpr1
.LBB6_7528:                             ;   in Loop: Header=BB6_7462 Depth=2
	s_and_not1_saveexec_b32 s10, s26
	s_cbranch_execz .LBB6_7534
; %bb.7529:                             ;   in Loop: Header=BB6_7462 Depth=2
	v_cmp_ne_u64_e64 s7, 0, v[4:5]
                                        ; implicit-def: $vgpr27
	s_and_saveexec_b32 s26, s7
	s_delay_alu instid0(SALU_CYCLE_1)
	s_xor_b32 s7, exec_lo, s26
; %bb.7530:                             ;   in Loop: Header=BB6_7462 Depth=2
	v_or_b32_e32 v27, 0x7f, v1
                                        ; implicit-def: $vgpr0
; %bb.7531:                             ;   in Loop: Header=BB6_7462 Depth=2
	s_and_not1_saveexec_b32 s26, s7
; %bb.7532:                             ;   in Loop: Header=BB6_7462 Depth=2
	v_cmp_lt_i32_e64 s7, -1, v0
	s_delay_alu instid0(VALU_DEP_1)
	v_cndmask_b32_e64 v27, 0xfc, v104, s7
; %bb.7533:                             ;   in Loop: Header=BB6_7462 Depth=2
	s_or_b32 exec_lo, exec_lo, s26
.LBB6_7534:                             ;   in Loop: Header=BB6_7462 Depth=2
	s_delay_alu instid0(SALU_CYCLE_1) | instskip(SKIP_2) | instid1(VALU_DEP_1)
	s_or_b32 exec_lo, exec_lo, s10
	v_dual_mov_b32 v1, 0 :: v_dual_lshrrev_b32 v0, 16, v14
	s_mov_b32 s10, exec_lo
	v_and_b32_e32 v4, 0xff, v0
	s_delay_alu instid0(VALU_DEP_1)
	v_cmpx_ne_u16_e32 0, v4
	s_cbranch_execz .LBB6_7544
; %bb.7535:                             ;   in Loop: Header=BB6_7462 Depth=2
	v_bfrev_b32_e32 v1, 1
	s_mov_b32 s26, exec_lo
	v_cmpx_ne_u16_e32 0x80, v4
	s_cbranch_execz .LBB6_7543
; %bb.7536:                             ;   in Loop: Header=BB6_7462 Depth=2
	v_and_b32_e32 v1, 0x7c0000, v14
	v_bfe_u32 v4, v14, 16, 2
	s_delay_alu instid0(VALU_DEP_2) | instskip(SKIP_1) | instid1(SALU_CYCLE_1)
	v_cmp_ne_u32_e64 s7, 0x7c0000, v1
                                        ; implicit-def: $vgpr1
	s_and_saveexec_b32 s27, s7
	s_xor_b32 s27, exec_lo, s27
	s_cbranch_execz .LBB6_7540
; %bb.7537:                             ;   in Loop: Header=BB6_7462 Depth=2
	v_bfe_u32 v1, v14, 18, 5
	s_mov_b32 s28, exec_lo
	s_delay_alu instid0(VALU_DEP_1)
	v_cmpx_eq_u32_e32 0, v1
; %bb.7538:                             ;   in Loop: Header=BB6_7462 Depth=2
	v_clz_i32_u32_e32 v1, v4
	s_delay_alu instid0(VALU_DEP_1) | instskip(NEXT) | instid1(VALU_DEP_1)
	v_min_u32_e32 v1, 32, v1
	v_subrev_nc_u32_e32 v4, 29, v1
	s_delay_alu instid0(VALU_DEP_1) | instskip(NEXT) | instid1(VALU_DEP_1)
	v_lshlrev_b64_e32 v[6:7], v4, v[0:1]
	v_dual_sub_nc_u32 v1, 30, v1 :: v_dual_bitop2_b32 v4, 3, v6 bitop3:0x40
; %bb.7539:                             ;   in Loop: Header=BB6_7462 Depth=2
	s_or_b32 exec_lo, exec_lo, s28
	v_lshlrev_b32_e32 v0, 24, v0
	s_delay_alu instid0(VALU_DEP_1) | instskip(NEXT) | instid1(VALU_DEP_1)
	v_and_b32_e32 v0, 0x80000000, v0
	v_lshl_add_u32 v0, v1, 23, v0
	s_delay_alu instid0(VALU_DEP_1) | instskip(NEXT) | instid1(VALU_DEP_1)
	v_lshl_or_b32 v0, v4, 21, v0
                                        ; implicit-def: $vgpr4
	v_add_nc_u32_e32 v1, 0x38000000, v0
                                        ; implicit-def: $vgpr0
.LBB6_7540:                             ;   in Loop: Header=BB6_7462 Depth=2
	s_and_not1_saveexec_b32 s27, s27
; %bb.7541:                             ;   in Loop: Header=BB6_7462 Depth=2
	v_bfe_i32 v0, v0, 0, 8
	s_delay_alu instid0(VALU_DEP_1) | instskip(NEXT) | instid1(VALU_DEP_1)
	v_cmp_lt_i16_e64 s7, -1, v0
	v_cndmask_b32_e64 v0, 0xff800000, v105, s7
	v_cmp_eq_u32_e64 s7, 0, v4
	s_delay_alu instid0(VALU_DEP_1)
	v_cndmask_b32_e64 v1, 0x7f800001, v0, s7
; %bb.7542:                             ;   in Loop: Header=BB6_7462 Depth=2
	s_or_b32 exec_lo, exec_lo, s27
.LBB6_7543:                             ;   in Loop: Header=BB6_7462 Depth=2
	s_delay_alu instid0(SALU_CYCLE_1)
	s_or_b32 exec_lo, exec_lo, s26
.LBB6_7544:                             ;   in Loop: Header=BB6_7462 Depth=2
	s_delay_alu instid0(SALU_CYCLE_1) | instskip(SKIP_3) | instid1(VALU_DEP_1)
	s_or_b32 exec_lo, exec_lo, s10
	v_lshrrev_b32_e32 v0, 16, v10
	s_mov_b32 s26, 0
	s_mov_b32 s10, exec_lo
	v_and_b32_e32 v6, 0xff, v0
	s_delay_alu instid0(VALU_DEP_1)
	v_cmpx_lt_i16_e32 0x7f, v6
	s_xor_b32 s10, exec_lo, s10
	s_cbranch_execz .LBB6_8017
; %bb.7545:                             ;   in Loop: Header=BB6_7462 Depth=2
	s_mov_b32 s26, -1
	s_mov_b32 s27, exec_lo
	v_cmpx_eq_u16_e32 0x80, v6
; %bb.7546:                             ;   in Loop: Header=BB6_7462 Depth=2
	s_xor_b32 s26, exec_lo, -1
; %bb.7547:                             ;   in Loop: Header=BB6_7462 Depth=2
	s_or_b32 exec_lo, exec_lo, s27
	s_delay_alu instid0(SALU_CYCLE_1)
	s_and_b32 s26, s26, exec_lo
                                        ; implicit-def: $vgpr6
	s_or_saveexec_b32 s10, s10
	v_bfrev_b32_e32 v4, 1
	s_xor_b32 exec_lo, exec_lo, s10
	s_cbranch_execnz .LBB6_8018
.LBB6_7548:                             ;   in Loop: Header=BB6_7462 Depth=2
	s_or_b32 exec_lo, exec_lo, s10
	s_and_saveexec_b32 s10, s26
	s_cbranch_execz .LBB6_7550
.LBB6_7549:                             ;   in Loop: Header=BB6_7462 Depth=2
	v_and_b32_e32 v4, 3, v0
	v_bfe_u32 v9, v10, 18, 5
	s_delay_alu instid0(VALU_DEP_2) | instskip(NEXT) | instid1(VALU_DEP_2)
	v_clz_i32_u32_e32 v6, v4
	v_cmp_eq_u32_e64 s7, 0, v9
	s_delay_alu instid0(VALU_DEP_2) | instskip(NEXT) | instid1(VALU_DEP_1)
	v_min_u32_e32 v8, 32, v6
	v_subrev_nc_u32_e32 v6, 29, v8
	s_delay_alu instid0(VALU_DEP_1) | instskip(SKIP_3) | instid1(VALU_DEP_3)
	v_lshlrev_b64_e32 v[6:7], v6, v[0:1]
	v_lshlrev_b32_e32 v7, 24, v0
	v_sub_nc_u32_e32 v8, 30, v8
	v_bfe_i32 v0, v0, 0, 8
	v_and_b32_e32 v7, 0x80000000, v7
	s_delay_alu instid0(VALU_DEP_3) | instskip(NEXT) | instid1(VALU_DEP_1)
	v_dual_cndmask_b32 v8, v9, v8, s7 :: v_dual_bitop2_b32 v6, 3, v6 bitop3:0x40
	v_cndmask_b32_e64 v6, v4, v6, s7
	s_delay_alu instid0(VALU_DEP_2) | instskip(SKIP_1) | instid1(VALU_DEP_2)
	v_lshl_add_u32 v7, v8, 23, v7
	v_cmp_lt_i16_e64 s7, -1, v0
	v_lshl_or_b32 v6, v6, 21, v7
	s_delay_alu instid0(VALU_DEP_2) | instskip(SKIP_2) | instid1(VALU_DEP_4)
	v_cndmask_b32_e64 v0, 0xff800000, v105, s7
	v_and_b32_e32 v7, 0x7c0000, v10
	v_cmp_eq_u32_e64 s7, 0, v4
	v_add_nc_u32_e32 v4, 0x38000000, v6
	s_delay_alu instid0(VALU_DEP_2) | instskip(NEXT) | instid1(VALU_DEP_4)
	v_cndmask_b32_e64 v0, 0x7f800001, v0, s7
	v_cmp_eq_u32_e64 s7, 0x7c0000, v7
	s_delay_alu instid0(VALU_DEP_1)
	v_cndmask_b32_e64 v4, v4, v0, s7
.LBB6_7550:                             ;   in Loop: Header=BB6_7462 Depth=2
	s_or_b32 exec_lo, exec_lo, s10
	s_delay_alu instid0(VALU_DEP_1) | instskip(SKIP_2) | instid1(VALU_DEP_2)
	v_mul_f32_e32 v0, v1, v4
	v_mov_b32_e32 v7, v5
                                        ; implicit-def: $vgpr28
	s_mov_b32 s10, exec_lo
	v_and_b32_e32 v6, 0x7f800000, v0
	v_and_b32_e32 v4, 0x7fffff, v0
	v_lshrrev_b32_e32 v1, 24, v0
	s_delay_alu instid0(VALU_DEP_3)
	v_cmpx_ne_u64_e32 0x7f800000, v[6:7]
	s_xor_b32 s26, exec_lo, s10
	s_cbranch_execz .LBB6_7564
; %bb.7551:                             ;   in Loop: Header=BB6_7462 Depth=2
	v_and_b32_e32 v6, 0x7fffffff, v0
	v_mov_b32_e32 v7, v5
	v_and_b32_e32 v8, 0x80, v1
                                        ; implicit-def: $vgpr28
	s_mov_b32 s10, exec_lo
	s_delay_alu instid0(VALU_DEP_2)
	v_cmpx_gt_u64_e32 0x47600001, v[6:7]
	s_xor_b32 s27, exec_lo, s10
	s_cbranch_execz .LBB6_7561
; %bb.7552:                             ;   in Loop: Header=BB6_7462 Depth=2
	v_mov_b32_e32 v28, 0
	s_mov_b32 s28, exec_lo
	v_cmpx_ne_u32_e32 0, v0
	s_cbranch_execz .LBB6_7560
; %bb.7553:                             ;   in Loop: Header=BB6_7462 Depth=2
	v_bfe_u32 v9, v0, 23, 8
	v_or_b32_e32 v6, 0x800000, v4
	s_mov_b32 s29, exec_lo
	s_delay_alu instid0(VALU_DEP_2) | instskip(SKIP_1) | instid1(VALU_DEP_1)
	v_dual_mov_b32 v7, v5 :: v_dual_sub_nc_u32 v0, 0x71, v9
	v_cmp_gt_u32_e64 s7, 0x72, v9
	v_cndmask_b32_e64 v0, 0, v0, s7
	v_cmp_eq_u32_e64 s7, 0, v9
	s_delay_alu instid0(VALU_DEP_1) | instskip(SKIP_1) | instid1(VALU_DEP_2)
	v_cndmask_b32_e64 v28, v0, 0x70, s7
	v_cndmask_b32_e64 v6, v6, v4, s7
	v_dual_add_nc_u32 v0, 21, v28 :: v_dual_add_nc_u32 v29, 20, v28
	s_delay_alu instid0(VALU_DEP_1) | instskip(NEXT) | instid1(VALU_DEP_2)
	v_lshlrev_b64_e64 v[0:1], v0, -1
	v_lshlrev_b64_e64 v[30:31], v29, 1
	s_delay_alu instid0(VALU_DEP_2) | instskip(NEXT) | instid1(VALU_DEP_3)
	v_bfi_b32 v33, v1, 0, 0
	v_bfi_b32 v32, v0, 0, v6
	v_lshrrev_b64 v[0:1], v28, v[6:7]
	s_delay_alu instid0(VALU_DEP_1) | instskip(NEXT) | instid1(VALU_DEP_3)
	v_mov_b64_e32 v[6:7], v[0:1]
	v_cmpx_eq_u64_e64 v[32:33], v[30:31]
; %bb.7554:                             ;   in Loop: Header=BB6_7462 Depth=2
	v_bfe_u32 v6, v0, 21, 1
	v_mov_b32_e32 v7, v5
	s_delay_alu instid0(VALU_DEP_1) | instskip(NEXT) | instid1(VALU_DEP_1)
	v_add_nc_u64_e32 v[6:7], v[0:1], v[6:7]
	v_add_nc_u64_e32 v[6:7], -1, v[6:7]
; %bb.7555:                             ;   in Loop: Header=BB6_7462 Depth=2
	s_or_b32 exec_lo, exec_lo, s29
	v_add_nc_u32_e32 v1, 0xffffff81, v9
	v_lshrrev_b32_e32 v4, 23, v0
	s_mov_b32 s10, exec_lo
	s_delay_alu instid0(VALU_DEP_2) | instskip(NEXT) | instid1(VALU_DEP_1)
	v_cndmask_b32_e64 v1, v1, 0xffffff82, s7
	v_add3_u32 v7, v28, v1, v4
	v_and_b32_e32 v1, 0x1fffff, v6
                                        ; implicit-def: $vgpr6
	s_delay_alu instid0(VALU_DEP_1) | instskip(NEXT) | instid1(VALU_DEP_1)
	v_dual_add_nc_u32 v9, 14, v7 :: v_dual_add_nc_u32 v4, v1, v0
                                        ; implicit-def: $vgpr0_vgpr1
	v_cmpx_ne_u32_e32 0, v9
	s_xor_b32 s10, exec_lo, s10
; %bb.7556:                             ;   in Loop: Header=BB6_7462 Depth=2
	s_delay_alu instid0(VALU_DEP_2) | instskip(SKIP_1) | instid1(VALU_DEP_1)
	v_cmp_lt_u64_e64 s7, 0xffffff, v[4:5]
	v_add_nc_u32_e32 v0, 15, v7
	v_cndmask_b32_e64 v6, v9, v0, s7
	v_cndmask_b32_e64 v0, 0, 1, s7
	s_delay_alu instid0(VALU_DEP_1)
	v_lshrrev_b64 v[0:1], v0, v[4:5]
; %bb.7557:                             ;   in Loop: Header=BB6_7462 Depth=2
	s_and_not1_saveexec_b32 s7, s10
; %bb.7558:                             ;   in Loop: Header=BB6_7462 Depth=2
	v_mov_b64_e32 v[0:1], v[4:5]
	v_bfe_u32 v6, v4, 23, 1
; %bb.7559:                             ;   in Loop: Header=BB6_7462 Depth=2
	s_or_b32 exec_lo, exec_lo, s7
	s_delay_alu instid0(VALU_DEP_2) | instskip(NEXT) | instid1(VALU_DEP_2)
	v_lshrrev_b64 v[0:1], 21, v[0:1]
	v_cmp_gt_i32_e64 s7, 32, v6
	v_min_i32_e32 v4, 31, v6
	v_cmp_eq_u32_e64 s10, 0, v6
	s_delay_alu instid0(VALU_DEP_2) | instskip(SKIP_1) | instid1(VALU_DEP_2)
	v_dual_cndmask_b32 v1, 0, v1, s7 :: v_dual_lshlrev_b32 v4, 2, v4
	v_cndmask_b32_e64 v0, 3, v0, s7
	v_and_b32_e32 v4, 0xfc, v4
	s_delay_alu instid0(VALU_DEP_2) | instskip(NEXT) | instid1(VALU_DEP_2)
	v_cmp_eq_u64_e64 s7, 0, v[0:1]
	v_and_or_b32 v0, v0, 3, v4
	s_and_b32 s7, s10, s7
	s_delay_alu instid0(VALU_DEP_1) | instid1(SALU_CYCLE_1)
	v_cndmask_b32_e64 v0, v0, 0, s7
	s_delay_alu instid0(VALU_DEP_1)
	v_or_b32_e32 v28, v0, v8
.LBB6_7560:                             ;   in Loop: Header=BB6_7462 Depth=2
	s_or_b32 exec_lo, exec_lo, s28
                                        ; implicit-def: $vgpr8
.LBB6_7561:                             ;   in Loop: Header=BB6_7462 Depth=2
	s_and_not1_saveexec_b32 s7, s27
; %bb.7562:                             ;   in Loop: Header=BB6_7462 Depth=2
	v_or_b32_e32 v28, 0x7b, v8
; %bb.7563:                             ;   in Loop: Header=BB6_7462 Depth=2
	s_or_b32 exec_lo, exec_lo, s7
                                        ; implicit-def: $vgpr0
                                        ; implicit-def: $vgpr1
.LBB6_7564:                             ;   in Loop: Header=BB6_7462 Depth=2
	s_and_not1_saveexec_b32 s10, s26
	s_cbranch_execz .LBB6_7570
; %bb.7565:                             ;   in Loop: Header=BB6_7462 Depth=2
	v_cmp_ne_u64_e64 s7, 0, v[4:5]
                                        ; implicit-def: $vgpr28
	s_and_saveexec_b32 s26, s7
	s_delay_alu instid0(SALU_CYCLE_1)
	s_xor_b32 s7, exec_lo, s26
; %bb.7566:                             ;   in Loop: Header=BB6_7462 Depth=2
	v_or_b32_e32 v28, 0x7f, v1
                                        ; implicit-def: $vgpr0
; %bb.7567:                             ;   in Loop: Header=BB6_7462 Depth=2
	s_and_not1_saveexec_b32 s26, s7
; %bb.7568:                             ;   in Loop: Header=BB6_7462 Depth=2
	v_cmp_lt_i32_e64 s7, -1, v0
	s_delay_alu instid0(VALU_DEP_1)
	v_cndmask_b32_e64 v28, 0xfc, v104, s7
; %bb.7569:                             ;   in Loop: Header=BB6_7462 Depth=2
	s_or_b32 exec_lo, exec_lo, s26
.LBB6_7570:                             ;   in Loop: Header=BB6_7462 Depth=2
	s_delay_alu instid0(SALU_CYCLE_1)
	s_or_b32 exec_lo, exec_lo, s10
	v_mov_b32_e32 v1, 0
	s_mov_b32 s10, exec_lo
	v_cmpx_lt_u32_e32 0xffffff, v14
	s_cbranch_execz .LBB6_7580
; %bb.7571:                             ;   in Loop: Header=BB6_7462 Depth=2
	v_lshrrev_b32_e32 v0, 24, v14
	v_bfrev_b32_e32 v1, 1
	s_mov_b32 s26, exec_lo
	s_delay_alu instid0(VALU_DEP_2)
	v_cmpx_ne_u32_e32 0x80, v0
	s_cbranch_execz .LBB6_7579
; %bb.7572:                             ;   in Loop: Header=BB6_7462 Depth=2
	v_and_b32_e32 v1, 0x7c000000, v14
	v_bfe_u32 v4, v14, 24, 2
	s_delay_alu instid0(VALU_DEP_2) | instskip(SKIP_1) | instid1(SALU_CYCLE_1)
	v_cmp_ne_u32_e64 s7, 0x7c000000, v1
                                        ; implicit-def: $vgpr1
	s_and_saveexec_b32 s27, s7
	s_xor_b32 s27, exec_lo, s27
	s_cbranch_execz .LBB6_7576
; %bb.7573:                             ;   in Loop: Header=BB6_7462 Depth=2
	v_bfe_u32 v1, v14, 26, 5
	s_mov_b32 s28, exec_lo
	s_delay_alu instid0(VALU_DEP_1)
	v_cmpx_eq_u32_e32 0, v1
; %bb.7574:                             ;   in Loop: Header=BB6_7462 Depth=2
	v_clz_i32_u32_e32 v1, v4
	s_delay_alu instid0(VALU_DEP_1) | instskip(NEXT) | instid1(VALU_DEP_1)
	v_min_u32_e32 v4, 32, v1
	v_subrev_nc_u32_e32 v1, 29, v4
	s_delay_alu instid0(VALU_DEP_1) | instskip(SKIP_1) | instid1(VALU_DEP_2)
	v_lshlrev_b64_e32 v[0:1], v1, v[0:1]
	v_sub_nc_u32_e32 v1, 30, v4
	v_and_b32_e32 v4, 3, v0
; %bb.7575:                             ;   in Loop: Header=BB6_7462 Depth=2
	s_or_b32 exec_lo, exec_lo, s28
	v_and_b32_e32 v0, 0x80000000, v14
	s_delay_alu instid0(VALU_DEP_1) | instskip(NEXT) | instid1(VALU_DEP_1)
	v_lshl_add_u32 v0, v1, 23, v0
	v_lshl_or_b32 v0, v4, 21, v0
                                        ; implicit-def: $vgpr4
	s_delay_alu instid0(VALU_DEP_1)
	v_add_nc_u32_e32 v1, 0x38000000, v0
.LBB6_7576:                             ;   in Loop: Header=BB6_7462 Depth=2
	s_and_not1_saveexec_b32 s27, s27
; %bb.7577:                             ;   in Loop: Header=BB6_7462 Depth=2
	v_cmp_lt_i32_e64 s7, -1, v14
	s_delay_alu instid0(VALU_DEP_1) | instskip(SKIP_1) | instid1(VALU_DEP_1)
	v_cndmask_b32_e64 v0, 0xff800000, v105, s7
	v_cmp_eq_u32_e64 s7, 0, v4
	v_cndmask_b32_e64 v1, 0x7f800001, v0, s7
; %bb.7578:                             ;   in Loop: Header=BB6_7462 Depth=2
	s_or_b32 exec_lo, exec_lo, s27
.LBB6_7579:                             ;   in Loop: Header=BB6_7462 Depth=2
	s_delay_alu instid0(SALU_CYCLE_1)
	s_or_b32 exec_lo, exec_lo, s26
.LBB6_7580:                             ;   in Loop: Header=BB6_7462 Depth=2
	s_delay_alu instid0(SALU_CYCLE_1) | instskip(SKIP_3) | instid1(VALU_DEP_2)
	s_or_b32 exec_lo, exec_lo, s10
	v_bfe_u32 v4, v10, 24, 2
	v_bfe_u32 v9, v10, 26, 5
                                        ; implicit-def: $vgpr29
	s_mov_b32 s10, exec_lo
	v_clz_i32_u32_e32 v0, v4
	s_delay_alu instid0(VALU_DEP_2) | instskip(NEXT) | instid1(VALU_DEP_2)
	v_cmp_eq_u32_e64 s7, 0, v9
	v_min_u32_e32 v8, 32, v0
	v_lshrrev_b32_e32 v0, 24, v10
	s_delay_alu instid0(VALU_DEP_2) | instskip(NEXT) | instid1(VALU_DEP_1)
	v_subrev_nc_u32_e32 v6, 29, v8
	v_lshlrev_b64_e32 v[6:7], v6, v[0:1]
	v_sub_nc_u32_e32 v7, 30, v8
	v_and_b32_e32 v8, 0x80000000, v10
	s_delay_alu instid0(VALU_DEP_2) | instskip(NEXT) | instid1(VALU_DEP_1)
	v_dual_cndmask_b32 v7, v9, v7, s7 :: v_dual_bitop2_b32 v6, 3, v6 bitop3:0x40
	v_lshl_add_u32 v7, v7, 23, v8
	s_delay_alu instid0(VALU_DEP_2) | instskip(SKIP_1) | instid1(VALU_DEP_2)
	v_cndmask_b32_e64 v6, v4, v6, s7
	v_cmp_lt_i32_e64 s7, -1, v10
	v_lshl_or_b32 v6, v6, 21, v7
	s_delay_alu instid0(VALU_DEP_2) | instskip(SKIP_2) | instid1(VALU_DEP_4)
	v_cndmask_b32_e64 v8, 0xff800000, v105, s7
	v_and_b32_e32 v7, 0x7c000000, v10
	v_cmp_eq_u32_e64 s7, 0, v4
	v_add_nc_u32_e32 v6, 0x38000000, v6
	s_delay_alu instid0(VALU_DEP_2) | instskip(NEXT) | instid1(VALU_DEP_4)
	v_cndmask_b32_e64 v4, 0x7f800001, v8, s7
	v_cmp_eq_u32_e64 s7, 0x7c000000, v7
	s_delay_alu instid0(VALU_DEP_1) | instskip(SKIP_1) | instid1(VALU_DEP_1)
	v_dual_mov_b32 v7, v5 :: v_dual_cndmask_b32 v4, v6, v4, s7
	v_cmp_ne_u32_e64 s7, 0x80, v0
	v_cndmask_b32_e64 v0, 0x80000000, v4, s7
	v_cmp_lt_u32_e64 s7, 0xffffff, v10
	s_delay_alu instid0(VALU_DEP_1) | instskip(NEXT) | instid1(VALU_DEP_1)
	v_cndmask_b32_e64 v0, 0, v0, s7
	v_mul_f32_e32 v0, v0, v1
	s_delay_alu instid0(VALU_DEP_1) | instskip(SKIP_2) | instid1(VALU_DEP_3)
	v_and_b32_e32 v6, 0x7f800000, v0
	v_and_b32_e32 v4, 0x7fffff, v0
	v_lshrrev_b32_e32 v1, 24, v0
	v_cmpx_ne_u64_e32 0x7f800000, v[6:7]
	s_xor_b32 s26, exec_lo, s10
	s_cbranch_execz .LBB6_7594
; %bb.7581:                             ;   in Loop: Header=BB6_7462 Depth=2
	v_and_b32_e32 v6, 0x7fffffff, v0
	v_mov_b32_e32 v7, v5
	v_and_b32_e32 v8, 0x80, v1
                                        ; implicit-def: $vgpr29
	s_mov_b32 s10, exec_lo
	s_delay_alu instid0(VALU_DEP_2)
	v_cmpx_gt_u64_e32 0x47600001, v[6:7]
	s_xor_b32 s27, exec_lo, s10
	s_cbranch_execz .LBB6_7591
; %bb.7582:                             ;   in Loop: Header=BB6_7462 Depth=2
	v_mov_b32_e32 v29, 0
	s_mov_b32 s28, exec_lo
	v_cmpx_ne_u32_e32 0, v0
	s_cbranch_execz .LBB6_7590
; %bb.7583:                             ;   in Loop: Header=BB6_7462 Depth=2
	v_bfe_u32 v9, v0, 23, 8
	v_or_b32_e32 v6, 0x800000, v4
	s_mov_b32 s29, exec_lo
	s_delay_alu instid0(VALU_DEP_2) | instskip(SKIP_1) | instid1(VALU_DEP_1)
	v_dual_mov_b32 v7, v5 :: v_dual_sub_nc_u32 v0, 0x71, v9
	v_cmp_gt_u32_e64 s7, 0x72, v9
	v_cndmask_b32_e64 v0, 0, v0, s7
	v_cmp_eq_u32_e64 s7, 0, v9
	s_delay_alu instid0(VALU_DEP_1) | instskip(NEXT) | instid1(VALU_DEP_1)
	v_cndmask_b32_e64 v29, v0, 0x70, s7
	v_dual_cndmask_b32 v6, v6, v4, s7 :: v_dual_add_nc_u32 v0, 21, v29
	v_add_nc_u32_e32 v30, 20, v29
	s_delay_alu instid0(VALU_DEP_2) | instskip(NEXT) | instid1(VALU_DEP_2)
	v_lshlrev_b64_e64 v[0:1], v0, -1
	v_lshlrev_b64_e64 v[30:31], v30, 1
	s_delay_alu instid0(VALU_DEP_2) | instskip(NEXT) | instid1(VALU_DEP_3)
	v_bfi_b32 v33, v1, 0, 0
	v_bfi_b32 v32, v0, 0, v6
	v_lshrrev_b64 v[0:1], v29, v[6:7]
	s_delay_alu instid0(VALU_DEP_1) | instskip(NEXT) | instid1(VALU_DEP_3)
	v_mov_b64_e32 v[6:7], v[0:1]
	v_cmpx_eq_u64_e64 v[32:33], v[30:31]
; %bb.7584:                             ;   in Loop: Header=BB6_7462 Depth=2
	v_bfe_u32 v6, v0, 21, 1
	v_mov_b32_e32 v7, v5
	s_delay_alu instid0(VALU_DEP_1) | instskip(NEXT) | instid1(VALU_DEP_1)
	v_add_nc_u64_e32 v[6:7], v[0:1], v[6:7]
	v_add_nc_u64_e32 v[6:7], -1, v[6:7]
; %bb.7585:                             ;   in Loop: Header=BB6_7462 Depth=2
	s_or_b32 exec_lo, exec_lo, s29
	v_add_nc_u32_e32 v1, 0xffffff81, v9
	v_lshrrev_b32_e32 v4, 23, v0
	s_mov_b32 s10, exec_lo
	s_delay_alu instid0(VALU_DEP_2) | instskip(NEXT) | instid1(VALU_DEP_1)
	v_cndmask_b32_e64 v1, v1, 0xffffff82, s7
	v_add3_u32 v7, v29, v1, v4
	v_and_b32_e32 v1, 0x1fffff, v6
                                        ; implicit-def: $vgpr6
	s_delay_alu instid0(VALU_DEP_1) | instskip(NEXT) | instid1(VALU_DEP_1)
	v_dual_add_nc_u32 v9, 14, v7 :: v_dual_add_nc_u32 v4, v1, v0
                                        ; implicit-def: $vgpr0_vgpr1
	v_cmpx_ne_u32_e32 0, v9
	s_xor_b32 s10, exec_lo, s10
; %bb.7586:                             ;   in Loop: Header=BB6_7462 Depth=2
	s_delay_alu instid0(VALU_DEP_2) | instskip(SKIP_1) | instid1(VALU_DEP_1)
	v_cmp_lt_u64_e64 s7, 0xffffff, v[4:5]
	v_add_nc_u32_e32 v0, 15, v7
	v_cndmask_b32_e64 v6, v9, v0, s7
	v_cndmask_b32_e64 v0, 0, 1, s7
	s_delay_alu instid0(VALU_DEP_1)
	v_lshrrev_b64 v[0:1], v0, v[4:5]
; %bb.7587:                             ;   in Loop: Header=BB6_7462 Depth=2
	s_and_not1_saveexec_b32 s7, s10
; %bb.7588:                             ;   in Loop: Header=BB6_7462 Depth=2
	v_mov_b64_e32 v[0:1], v[4:5]
	v_bfe_u32 v6, v4, 23, 1
; %bb.7589:                             ;   in Loop: Header=BB6_7462 Depth=2
	s_or_b32 exec_lo, exec_lo, s7
	s_delay_alu instid0(VALU_DEP_2) | instskip(NEXT) | instid1(VALU_DEP_2)
	v_lshrrev_b64 v[0:1], 21, v[0:1]
	v_cmp_gt_i32_e64 s7, 32, v6
	v_min_i32_e32 v4, 31, v6
	v_cmp_eq_u32_e64 s10, 0, v6
	s_delay_alu instid0(VALU_DEP_2) | instskip(SKIP_1) | instid1(VALU_DEP_2)
	v_dual_cndmask_b32 v1, 0, v1, s7 :: v_dual_lshlrev_b32 v4, 2, v4
	v_cndmask_b32_e64 v0, 3, v0, s7
	v_and_b32_e32 v4, 0xfc, v4
	s_delay_alu instid0(VALU_DEP_2) | instskip(NEXT) | instid1(VALU_DEP_2)
	v_cmp_eq_u64_e64 s7, 0, v[0:1]
	v_and_or_b32 v0, v0, 3, v4
	s_and_b32 s7, s10, s7
	s_delay_alu instid0(VALU_DEP_1) | instid1(SALU_CYCLE_1)
	v_cndmask_b32_e64 v0, v0, 0, s7
	s_delay_alu instid0(VALU_DEP_1)
	v_or_b32_e32 v29, v0, v8
.LBB6_7590:                             ;   in Loop: Header=BB6_7462 Depth=2
	s_or_b32 exec_lo, exec_lo, s28
                                        ; implicit-def: $vgpr8
.LBB6_7591:                             ;   in Loop: Header=BB6_7462 Depth=2
	s_and_not1_saveexec_b32 s7, s27
; %bb.7592:                             ;   in Loop: Header=BB6_7462 Depth=2
	v_or_b32_e32 v29, 0x7b, v8
; %bb.7593:                             ;   in Loop: Header=BB6_7462 Depth=2
	s_or_b32 exec_lo, exec_lo, s7
                                        ; implicit-def: $vgpr0
                                        ; implicit-def: $vgpr1
.LBB6_7594:                             ;   in Loop: Header=BB6_7462 Depth=2
	s_and_not1_saveexec_b32 s10, s26
	s_cbranch_execz .LBB6_7600
; %bb.7595:                             ;   in Loop: Header=BB6_7462 Depth=2
	v_cmp_ne_u64_e64 s7, 0, v[4:5]
                                        ; implicit-def: $vgpr29
	s_and_saveexec_b32 s26, s7
	s_delay_alu instid0(SALU_CYCLE_1)
	s_xor_b32 s7, exec_lo, s26
; %bb.7596:                             ;   in Loop: Header=BB6_7462 Depth=2
	v_or_b32_e32 v29, 0x7f, v1
                                        ; implicit-def: $vgpr0
; %bb.7597:                             ;   in Loop: Header=BB6_7462 Depth=2
	s_and_not1_saveexec_b32 s26, s7
; %bb.7598:                             ;   in Loop: Header=BB6_7462 Depth=2
	v_cmp_lt_i32_e64 s7, -1, v0
	s_delay_alu instid0(VALU_DEP_1)
	v_cndmask_b32_e64 v29, 0xfc, v104, s7
; %bb.7599:                             ;   in Loop: Header=BB6_7462 Depth=2
	s_or_b32 exec_lo, exec_lo, s26
.LBB6_7600:                             ;   in Loop: Header=BB6_7462 Depth=2
	s_delay_alu instid0(SALU_CYCLE_1) | instskip(SKIP_3) | instid1(VALU_DEP_2)
	s_or_b32 exec_lo, exec_lo, s10
	v_and_b32_e32 v0, 0xff, v15
	v_dual_mov_b32 v4, v15 :: v_dual_mov_b32 v6, 0
	s_mov_b32 s10, exec_lo
	v_cmpx_ne_u16_e32 0, v0
	s_cbranch_execz .LBB6_7610
; %bb.7601:                             ;   in Loop: Header=BB6_7462 Depth=2
	v_bfrev_b32_e32 v6, 1
	s_mov_b32 s26, exec_lo
	v_cmpx_ne_u16_e32 0x80, v0
	s_cbranch_execz .LBB6_7609
; %bb.7602:                             ;   in Loop: Header=BB6_7462 Depth=2
	v_and_b32_e32 v1, 0x7c, v15
	v_and_b32_e32 v0, 3, v15
	s_mov_b32 s27, exec_lo
                                        ; implicit-def: $vgpr6
	s_delay_alu instid0(VALU_DEP_2)
	v_cmpx_ne_u32_e32 0x7c, v1
	s_xor_b32 s27, exec_lo, s27
	s_cbranch_execz .LBB6_7606
; %bb.7603:                             ;   in Loop: Header=BB6_7462 Depth=2
	v_bfe_u32 v1, v15, 2, 5
	s_mov_b32 s28, exec_lo
	s_delay_alu instid0(VALU_DEP_1)
	v_cmpx_eq_u32_e32 0, v1
; %bb.7604:                             ;   in Loop: Header=BB6_7462 Depth=2
	v_clz_i32_u32_e32 v0, v0
	s_delay_alu instid0(VALU_DEP_1) | instskip(NEXT) | instid1(VALU_DEP_1)
	v_min_u32_e32 v6, 32, v0
	v_subrev_nc_u32_e32 v0, 29, v6
	s_delay_alu instid0(VALU_DEP_1) | instskip(NEXT) | instid1(VALU_DEP_1)
	v_lshlrev_b64_e32 v[0:1], v0, v[4:5]
	v_dual_sub_nc_u32 v1, 30, v6 :: v_dual_bitop2_b32 v0, 3, v0 bitop3:0x40
; %bb.7605:                             ;   in Loop: Header=BB6_7462 Depth=2
	s_or_b32 exec_lo, exec_lo, s28
	v_lshlrev_b32_e32 v6, 24, v15
	s_delay_alu instid0(VALU_DEP_1) | instskip(NEXT) | instid1(VALU_DEP_1)
	v_and_b32_e32 v6, 0x80000000, v6
	v_lshl_add_u32 v1, v1, 23, v6
	s_delay_alu instid0(VALU_DEP_1) | instskip(NEXT) | instid1(VALU_DEP_1)
	v_lshl_or_b32 v0, v0, 21, v1
	v_add_nc_u32_e32 v6, 0x38000000, v0
                                        ; implicit-def: $vgpr0
.LBB6_7606:                             ;   in Loop: Header=BB6_7462 Depth=2
	s_and_not1_saveexec_b32 s27, s27
; %bb.7607:                             ;   in Loop: Header=BB6_7462 Depth=2
	v_bfe_i32 v1, v15, 0, 8
	s_delay_alu instid0(VALU_DEP_1) | instskip(NEXT) | instid1(VALU_DEP_1)
	v_cmp_lt_i16_e64 s7, -1, v1
	v_cndmask_b32_e64 v1, 0xff800000, v105, s7
	v_cmp_eq_u32_e64 s7, 0, v0
	s_delay_alu instid0(VALU_DEP_1)
	v_cndmask_b32_e64 v6, 0x7f800001, v1, s7
; %bb.7608:                             ;   in Loop: Header=BB6_7462 Depth=2
	s_or_b32 exec_lo, exec_lo, s27
.LBB6_7609:                             ;   in Loop: Header=BB6_7462 Depth=2
	s_delay_alu instid0(SALU_CYCLE_1)
	s_or_b32 exec_lo, exec_lo, s26
.LBB6_7610:                             ;   in Loop: Header=BB6_7462 Depth=2
	s_delay_alu instid0(SALU_CYCLE_1) | instskip(SKIP_4) | instid1(VALU_DEP_2)
	s_or_b32 exec_lo, exec_lo, s10
	v_and_b32_e32 v1, 0xff, v11
	v_mov_b32_e32 v0, v11
	s_mov_b32 s26, 0
	s_mov_b32 s10, exec_lo
	v_cmpx_lt_i16_e32 0x7f, v1
	s_xor_b32 s10, exec_lo, s10
	s_cbranch_execz .LBB6_8019
; %bb.7611:                             ;   in Loop: Header=BB6_7462 Depth=2
	s_mov_b32 s26, -1
	s_mov_b32 s27, exec_lo
	v_cmpx_eq_u16_e32 0x80, v1
; %bb.7612:                             ;   in Loop: Header=BB6_7462 Depth=2
	s_xor_b32 s26, exec_lo, -1
; %bb.7613:                             ;   in Loop: Header=BB6_7462 Depth=2
	s_or_b32 exec_lo, exec_lo, s27
	s_delay_alu instid0(SALU_CYCLE_1)
	s_and_b32 s26, s26, exec_lo
                                        ; implicit-def: $vgpr1
	s_or_saveexec_b32 s10, s10
	v_bfrev_b32_e32 v7, 1
	s_xor_b32 exec_lo, exec_lo, s10
	s_cbranch_execnz .LBB6_8020
.LBB6_7614:                             ;   in Loop: Header=BB6_7462 Depth=2
	s_or_b32 exec_lo, exec_lo, s10
	v_mov_b32_e32 v1, v5
	s_and_saveexec_b32 s10, s26
	s_cbranch_execz .LBB6_7616
.LBB6_7615:                             ;   in Loop: Header=BB6_7462 Depth=2
	v_and_b32_e32 v7, 3, v11
	s_delay_alu instid0(VALU_DEP_1) | instskip(NEXT) | instid1(VALU_DEP_1)
	v_clz_i32_u32_e32 v8, v7
	v_min_u32_e32 v30, 32, v8
	s_delay_alu instid0(VALU_DEP_1) | instskip(NEXT) | instid1(VALU_DEP_1)
	v_subrev_nc_u32_e32 v8, 29, v30
	v_lshlrev_b64_e32 v[8:9], v8, v[0:1]
	v_bfe_u32 v9, v11, 2, 5
	v_dual_lshlrev_b32 v1, 24, v11 :: v_dual_sub_nc_u32 v30, 30, v30
	s_delay_alu instid0(VALU_DEP_2) | instskip(NEXT) | instid1(VALU_DEP_2)
	v_cmp_eq_u32_e64 s7, 0, v9
	v_and_b32_e32 v1, 0x80000000, v1
	s_delay_alu instid0(VALU_DEP_2) | instskip(SKIP_1) | instid1(VALU_DEP_2)
	v_dual_cndmask_b32 v9, v9, v30, s7 :: v_dual_bitop2_b32 v8, 3, v8 bitop3:0x40
	v_bfe_i32 v30, v11, 0, 8
	v_cndmask_b32_e64 v8, v7, v8, s7
	s_delay_alu instid0(VALU_DEP_3) | instskip(NEXT) | instid1(VALU_DEP_3)
	v_lshl_add_u32 v1, v9, 23, v1
	v_cmp_lt_i16_e64 s7, -1, v30
	s_delay_alu instid0(VALU_DEP_2) | instskip(NEXT) | instid1(VALU_DEP_2)
	v_lshl_or_b32 v1, v8, 21, v1
	v_cndmask_b32_e64 v9, 0xff800000, v105, s7
	v_and_b32_e32 v8, 0x7c, v11
	v_cmp_eq_u32_e64 s7, 0, v7
	s_delay_alu instid0(VALU_DEP_4) | instskip(NEXT) | instid1(VALU_DEP_2)
	v_add_nc_u32_e32 v1, 0x38000000, v1
	v_cndmask_b32_e64 v7, 0x7f800001, v9, s7
	s_delay_alu instid0(VALU_DEP_4) | instskip(NEXT) | instid1(VALU_DEP_1)
	v_cmp_eq_u32_e64 s7, 0x7c, v8
	v_cndmask_b32_e64 v7, v1, v7, s7
.LBB6_7616:                             ;   in Loop: Header=BB6_7462 Depth=2
	s_or_b32 exec_lo, exec_lo, s10
	s_delay_alu instid0(VALU_DEP_1) | instskip(NEXT) | instid1(VALU_DEP_1)
	v_dual_mul_f32 v8, v6, v7 :: v_dual_mov_b32 v31, v5
	v_dual_mov_b32 v7, v5 :: v_dual_lshrrev_b32 v1, 24, v8
	v_and_b32_e32 v30, 0x7f800000, v8
	v_and_b32_e32 v6, 0x7fffff, v8
	s_delay_alu instid0(VALU_DEP_2) | instskip(SKIP_1) | instid1(SALU_CYCLE_1)
	v_cmp_ne_u64_e64 s7, 0x7f800000, v[30:31]
                                        ; implicit-def: $vgpr30
	s_and_saveexec_b32 s10, s7
	s_xor_b32 s26, exec_lo, s10
	s_cbranch_execz .LBB6_7630
; %bb.7617:                             ;   in Loop: Header=BB6_7462 Depth=2
	v_and_b32_e32 v30, 0x7fffffff, v8
	v_mov_b32_e32 v31, v5
	v_and_b32_e32 v1, 0x80, v1
	s_delay_alu instid0(VALU_DEP_2) | instskip(SKIP_1) | instid1(SALU_CYCLE_1)
	v_cmp_gt_u64_e64 s7, 0x47600001, v[30:31]
                                        ; implicit-def: $vgpr30
	s_and_saveexec_b32 s10, s7
	s_xor_b32 s27, exec_lo, s10
	s_cbranch_execz .LBB6_7627
; %bb.7618:                             ;   in Loop: Header=BB6_7462 Depth=2
	v_mov_b32_e32 v30, 0
	s_mov_b32 s28, exec_lo
	v_cmpx_ne_u32_e32 0, v8
	s_cbranch_execz .LBB6_7626
; %bb.7619:                             ;   in Loop: Header=BB6_7462 Depth=2
	v_bfe_u32 v30, v8, 23, 8
	v_or_b32_e32 v32, 0x800000, v6
	s_delay_alu instid0(VALU_DEP_2) | instskip(SKIP_1) | instid1(VALU_DEP_1)
	v_sub_nc_u32_e32 v8, 0x71, v30
	v_cmp_gt_u32_e64 s7, 0x72, v30
	v_cndmask_b32_e64 v8, 0, v8, s7
	v_cmp_eq_u32_e64 s7, 0, v30
	s_delay_alu instid0(VALU_DEP_1) | instskip(NEXT) | instid1(VALU_DEP_1)
	v_cndmask_b32_e64 v31, v8, 0x70, s7
	v_dual_cndmask_b32 v6, v32, v6, s7 :: v_dual_add_nc_u32 v8, 21, v31
	v_add_nc_u32_e32 v33, 20, v31
	s_delay_alu instid0(VALU_DEP_2) | instskip(NEXT) | instid1(VALU_DEP_2)
	v_lshlrev_b64_e64 v[8:9], v8, -1
	v_lshlrev_b64_e64 v[32:33], v33, 1
	s_delay_alu instid0(VALU_DEP_2) | instskip(SKIP_1) | instid1(VALU_DEP_4)
	v_bfi_b32 v8, v8, 0, v6
	v_lshrrev_b64 v[6:7], v31, v[6:7]
	v_bfi_b32 v9, v9, 0, 0
	s_delay_alu instid0(VALU_DEP_1) | instskip(NEXT) | instid1(VALU_DEP_3)
	v_cmp_eq_u64_e64 s10, v[8:9], v[32:33]
	v_mov_b64_e32 v[8:9], v[6:7]
	s_and_saveexec_b32 s29, s10
; %bb.7620:                             ;   in Loop: Header=BB6_7462 Depth=2
	v_bfe_u32 v8, v6, 21, 1
	v_mov_b32_e32 v9, v5
	s_delay_alu instid0(VALU_DEP_1) | instskip(NEXT) | instid1(VALU_DEP_1)
	v_add_nc_u64_e32 v[8:9], v[6:7], v[8:9]
	v_add_nc_u64_e32 v[8:9], -1, v[8:9]
; %bb.7621:                             ;   in Loop: Header=BB6_7462 Depth=2
	s_or_b32 exec_lo, exec_lo, s29
	v_add_nc_u32_e32 v7, 0xffffff81, v30
	v_lshrrev_b32_e32 v9, 23, v6
	s_mov_b32 s10, exec_lo
	s_delay_alu instid0(VALU_DEP_2) | instskip(NEXT) | instid1(VALU_DEP_1)
	v_cndmask_b32_e64 v7, v7, 0xffffff82, s7
	v_add3_u32 v9, v31, v7, v9
	v_and_b32_e32 v7, 0x1fffff, v8
                                        ; implicit-def: $vgpr8
	s_delay_alu instid0(VALU_DEP_1) | instskip(SKIP_1) | instid1(VALU_DEP_2)
	v_dual_add_nc_u32 v30, 14, v9 :: v_dual_add_nc_u32 v6, v7, v6
	v_mov_b32_e32 v7, v5
	v_cmpx_ne_u32_e32 0, v30
	s_xor_b32 s10, exec_lo, s10
; %bb.7622:                             ;   in Loop: Header=BB6_7462 Depth=2
	s_delay_alu instid0(VALU_DEP_2) | instskip(SKIP_1) | instid1(VALU_DEP_2)
	v_cmp_lt_u64_e64 s7, 0xffffff, v[6:7]
	v_add_nc_u32_e32 v8, 15, v9
	v_cndmask_b32_e64 v9, 0, 1, s7
	s_delay_alu instid0(VALU_DEP_2) | instskip(NEXT) | instid1(VALU_DEP_2)
	v_cndmask_b32_e64 v8, v30, v8, s7
	v_lshrrev_b64 v[6:7], v9, v[6:7]
; %bb.7623:                             ;   in Loop: Header=BB6_7462 Depth=2
	s_and_not1_saveexec_b32 s7, s10
; %bb.7624:                             ;   in Loop: Header=BB6_7462 Depth=2
	s_delay_alu instid0(VALU_DEP_1)
	v_bfe_u32 v8, v6, 23, 1
; %bb.7625:                             ;   in Loop: Header=BB6_7462 Depth=2
	s_or_b32 exec_lo, exec_lo, s7
	s_delay_alu instid0(VALU_DEP_2) | instskip(NEXT) | instid1(VALU_DEP_2)
	v_lshrrev_b64 v[6:7], 21, v[6:7]
	v_cmp_gt_i32_e64 s7, 32, v8
	v_min_i32_e32 v9, 31, v8
	v_cmp_eq_u32_e64 s10, 0, v8
	s_delay_alu instid0(VALU_DEP_2) | instskip(SKIP_1) | instid1(VALU_DEP_2)
	v_dual_cndmask_b32 v7, 0, v7, s7 :: v_dual_lshlrev_b32 v9, 2, v9
	v_cndmask_b32_e64 v6, 3, v6, s7
	v_and_b32_e32 v9, 0xfc, v9
	s_delay_alu instid0(VALU_DEP_2) | instskip(NEXT) | instid1(VALU_DEP_2)
	v_cmp_eq_u64_e64 s7, 0, v[6:7]
	v_and_or_b32 v6, v6, 3, v9
	s_and_b32 s7, s10, s7
	s_delay_alu instid0(VALU_DEP_1) | instid1(SALU_CYCLE_1)
	v_cndmask_b32_e64 v6, v6, 0, s7
	s_delay_alu instid0(VALU_DEP_1)
	v_or_b32_e32 v30, v6, v1
.LBB6_7626:                             ;   in Loop: Header=BB6_7462 Depth=2
	s_or_b32 exec_lo, exec_lo, s28
                                        ; implicit-def: $vgpr1
.LBB6_7627:                             ;   in Loop: Header=BB6_7462 Depth=2
	s_and_not1_saveexec_b32 s7, s27
; %bb.7628:                             ;   in Loop: Header=BB6_7462 Depth=2
	v_or_b32_e32 v30, 0x7b, v1
; %bb.7629:                             ;   in Loop: Header=BB6_7462 Depth=2
	s_or_b32 exec_lo, exec_lo, s7
                                        ; implicit-def: $vgpr8
                                        ; implicit-def: $vgpr6_vgpr7
                                        ; implicit-def: $vgpr1
.LBB6_7630:                             ;   in Loop: Header=BB6_7462 Depth=2
	s_and_not1_saveexec_b32 s10, s26
	s_cbranch_execz .LBB6_7636
; %bb.7631:                             ;   in Loop: Header=BB6_7462 Depth=2
	v_cmp_ne_u64_e64 s7, 0, v[6:7]
                                        ; implicit-def: $vgpr30
	s_and_saveexec_b32 s26, s7
	s_delay_alu instid0(SALU_CYCLE_1)
	s_xor_b32 s7, exec_lo, s26
; %bb.7632:                             ;   in Loop: Header=BB6_7462 Depth=2
	v_or_b32_e32 v30, 0x7f, v1
                                        ; implicit-def: $vgpr8
; %bb.7633:                             ;   in Loop: Header=BB6_7462 Depth=2
	s_and_not1_saveexec_b32 s26, s7
; %bb.7634:                             ;   in Loop: Header=BB6_7462 Depth=2
	v_cmp_lt_i32_e64 s7, -1, v8
	s_delay_alu instid0(VALU_DEP_1)
	v_cndmask_b32_e64 v30, 0xfc, v104, s7
; %bb.7635:                             ;   in Loop: Header=BB6_7462 Depth=2
	s_or_b32 exec_lo, exec_lo, s26
.LBB6_7636:                             ;   in Loop: Header=BB6_7462 Depth=2
	s_delay_alu instid0(SALU_CYCLE_1) | instskip(SKIP_3) | instid1(VALU_DEP_2)
	s_or_b32 exec_lo, exec_lo, s10
	v_lshrrev_b16 v6, 8, v4
	v_mov_b32_e32 v1, 0
	s_mov_b32 s10, exec_lo
	v_cmpx_ne_u16_e32 0, v6
	s_cbranch_execz .LBB6_7646
; %bb.7637:                             ;   in Loop: Header=BB6_7462 Depth=2
	v_bfrev_b32_e32 v1, 1
	s_mov_b32 s26, exec_lo
	v_cmpx_ne_u16_e32 0x80, v6
	s_cbranch_execz .LBB6_7645
; %bb.7638:                             ;   in Loop: Header=BB6_7462 Depth=2
	v_and_b32_e32 v8, 0xffff, v6
	s_delay_alu instid0(VALU_DEP_1) | instskip(SKIP_1) | instid1(VALU_DEP_2)
	v_and_b32_e32 v1, 0x7c, v8
	v_and_b32_e32 v7, 3, v8
	v_cmp_ne_u32_e64 s7, 0x7c, v1
                                        ; implicit-def: $vgpr1
	s_and_saveexec_b32 s27, s7
	s_delay_alu instid0(SALU_CYCLE_1)
	s_xor_b32 s27, exec_lo, s27
	s_cbranch_execz .LBB6_7642
; %bb.7639:                             ;   in Loop: Header=BB6_7462 Depth=2
	v_bfe_u32 v1, v8, 2, 5
	s_mov_b32 s28, exec_lo
	s_delay_alu instid0(VALU_DEP_1)
	v_cmpx_eq_u32_e32 0, v1
	s_cbranch_execz .LBB6_7641
; %bb.7640:                             ;   in Loop: Header=BB6_7462 Depth=2
	v_clz_i32_u32_e32 v1, v7
	s_delay_alu instid0(VALU_DEP_1) | instskip(SKIP_1) | instid1(VALU_DEP_2)
	v_min_u32_e32 v1, 32, v1
	v_mov_b32_e32 v7, v5
	v_subrev_nc_u32_e32 v8, 29, v1
	v_sub_nc_u32_e32 v1, 30, v1
	s_delay_alu instid0(VALU_DEP_2) | instskip(NEXT) | instid1(VALU_DEP_1)
	v_lshlrev_b64_e32 v[6:7], v8, v[6:7]
	v_and_b32_e32 v7, 3, v6
.LBB6_7641:                             ;   in Loop: Header=BB6_7462 Depth=2
	s_or_b32 exec_lo, exec_lo, s28
	v_lshlrev_b32_e32 v4, 16, v4
	s_delay_alu instid0(VALU_DEP_1) | instskip(NEXT) | instid1(VALU_DEP_1)
	v_and_b32_e32 v4, 0x80000000, v4
	v_lshl_add_u32 v1, v1, 23, v4
	s_delay_alu instid0(VALU_DEP_1) | instskip(NEXT) | instid1(VALU_DEP_1)
	v_lshl_or_b32 v1, v7, 21, v1
                                        ; implicit-def: $vgpr7
	v_add_nc_u32_e32 v1, 0x38000000, v1
.LBB6_7642:                             ;   in Loop: Header=BB6_7462 Depth=2
	s_and_not1_saveexec_b32 s27, s27
; %bb.7643:                             ;   in Loop: Header=BB6_7462 Depth=2
	v_cmp_lt_i16_e64 s7, -1, v4
	s_delay_alu instid0(VALU_DEP_1) | instskip(SKIP_1) | instid1(VALU_DEP_1)
	v_cndmask_b32_e64 v1, 0xff800000, v105, s7
	v_cmp_eq_u32_e64 s7, 0, v7
	v_cndmask_b32_e64 v1, 0x7f800001, v1, s7
; %bb.7644:                             ;   in Loop: Header=BB6_7462 Depth=2
	s_or_b32 exec_lo, exec_lo, s27
.LBB6_7645:                             ;   in Loop: Header=BB6_7462 Depth=2
	s_delay_alu instid0(SALU_CYCLE_1)
	s_or_b32 exec_lo, exec_lo, s26
.LBB6_7646:                             ;   in Loop: Header=BB6_7462 Depth=2
	s_delay_alu instid0(SALU_CYCLE_1) | instskip(SKIP_3) | instid1(VALU_DEP_1)
	s_or_b32 exec_lo, exec_lo, s10
	v_lshrrev_b16 v6, 8, v0
	s_mov_b32 s26, 0
	s_mov_b32 s10, exec_lo
	v_cmpx_lt_i16_e32 0x7f, v6
	s_xor_b32 s10, exec_lo, s10
	s_cbranch_execz .LBB6_8021
; %bb.7647:                             ;   in Loop: Header=BB6_7462 Depth=2
	s_mov_b32 s26, -1
	s_mov_b32 s27, exec_lo
	v_cmpx_eq_u16_e32 0x80, v6
; %bb.7648:                             ;   in Loop: Header=BB6_7462 Depth=2
	s_xor_b32 s26, exec_lo, -1
; %bb.7649:                             ;   in Loop: Header=BB6_7462 Depth=2
	s_or_b32 exec_lo, exec_lo, s27
	s_delay_alu instid0(SALU_CYCLE_1)
	s_and_b32 s26, s26, exec_lo
	s_or_saveexec_b32 s10, s10
	v_bfrev_b32_e32 v4, 1
	s_xor_b32 exec_lo, exec_lo, s10
	s_cbranch_execnz .LBB6_8022
.LBB6_7650:                             ;   in Loop: Header=BB6_7462 Depth=2
	s_or_b32 exec_lo, exec_lo, s10
	s_and_saveexec_b32 s10, s26
	s_cbranch_execz .LBB6_7652
.LBB6_7651:                             ;   in Loop: Header=BB6_7462 Depth=2
	v_and_b32_e32 v4, 0xffff, v6
	s_delay_alu instid0(VALU_DEP_1) | instskip(NEXT) | instid1(VALU_DEP_1)
	v_and_b32_e32 v31, 3, v4
	v_clz_i32_u32_e32 v7, v31
	s_delay_alu instid0(VALU_DEP_1) | instskip(SKIP_1) | instid1(VALU_DEP_2)
	v_min_u32_e32 v32, 32, v7
	v_mov_b32_e32 v7, v5
	v_subrev_nc_u32_e32 v8, 29, v32
	s_delay_alu instid0(VALU_DEP_1) | instskip(SKIP_3) | instid1(VALU_DEP_3)
	v_lshlrev_b64_e32 v[8:9], v8, v[6:7]
	v_bfe_u32 v7, v4, 2, 5
	v_dual_lshlrev_b32 v6, 24, v6 :: v_dual_sub_nc_u32 v9, 30, v32
	v_and_b32_e32 v4, 0x7c, v4
	v_cmp_eq_u32_e64 s7, 0, v7
	s_delay_alu instid0(VALU_DEP_3) | instskip(NEXT) | instid1(VALU_DEP_2)
	v_and_b32_e32 v6, 0x80000000, v6
	v_dual_cndmask_b32 v7, v7, v9, s7 :: v_dual_bitop2_b32 v8, 3, v8 bitop3:0x40
	s_delay_alu instid0(VALU_DEP_1) | instskip(SKIP_1) | instid1(VALU_DEP_3)
	v_cndmask_b32_e64 v8, v31, v8, s7
	v_cmp_lt_i16_e64 s7, -1, v0
	v_lshl_add_u32 v6, v7, 23, v6
	s_delay_alu instid0(VALU_DEP_2) | instskip(SKIP_1) | instid1(VALU_DEP_3)
	v_cndmask_b32_e64 v0, 0xff800000, v105, s7
	v_cmp_eq_u32_e64 s7, 0, v31
	v_lshl_or_b32 v6, v8, 21, v6
	s_delay_alu instid0(VALU_DEP_2) | instskip(NEXT) | instid1(VALU_DEP_2)
	v_cndmask_b32_e64 v0, 0x7f800001, v0, s7
	v_add_nc_u32_e32 v6, 0x38000000, v6
	v_cmp_eq_u32_e64 s7, 0x7c, v4
	s_delay_alu instid0(VALU_DEP_1)
	v_cndmask_b32_e64 v4, v6, v0, s7
.LBB6_7652:                             ;   in Loop: Header=BB6_7462 Depth=2
	s_or_b32 exec_lo, exec_lo, s10
	s_delay_alu instid0(VALU_DEP_1) | instskip(SKIP_2) | instid1(VALU_DEP_2)
	v_mul_f32_e32 v0, v1, v4
	v_mov_b32_e32 v7, v5
                                        ; implicit-def: $vgpr31
	s_mov_b32 s10, exec_lo
	v_and_b32_e32 v6, 0x7f800000, v0
	v_and_b32_e32 v4, 0x7fffff, v0
	v_lshrrev_b32_e32 v1, 24, v0
	s_delay_alu instid0(VALU_DEP_3)
	v_cmpx_ne_u64_e32 0x7f800000, v[6:7]
	s_xor_b32 s26, exec_lo, s10
	s_cbranch_execz .LBB6_7666
; %bb.7653:                             ;   in Loop: Header=BB6_7462 Depth=2
	v_and_b32_e32 v6, 0x7fffffff, v0
	v_mov_b32_e32 v7, v5
	v_and_b32_e32 v8, 0x80, v1
                                        ; implicit-def: $vgpr31
	s_mov_b32 s10, exec_lo
	s_delay_alu instid0(VALU_DEP_2)
	v_cmpx_gt_u64_e32 0x47600001, v[6:7]
	s_xor_b32 s27, exec_lo, s10
	s_cbranch_execz .LBB6_7663
; %bb.7654:                             ;   in Loop: Header=BB6_7462 Depth=2
	v_mov_b32_e32 v31, 0
	s_mov_b32 s28, exec_lo
	v_cmpx_ne_u32_e32 0, v0
	s_cbranch_execz .LBB6_7662
; %bb.7655:                             ;   in Loop: Header=BB6_7462 Depth=2
	v_bfe_u32 v9, v0, 23, 8
	v_or_b32_e32 v6, 0x800000, v4
	s_mov_b32 s29, exec_lo
	s_delay_alu instid0(VALU_DEP_2) | instskip(SKIP_1) | instid1(VALU_DEP_1)
	v_dual_mov_b32 v7, v5 :: v_dual_sub_nc_u32 v0, 0x71, v9
	v_cmp_gt_u32_e64 s7, 0x72, v9
	v_cndmask_b32_e64 v0, 0, v0, s7
	v_cmp_eq_u32_e64 s7, 0, v9
	s_delay_alu instid0(VALU_DEP_1) | instskip(NEXT) | instid1(VALU_DEP_1)
	v_cndmask_b32_e64 v31, v0, 0x70, s7
	v_dual_cndmask_b32 v6, v6, v4, s7 :: v_dual_add_nc_u32 v0, 21, v31
	v_add_nc_u32_e32 v32, 20, v31
	s_delay_alu instid0(VALU_DEP_2) | instskip(NEXT) | instid1(VALU_DEP_2)
	v_lshlrev_b64_e64 v[0:1], v0, -1
	v_lshlrev_b64_e64 v[32:33], v32, 1
	s_delay_alu instid0(VALU_DEP_2) | instskip(NEXT) | instid1(VALU_DEP_3)
	v_bfi_b32 v35, v1, 0, 0
	v_bfi_b32 v34, v0, 0, v6
	v_lshrrev_b64 v[0:1], v31, v[6:7]
	s_delay_alu instid0(VALU_DEP_1) | instskip(NEXT) | instid1(VALU_DEP_3)
	v_mov_b64_e32 v[6:7], v[0:1]
	v_cmpx_eq_u64_e64 v[34:35], v[32:33]
; %bb.7656:                             ;   in Loop: Header=BB6_7462 Depth=2
	v_bfe_u32 v6, v0, 21, 1
	v_mov_b32_e32 v7, v5
	s_delay_alu instid0(VALU_DEP_1) | instskip(NEXT) | instid1(VALU_DEP_1)
	v_add_nc_u64_e32 v[6:7], v[0:1], v[6:7]
	v_add_nc_u64_e32 v[6:7], -1, v[6:7]
; %bb.7657:                             ;   in Loop: Header=BB6_7462 Depth=2
	s_or_b32 exec_lo, exec_lo, s29
	v_add_nc_u32_e32 v1, 0xffffff81, v9
	v_lshrrev_b32_e32 v4, 23, v0
	s_mov_b32 s10, exec_lo
	s_delay_alu instid0(VALU_DEP_2) | instskip(NEXT) | instid1(VALU_DEP_1)
	v_cndmask_b32_e64 v1, v1, 0xffffff82, s7
	v_add3_u32 v7, v31, v1, v4
	v_and_b32_e32 v1, 0x1fffff, v6
                                        ; implicit-def: $vgpr6
	s_delay_alu instid0(VALU_DEP_1) | instskip(NEXT) | instid1(VALU_DEP_1)
	v_dual_add_nc_u32 v9, 14, v7 :: v_dual_add_nc_u32 v4, v1, v0
                                        ; implicit-def: $vgpr0_vgpr1
	v_cmpx_ne_u32_e32 0, v9
	s_xor_b32 s10, exec_lo, s10
; %bb.7658:                             ;   in Loop: Header=BB6_7462 Depth=2
	s_delay_alu instid0(VALU_DEP_2) | instskip(SKIP_1) | instid1(VALU_DEP_1)
	v_cmp_lt_u64_e64 s7, 0xffffff, v[4:5]
	v_add_nc_u32_e32 v0, 15, v7
	v_cndmask_b32_e64 v6, v9, v0, s7
	v_cndmask_b32_e64 v0, 0, 1, s7
	s_delay_alu instid0(VALU_DEP_1)
	v_lshrrev_b64 v[0:1], v0, v[4:5]
; %bb.7659:                             ;   in Loop: Header=BB6_7462 Depth=2
	s_and_not1_saveexec_b32 s7, s10
; %bb.7660:                             ;   in Loop: Header=BB6_7462 Depth=2
	v_mov_b64_e32 v[0:1], v[4:5]
	v_bfe_u32 v6, v4, 23, 1
; %bb.7661:                             ;   in Loop: Header=BB6_7462 Depth=2
	s_or_b32 exec_lo, exec_lo, s7
	s_delay_alu instid0(VALU_DEP_2) | instskip(NEXT) | instid1(VALU_DEP_2)
	v_lshrrev_b64 v[0:1], 21, v[0:1]
	v_cmp_gt_i32_e64 s7, 32, v6
	v_min_i32_e32 v4, 31, v6
	v_cmp_eq_u32_e64 s10, 0, v6
	s_delay_alu instid0(VALU_DEP_2) | instskip(SKIP_1) | instid1(VALU_DEP_2)
	v_dual_cndmask_b32 v1, 0, v1, s7 :: v_dual_lshlrev_b32 v4, 2, v4
	v_cndmask_b32_e64 v0, 3, v0, s7
	v_and_b32_e32 v4, 0xfc, v4
	s_delay_alu instid0(VALU_DEP_2) | instskip(NEXT) | instid1(VALU_DEP_2)
	v_cmp_eq_u64_e64 s7, 0, v[0:1]
	v_and_or_b32 v0, v0, 3, v4
	s_and_b32 s7, s10, s7
	s_delay_alu instid0(VALU_DEP_1) | instid1(SALU_CYCLE_1)
	v_cndmask_b32_e64 v0, v0, 0, s7
	s_delay_alu instid0(VALU_DEP_1)
	v_or_b32_e32 v31, v0, v8
.LBB6_7662:                             ;   in Loop: Header=BB6_7462 Depth=2
	s_or_b32 exec_lo, exec_lo, s28
                                        ; implicit-def: $vgpr8
.LBB6_7663:                             ;   in Loop: Header=BB6_7462 Depth=2
	s_and_not1_saveexec_b32 s7, s27
; %bb.7664:                             ;   in Loop: Header=BB6_7462 Depth=2
	v_or_b32_e32 v31, 0x7b, v8
; %bb.7665:                             ;   in Loop: Header=BB6_7462 Depth=2
	s_or_b32 exec_lo, exec_lo, s7
                                        ; implicit-def: $vgpr0
                                        ; implicit-def: $vgpr1
.LBB6_7666:                             ;   in Loop: Header=BB6_7462 Depth=2
	s_and_not1_saveexec_b32 s10, s26
	s_cbranch_execz .LBB6_7672
; %bb.7667:                             ;   in Loop: Header=BB6_7462 Depth=2
	v_cmp_ne_u64_e64 s7, 0, v[4:5]
                                        ; implicit-def: $vgpr31
	s_and_saveexec_b32 s26, s7
	s_delay_alu instid0(SALU_CYCLE_1)
	s_xor_b32 s7, exec_lo, s26
; %bb.7668:                             ;   in Loop: Header=BB6_7462 Depth=2
	v_or_b32_e32 v31, 0x7f, v1
                                        ; implicit-def: $vgpr0
; %bb.7669:                             ;   in Loop: Header=BB6_7462 Depth=2
	s_and_not1_saveexec_b32 s26, s7
; %bb.7670:                             ;   in Loop: Header=BB6_7462 Depth=2
	v_cmp_lt_i32_e64 s7, -1, v0
	s_delay_alu instid0(VALU_DEP_1)
	v_cndmask_b32_e64 v31, 0xfc, v104, s7
; %bb.7671:                             ;   in Loop: Header=BB6_7462 Depth=2
	s_or_b32 exec_lo, exec_lo, s26
.LBB6_7672:                             ;   in Loop: Header=BB6_7462 Depth=2
	s_delay_alu instid0(SALU_CYCLE_1) | instskip(SKIP_2) | instid1(VALU_DEP_1)
	s_or_b32 exec_lo, exec_lo, s10
	v_dual_mov_b32 v1, 0 :: v_dual_lshrrev_b32 v0, 16, v15
	s_mov_b32 s10, exec_lo
	v_and_b32_e32 v4, 0xff, v0
	s_delay_alu instid0(VALU_DEP_1)
	v_cmpx_ne_u16_e32 0, v4
	s_cbranch_execz .LBB6_7682
; %bb.7673:                             ;   in Loop: Header=BB6_7462 Depth=2
	v_bfrev_b32_e32 v1, 1
	s_mov_b32 s26, exec_lo
	v_cmpx_ne_u16_e32 0x80, v4
	s_cbranch_execz .LBB6_7681
; %bb.7674:                             ;   in Loop: Header=BB6_7462 Depth=2
	v_and_b32_e32 v1, 0x7c0000, v15
	v_bfe_u32 v4, v15, 16, 2
	s_delay_alu instid0(VALU_DEP_2) | instskip(SKIP_1) | instid1(SALU_CYCLE_1)
	v_cmp_ne_u32_e64 s7, 0x7c0000, v1
                                        ; implicit-def: $vgpr1
	s_and_saveexec_b32 s27, s7
	s_xor_b32 s27, exec_lo, s27
	s_cbranch_execz .LBB6_7678
; %bb.7675:                             ;   in Loop: Header=BB6_7462 Depth=2
	v_bfe_u32 v1, v15, 18, 5
	s_mov_b32 s28, exec_lo
	s_delay_alu instid0(VALU_DEP_1)
	v_cmpx_eq_u32_e32 0, v1
; %bb.7676:                             ;   in Loop: Header=BB6_7462 Depth=2
	v_clz_i32_u32_e32 v1, v4
	s_delay_alu instid0(VALU_DEP_1) | instskip(NEXT) | instid1(VALU_DEP_1)
	v_min_u32_e32 v1, 32, v1
	v_subrev_nc_u32_e32 v4, 29, v1
	s_delay_alu instid0(VALU_DEP_1) | instskip(NEXT) | instid1(VALU_DEP_1)
	v_lshlrev_b64_e32 v[6:7], v4, v[0:1]
	v_dual_sub_nc_u32 v1, 30, v1 :: v_dual_bitop2_b32 v4, 3, v6 bitop3:0x40
; %bb.7677:                             ;   in Loop: Header=BB6_7462 Depth=2
	s_or_b32 exec_lo, exec_lo, s28
	v_lshlrev_b32_e32 v0, 24, v0
	s_delay_alu instid0(VALU_DEP_1) | instskip(NEXT) | instid1(VALU_DEP_1)
	v_and_b32_e32 v0, 0x80000000, v0
	v_lshl_add_u32 v0, v1, 23, v0
	s_delay_alu instid0(VALU_DEP_1) | instskip(NEXT) | instid1(VALU_DEP_1)
	v_lshl_or_b32 v0, v4, 21, v0
                                        ; implicit-def: $vgpr4
	v_add_nc_u32_e32 v1, 0x38000000, v0
                                        ; implicit-def: $vgpr0
.LBB6_7678:                             ;   in Loop: Header=BB6_7462 Depth=2
	s_and_not1_saveexec_b32 s27, s27
; %bb.7679:                             ;   in Loop: Header=BB6_7462 Depth=2
	v_bfe_i32 v0, v0, 0, 8
	s_delay_alu instid0(VALU_DEP_1) | instskip(NEXT) | instid1(VALU_DEP_1)
	v_cmp_lt_i16_e64 s7, -1, v0
	v_cndmask_b32_e64 v0, 0xff800000, v105, s7
	v_cmp_eq_u32_e64 s7, 0, v4
	s_delay_alu instid0(VALU_DEP_1)
	v_cndmask_b32_e64 v1, 0x7f800001, v0, s7
; %bb.7680:                             ;   in Loop: Header=BB6_7462 Depth=2
	s_or_b32 exec_lo, exec_lo, s27
.LBB6_7681:                             ;   in Loop: Header=BB6_7462 Depth=2
	s_delay_alu instid0(SALU_CYCLE_1)
	s_or_b32 exec_lo, exec_lo, s26
.LBB6_7682:                             ;   in Loop: Header=BB6_7462 Depth=2
	s_delay_alu instid0(SALU_CYCLE_1) | instskip(SKIP_3) | instid1(VALU_DEP_1)
	s_or_b32 exec_lo, exec_lo, s10
	v_lshrrev_b32_e32 v0, 16, v11
	s_mov_b32 s26, 0
	s_mov_b32 s10, exec_lo
	v_and_b32_e32 v6, 0xff, v0
	s_delay_alu instid0(VALU_DEP_1)
	v_cmpx_lt_i16_e32 0x7f, v6
	s_xor_b32 s10, exec_lo, s10
	s_cbranch_execz .LBB6_8023
; %bb.7683:                             ;   in Loop: Header=BB6_7462 Depth=2
	s_mov_b32 s26, -1
	s_mov_b32 s27, exec_lo
	v_cmpx_eq_u16_e32 0x80, v6
; %bb.7684:                             ;   in Loop: Header=BB6_7462 Depth=2
	s_xor_b32 s26, exec_lo, -1
; %bb.7685:                             ;   in Loop: Header=BB6_7462 Depth=2
	s_or_b32 exec_lo, exec_lo, s27
	s_delay_alu instid0(SALU_CYCLE_1)
	s_and_b32 s26, s26, exec_lo
                                        ; implicit-def: $vgpr6
	s_or_saveexec_b32 s10, s10
	v_bfrev_b32_e32 v4, 1
	s_xor_b32 exec_lo, exec_lo, s10
	s_cbranch_execnz .LBB6_8024
.LBB6_7686:                             ;   in Loop: Header=BB6_7462 Depth=2
	s_or_b32 exec_lo, exec_lo, s10
	s_and_saveexec_b32 s10, s26
	s_cbranch_execz .LBB6_7688
.LBB6_7687:                             ;   in Loop: Header=BB6_7462 Depth=2
	v_and_b32_e32 v4, 3, v0
	v_bfe_u32 v9, v11, 18, 5
	s_delay_alu instid0(VALU_DEP_2) | instskip(NEXT) | instid1(VALU_DEP_2)
	v_clz_i32_u32_e32 v6, v4
	v_cmp_eq_u32_e64 s7, 0, v9
	s_delay_alu instid0(VALU_DEP_2) | instskip(NEXT) | instid1(VALU_DEP_1)
	v_min_u32_e32 v8, 32, v6
	v_subrev_nc_u32_e32 v6, 29, v8
	s_delay_alu instid0(VALU_DEP_1) | instskip(SKIP_3) | instid1(VALU_DEP_3)
	v_lshlrev_b64_e32 v[6:7], v6, v[0:1]
	v_lshlrev_b32_e32 v7, 24, v0
	v_sub_nc_u32_e32 v8, 30, v8
	v_bfe_i32 v0, v0, 0, 8
	v_and_b32_e32 v7, 0x80000000, v7
	s_delay_alu instid0(VALU_DEP_3) | instskip(NEXT) | instid1(VALU_DEP_1)
	v_dual_cndmask_b32 v8, v9, v8, s7 :: v_dual_bitop2_b32 v6, 3, v6 bitop3:0x40
	v_cndmask_b32_e64 v6, v4, v6, s7
	s_delay_alu instid0(VALU_DEP_2) | instskip(SKIP_1) | instid1(VALU_DEP_2)
	v_lshl_add_u32 v7, v8, 23, v7
	v_cmp_lt_i16_e64 s7, -1, v0
	v_lshl_or_b32 v6, v6, 21, v7
	s_delay_alu instid0(VALU_DEP_2) | instskip(SKIP_2) | instid1(VALU_DEP_4)
	v_cndmask_b32_e64 v0, 0xff800000, v105, s7
	v_and_b32_e32 v7, 0x7c0000, v11
	v_cmp_eq_u32_e64 s7, 0, v4
	v_add_nc_u32_e32 v4, 0x38000000, v6
	s_delay_alu instid0(VALU_DEP_2) | instskip(NEXT) | instid1(VALU_DEP_4)
	v_cndmask_b32_e64 v0, 0x7f800001, v0, s7
	v_cmp_eq_u32_e64 s7, 0x7c0000, v7
	s_delay_alu instid0(VALU_DEP_1)
	v_cndmask_b32_e64 v4, v4, v0, s7
.LBB6_7688:                             ;   in Loop: Header=BB6_7462 Depth=2
	s_or_b32 exec_lo, exec_lo, s10
	s_delay_alu instid0(VALU_DEP_1) | instskip(SKIP_2) | instid1(VALU_DEP_2)
	v_mul_f32_e32 v0, v1, v4
	v_mov_b32_e32 v7, v5
                                        ; implicit-def: $vgpr32
	s_mov_b32 s10, exec_lo
	v_and_b32_e32 v6, 0x7f800000, v0
	v_and_b32_e32 v4, 0x7fffff, v0
	v_lshrrev_b32_e32 v1, 24, v0
	s_delay_alu instid0(VALU_DEP_3)
	v_cmpx_ne_u64_e32 0x7f800000, v[6:7]
	s_xor_b32 s26, exec_lo, s10
	s_cbranch_execz .LBB6_7702
; %bb.7689:                             ;   in Loop: Header=BB6_7462 Depth=2
	v_and_b32_e32 v6, 0x7fffffff, v0
	v_mov_b32_e32 v7, v5
	v_and_b32_e32 v8, 0x80, v1
                                        ; implicit-def: $vgpr32
	s_mov_b32 s10, exec_lo
	s_delay_alu instid0(VALU_DEP_2)
	v_cmpx_gt_u64_e32 0x47600001, v[6:7]
	s_xor_b32 s27, exec_lo, s10
	s_cbranch_execz .LBB6_7699
; %bb.7690:                             ;   in Loop: Header=BB6_7462 Depth=2
	v_mov_b32_e32 v32, 0
	s_mov_b32 s28, exec_lo
	v_cmpx_ne_u32_e32 0, v0
	s_cbranch_execz .LBB6_7698
; %bb.7691:                             ;   in Loop: Header=BB6_7462 Depth=2
	v_bfe_u32 v9, v0, 23, 8
	v_or_b32_e32 v6, 0x800000, v4
	s_mov_b32 s29, exec_lo
	s_delay_alu instid0(VALU_DEP_2) | instskip(SKIP_1) | instid1(VALU_DEP_1)
	v_dual_mov_b32 v7, v5 :: v_dual_sub_nc_u32 v0, 0x71, v9
	v_cmp_gt_u32_e64 s7, 0x72, v9
	v_cndmask_b32_e64 v0, 0, v0, s7
	v_cmp_eq_u32_e64 s7, 0, v9
	s_delay_alu instid0(VALU_DEP_1) | instskip(SKIP_1) | instid1(VALU_DEP_2)
	v_cndmask_b32_e64 v32, v0, 0x70, s7
	v_cndmask_b32_e64 v6, v6, v4, s7
	v_dual_add_nc_u32 v0, 21, v32 :: v_dual_add_nc_u32 v33, 20, v32
	s_delay_alu instid0(VALU_DEP_1) | instskip(NEXT) | instid1(VALU_DEP_2)
	v_lshlrev_b64_e64 v[0:1], v0, -1
	v_lshlrev_b64_e64 v[34:35], v33, 1
	s_delay_alu instid0(VALU_DEP_2) | instskip(NEXT) | instid1(VALU_DEP_3)
	v_bfi_b32 v37, v1, 0, 0
	v_bfi_b32 v36, v0, 0, v6
	v_lshrrev_b64 v[0:1], v32, v[6:7]
	s_delay_alu instid0(VALU_DEP_1) | instskip(NEXT) | instid1(VALU_DEP_3)
	v_mov_b64_e32 v[6:7], v[0:1]
	v_cmpx_eq_u64_e64 v[36:37], v[34:35]
; %bb.7692:                             ;   in Loop: Header=BB6_7462 Depth=2
	v_bfe_u32 v6, v0, 21, 1
	v_mov_b32_e32 v7, v5
	s_delay_alu instid0(VALU_DEP_1) | instskip(NEXT) | instid1(VALU_DEP_1)
	v_add_nc_u64_e32 v[6:7], v[0:1], v[6:7]
	v_add_nc_u64_e32 v[6:7], -1, v[6:7]
; %bb.7693:                             ;   in Loop: Header=BB6_7462 Depth=2
	s_or_b32 exec_lo, exec_lo, s29
	v_add_nc_u32_e32 v1, 0xffffff81, v9
	v_lshrrev_b32_e32 v4, 23, v0
	s_mov_b32 s10, exec_lo
	s_delay_alu instid0(VALU_DEP_2) | instskip(NEXT) | instid1(VALU_DEP_1)
	v_cndmask_b32_e64 v1, v1, 0xffffff82, s7
	v_add3_u32 v7, v32, v1, v4
	v_and_b32_e32 v1, 0x1fffff, v6
                                        ; implicit-def: $vgpr6
	s_delay_alu instid0(VALU_DEP_1) | instskip(NEXT) | instid1(VALU_DEP_1)
	v_dual_add_nc_u32 v9, 14, v7 :: v_dual_add_nc_u32 v4, v1, v0
                                        ; implicit-def: $vgpr0_vgpr1
	v_cmpx_ne_u32_e32 0, v9
	s_xor_b32 s10, exec_lo, s10
; %bb.7694:                             ;   in Loop: Header=BB6_7462 Depth=2
	s_delay_alu instid0(VALU_DEP_2) | instskip(SKIP_1) | instid1(VALU_DEP_1)
	v_cmp_lt_u64_e64 s7, 0xffffff, v[4:5]
	v_add_nc_u32_e32 v0, 15, v7
	v_cndmask_b32_e64 v6, v9, v0, s7
	v_cndmask_b32_e64 v0, 0, 1, s7
	s_delay_alu instid0(VALU_DEP_1)
	v_lshrrev_b64 v[0:1], v0, v[4:5]
; %bb.7695:                             ;   in Loop: Header=BB6_7462 Depth=2
	s_and_not1_saveexec_b32 s7, s10
; %bb.7696:                             ;   in Loop: Header=BB6_7462 Depth=2
	v_mov_b64_e32 v[0:1], v[4:5]
	v_bfe_u32 v6, v4, 23, 1
; %bb.7697:                             ;   in Loop: Header=BB6_7462 Depth=2
	s_or_b32 exec_lo, exec_lo, s7
	s_delay_alu instid0(VALU_DEP_2) | instskip(NEXT) | instid1(VALU_DEP_2)
	v_lshrrev_b64 v[0:1], 21, v[0:1]
	v_cmp_gt_i32_e64 s7, 32, v6
	v_min_i32_e32 v4, 31, v6
	v_cmp_eq_u32_e64 s10, 0, v6
	s_delay_alu instid0(VALU_DEP_2) | instskip(SKIP_1) | instid1(VALU_DEP_2)
	v_dual_cndmask_b32 v1, 0, v1, s7 :: v_dual_lshlrev_b32 v4, 2, v4
	v_cndmask_b32_e64 v0, 3, v0, s7
	v_and_b32_e32 v4, 0xfc, v4
	s_delay_alu instid0(VALU_DEP_2) | instskip(NEXT) | instid1(VALU_DEP_2)
	v_cmp_eq_u64_e64 s7, 0, v[0:1]
	v_and_or_b32 v0, v0, 3, v4
	s_and_b32 s7, s10, s7
	s_delay_alu instid0(VALU_DEP_1) | instid1(SALU_CYCLE_1)
	v_cndmask_b32_e64 v0, v0, 0, s7
	s_delay_alu instid0(VALU_DEP_1)
	v_or_b32_e32 v32, v0, v8
.LBB6_7698:                             ;   in Loop: Header=BB6_7462 Depth=2
	s_or_b32 exec_lo, exec_lo, s28
                                        ; implicit-def: $vgpr8
.LBB6_7699:                             ;   in Loop: Header=BB6_7462 Depth=2
	s_and_not1_saveexec_b32 s7, s27
; %bb.7700:                             ;   in Loop: Header=BB6_7462 Depth=2
	v_or_b32_e32 v32, 0x7b, v8
; %bb.7701:                             ;   in Loop: Header=BB6_7462 Depth=2
	s_or_b32 exec_lo, exec_lo, s7
                                        ; implicit-def: $vgpr0
                                        ; implicit-def: $vgpr1
.LBB6_7702:                             ;   in Loop: Header=BB6_7462 Depth=2
	s_and_not1_saveexec_b32 s10, s26
	s_cbranch_execz .LBB6_7708
; %bb.7703:                             ;   in Loop: Header=BB6_7462 Depth=2
	v_cmp_ne_u64_e64 s7, 0, v[4:5]
                                        ; implicit-def: $vgpr32
	s_and_saveexec_b32 s26, s7
	s_delay_alu instid0(SALU_CYCLE_1)
	s_xor_b32 s7, exec_lo, s26
; %bb.7704:                             ;   in Loop: Header=BB6_7462 Depth=2
	v_or_b32_e32 v32, 0x7f, v1
                                        ; implicit-def: $vgpr0
; %bb.7705:                             ;   in Loop: Header=BB6_7462 Depth=2
	s_and_not1_saveexec_b32 s26, s7
; %bb.7706:                             ;   in Loop: Header=BB6_7462 Depth=2
	v_cmp_lt_i32_e64 s7, -1, v0
	s_delay_alu instid0(VALU_DEP_1)
	v_cndmask_b32_e64 v32, 0xfc, v104, s7
; %bb.7707:                             ;   in Loop: Header=BB6_7462 Depth=2
	s_or_b32 exec_lo, exec_lo, s26
.LBB6_7708:                             ;   in Loop: Header=BB6_7462 Depth=2
	s_delay_alu instid0(SALU_CYCLE_1)
	s_or_b32 exec_lo, exec_lo, s10
	v_mov_b32_e32 v1, 0
	s_mov_b32 s10, exec_lo
	v_cmpx_lt_u64_e64 s[12:13], v[14:15]
	s_cbranch_execz .LBB6_7718
; %bb.7709:                             ;   in Loop: Header=BB6_7462 Depth=2
	v_lshrrev_b32_e32 v0, 24, v15
	v_bfrev_b32_e32 v1, 1
	s_mov_b32 s26, exec_lo
	s_delay_alu instid0(VALU_DEP_2)
	v_cmpx_ne_u32_e32 0x80, v0
	s_cbranch_execz .LBB6_7717
; %bb.7710:                             ;   in Loop: Header=BB6_7462 Depth=2
	v_and_b32_e32 v1, 0x7c000000, v15
	v_bfe_u32 v4, v15, 24, 2
	s_delay_alu instid0(VALU_DEP_2) | instskip(SKIP_1) | instid1(SALU_CYCLE_1)
	v_cmp_ne_u32_e64 s7, 0x7c000000, v1
                                        ; implicit-def: $vgpr1
	s_and_saveexec_b32 s27, s7
	s_xor_b32 s27, exec_lo, s27
	s_cbranch_execz .LBB6_7714
; %bb.7711:                             ;   in Loop: Header=BB6_7462 Depth=2
	v_bfe_u32 v1, v15, 26, 5
	s_mov_b32 s28, exec_lo
	s_delay_alu instid0(VALU_DEP_1)
	v_cmpx_eq_u32_e32 0, v1
; %bb.7712:                             ;   in Loop: Header=BB6_7462 Depth=2
	v_clz_i32_u32_e32 v1, v4
	s_delay_alu instid0(VALU_DEP_1) | instskip(NEXT) | instid1(VALU_DEP_1)
	v_min_u32_e32 v4, 32, v1
	v_subrev_nc_u32_e32 v1, 29, v4
	s_delay_alu instid0(VALU_DEP_1) | instskip(SKIP_1) | instid1(VALU_DEP_2)
	v_lshlrev_b64_e32 v[0:1], v1, v[0:1]
	v_sub_nc_u32_e32 v1, 30, v4
	v_and_b32_e32 v4, 3, v0
; %bb.7713:                             ;   in Loop: Header=BB6_7462 Depth=2
	s_or_b32 exec_lo, exec_lo, s28
	v_and_b32_e32 v0, 0x80000000, v15
	s_delay_alu instid0(VALU_DEP_1) | instskip(NEXT) | instid1(VALU_DEP_1)
	v_lshl_add_u32 v0, v1, 23, v0
	v_lshl_or_b32 v0, v4, 21, v0
                                        ; implicit-def: $vgpr4
	s_delay_alu instid0(VALU_DEP_1)
	v_add_nc_u32_e32 v1, 0x38000000, v0
.LBB6_7714:                             ;   in Loop: Header=BB6_7462 Depth=2
	s_and_not1_saveexec_b32 s27, s27
; %bb.7715:                             ;   in Loop: Header=BB6_7462 Depth=2
	v_cmp_lt_i64_e64 s7, -1, v[14:15]
	s_delay_alu instid0(VALU_DEP_1) | instskip(SKIP_1) | instid1(VALU_DEP_1)
	v_cndmask_b32_e64 v0, 0xff800000, v105, s7
	v_cmp_eq_u32_e64 s7, 0, v4
	v_cndmask_b32_e64 v1, 0x7f800001, v0, s7
; %bb.7716:                             ;   in Loop: Header=BB6_7462 Depth=2
	s_or_b32 exec_lo, exec_lo, s27
.LBB6_7717:                             ;   in Loop: Header=BB6_7462 Depth=2
	s_delay_alu instid0(SALU_CYCLE_1)
	s_or_b32 exec_lo, exec_lo, s26
.LBB6_7718:                             ;   in Loop: Header=BB6_7462 Depth=2
	s_delay_alu instid0(SALU_CYCLE_1) | instskip(SKIP_3) | instid1(VALU_DEP_2)
	s_or_b32 exec_lo, exec_lo, s10
	v_bfe_u32 v4, v11, 24, 2
	v_bfe_u32 v9, v11, 26, 5
	s_mov_b32 s10, exec_lo
	v_clz_i32_u32_e32 v0, v4
	s_delay_alu instid0(VALU_DEP_2) | instskip(NEXT) | instid1(VALU_DEP_2)
	v_cmp_eq_u32_e64 s7, 0, v9
	v_min_u32_e32 v8, 32, v0
	v_lshrrev_b32_e32 v0, 24, v11
	s_delay_alu instid0(VALU_DEP_2) | instskip(NEXT) | instid1(VALU_DEP_1)
	v_subrev_nc_u32_e32 v6, 29, v8
	v_lshlrev_b64_e32 v[6:7], v6, v[0:1]
	v_sub_nc_u32_e32 v7, 30, v8
	v_and_b32_e32 v8, 0x80000000, v11
	s_delay_alu instid0(VALU_DEP_2) | instskip(NEXT) | instid1(VALU_DEP_1)
	v_dual_cndmask_b32 v7, v9, v7, s7 :: v_dual_bitop2_b32 v6, 3, v6 bitop3:0x40
	v_lshl_add_u32 v7, v7, 23, v8
	s_delay_alu instid0(VALU_DEP_2) | instskip(SKIP_1) | instid1(VALU_DEP_2)
	v_cndmask_b32_e64 v6, v4, v6, s7
	v_cmp_lt_i64_e64 s7, -1, v[10:11]
	v_lshl_or_b32 v6, v6, 21, v7
	v_and_b32_e32 v7, 0x7c000000, v11
	s_delay_alu instid0(VALU_DEP_3) | instskip(SKIP_1) | instid1(VALU_DEP_4)
	v_cndmask_b32_e64 v8, 0xff800000, v105, s7
	v_cmp_eq_u32_e64 s7, 0, v4
	v_add_nc_u32_e32 v6, 0x38000000, v6
	s_delay_alu instid0(VALU_DEP_2) | instskip(SKIP_1) | instid1(VALU_DEP_1)
	v_cndmask_b32_e64 v4, 0x7f800001, v8, s7
	v_cmp_eq_u32_e64 s7, 0x7c000000, v7
	v_dual_mov_b32 v7, v5 :: v_dual_cndmask_b32 v4, v6, v4, s7
	v_cmp_ne_u32_e64 s7, 0x80, v0
	s_delay_alu instid0(VALU_DEP_1) | instskip(SKIP_1) | instid1(VALU_DEP_1)
	v_cndmask_b32_e64 v0, 0x80000000, v4, s7
	v_cmp_lt_u64_e64 s7, s[12:13], v[10:11]
                                        ; implicit-def: $vgpr10
	v_cndmask_b32_e64 v0, 0, v0, s7
	s_delay_alu instid0(VALU_DEP_1) | instskip(NEXT) | instid1(VALU_DEP_1)
	v_mul_f32_e32 v0, v0, v1
	v_and_b32_e32 v6, 0x7f800000, v0
	v_and_b32_e32 v4, 0x7fffff, v0
	v_lshrrev_b32_e32 v1, 24, v0
	s_delay_alu instid0(VALU_DEP_3)
	v_cmpx_ne_u64_e32 0x7f800000, v[6:7]
	s_xor_b32 s26, exec_lo, s10
	s_cbranch_execz .LBB6_7732
; %bb.7719:                             ;   in Loop: Header=BB6_7462 Depth=2
	v_and_b32_e32 v6, 0x7fffffff, v0
	v_mov_b32_e32 v7, v5
	v_and_b32_e32 v8, 0x80, v1
                                        ; implicit-def: $vgpr10
	s_mov_b32 s10, exec_lo
	s_delay_alu instid0(VALU_DEP_2)
	v_cmpx_gt_u64_e32 0x47600001, v[6:7]
	s_xor_b32 s27, exec_lo, s10
	s_cbranch_execz .LBB6_7729
; %bb.7720:                             ;   in Loop: Header=BB6_7462 Depth=2
	v_mov_b32_e32 v10, 0
	s_mov_b32 s28, exec_lo
	v_cmpx_ne_u32_e32 0, v0
	s_cbranch_execz .LBB6_7728
; %bb.7721:                             ;   in Loop: Header=BB6_7462 Depth=2
	v_bfe_u32 v9, v0, 23, 8
	v_or_b32_e32 v6, 0x800000, v4
	s_mov_b32 s29, exec_lo
	s_delay_alu instid0(VALU_DEP_2) | instskip(SKIP_1) | instid1(VALU_DEP_1)
	v_dual_mov_b32 v7, v5 :: v_dual_sub_nc_u32 v0, 0x71, v9
	v_cmp_gt_u32_e64 s7, 0x72, v9
	v_cndmask_b32_e64 v0, 0, v0, s7
	v_cmp_eq_u32_e64 s7, 0, v9
	s_delay_alu instid0(VALU_DEP_1) | instskip(NEXT) | instid1(VALU_DEP_1)
	v_cndmask_b32_e64 v10, v0, 0x70, s7
	v_dual_cndmask_b32 v6, v6, v4, s7 :: v_dual_add_nc_u32 v0, 21, v10
	v_add_nc_u32_e32 v11, 20, v10
	s_delay_alu instid0(VALU_DEP_2) | instskip(NEXT) | instid1(VALU_DEP_2)
	v_lshlrev_b64_e64 v[0:1], v0, -1
	v_lshlrev_b64_e64 v[14:15], v11, 1
	s_delay_alu instid0(VALU_DEP_2) | instskip(NEXT) | instid1(VALU_DEP_3)
	v_bfi_b32 v35, v1, 0, 0
	v_bfi_b32 v34, v0, 0, v6
	v_lshrrev_b64 v[0:1], v10, v[6:7]
	s_delay_alu instid0(VALU_DEP_1) | instskip(NEXT) | instid1(VALU_DEP_3)
	v_mov_b64_e32 v[6:7], v[0:1]
	v_cmpx_eq_u64_e64 v[34:35], v[14:15]
; %bb.7722:                             ;   in Loop: Header=BB6_7462 Depth=2
	v_bfe_u32 v6, v0, 21, 1
	v_mov_b32_e32 v7, v5
	s_delay_alu instid0(VALU_DEP_1) | instskip(NEXT) | instid1(VALU_DEP_1)
	v_add_nc_u64_e32 v[6:7], v[0:1], v[6:7]
	v_add_nc_u64_e32 v[6:7], -1, v[6:7]
; %bb.7723:                             ;   in Loop: Header=BB6_7462 Depth=2
	s_or_b32 exec_lo, exec_lo, s29
	v_add_nc_u32_e32 v1, 0xffffff81, v9
	v_lshrrev_b32_e32 v4, 23, v0
	s_mov_b32 s10, exec_lo
	s_delay_alu instid0(VALU_DEP_2) | instskip(NEXT) | instid1(VALU_DEP_1)
	v_cndmask_b32_e64 v1, v1, 0xffffff82, s7
	v_add3_u32 v7, v10, v1, v4
	v_and_b32_e32 v1, 0x1fffff, v6
                                        ; implicit-def: $vgpr6
	s_delay_alu instid0(VALU_DEP_1) | instskip(NEXT) | instid1(VALU_DEP_1)
	v_dual_add_nc_u32 v9, 14, v7 :: v_dual_add_nc_u32 v4, v1, v0
                                        ; implicit-def: $vgpr0_vgpr1
	v_cmpx_ne_u32_e32 0, v9
	s_xor_b32 s10, exec_lo, s10
; %bb.7724:                             ;   in Loop: Header=BB6_7462 Depth=2
	s_delay_alu instid0(VALU_DEP_2) | instskip(SKIP_1) | instid1(VALU_DEP_1)
	v_cmp_lt_u64_e64 s7, 0xffffff, v[4:5]
	v_add_nc_u32_e32 v0, 15, v7
	v_cndmask_b32_e64 v6, v9, v0, s7
	v_cndmask_b32_e64 v0, 0, 1, s7
	s_delay_alu instid0(VALU_DEP_1)
	v_lshrrev_b64 v[0:1], v0, v[4:5]
; %bb.7725:                             ;   in Loop: Header=BB6_7462 Depth=2
	s_and_not1_saveexec_b32 s7, s10
; %bb.7726:                             ;   in Loop: Header=BB6_7462 Depth=2
	v_mov_b64_e32 v[0:1], v[4:5]
	v_bfe_u32 v6, v4, 23, 1
; %bb.7727:                             ;   in Loop: Header=BB6_7462 Depth=2
	s_or_b32 exec_lo, exec_lo, s7
	s_delay_alu instid0(VALU_DEP_2) | instskip(NEXT) | instid1(VALU_DEP_2)
	v_lshrrev_b64 v[0:1], 21, v[0:1]
	v_cmp_gt_i32_e64 s7, 32, v6
	v_min_i32_e32 v4, 31, v6
	v_cmp_eq_u32_e64 s10, 0, v6
	s_delay_alu instid0(VALU_DEP_2) | instskip(SKIP_1) | instid1(VALU_DEP_2)
	v_dual_cndmask_b32 v1, 0, v1, s7 :: v_dual_lshlrev_b32 v4, 2, v4
	v_cndmask_b32_e64 v0, 3, v0, s7
	v_and_b32_e32 v4, 0xfc, v4
	s_delay_alu instid0(VALU_DEP_2) | instskip(NEXT) | instid1(VALU_DEP_2)
	v_cmp_eq_u64_e64 s7, 0, v[0:1]
	v_and_or_b32 v0, v0, 3, v4
	s_and_b32 s7, s10, s7
	s_delay_alu instid0(VALU_DEP_1) | instid1(SALU_CYCLE_1)
	v_cndmask_b32_e64 v0, v0, 0, s7
	s_delay_alu instid0(VALU_DEP_1)
	v_or_b32_e32 v10, v0, v8
.LBB6_7728:                             ;   in Loop: Header=BB6_7462 Depth=2
	s_or_b32 exec_lo, exec_lo, s28
                                        ; implicit-def: $vgpr8
.LBB6_7729:                             ;   in Loop: Header=BB6_7462 Depth=2
	s_and_not1_saveexec_b32 s7, s27
; %bb.7730:                             ;   in Loop: Header=BB6_7462 Depth=2
	v_or_b32_e32 v10, 0x7b, v8
; %bb.7731:                             ;   in Loop: Header=BB6_7462 Depth=2
	s_or_b32 exec_lo, exec_lo, s7
                                        ; implicit-def: $vgpr0
                                        ; implicit-def: $vgpr1
.LBB6_7732:                             ;   in Loop: Header=BB6_7462 Depth=2
	s_and_not1_saveexec_b32 s10, s26
	s_cbranch_execz .LBB6_7738
; %bb.7733:                             ;   in Loop: Header=BB6_7462 Depth=2
	v_cmp_ne_u64_e64 s7, 0, v[4:5]
                                        ; implicit-def: $vgpr10
	s_and_saveexec_b32 s26, s7
	s_delay_alu instid0(SALU_CYCLE_1)
	s_xor_b32 s7, exec_lo, s26
; %bb.7734:                             ;   in Loop: Header=BB6_7462 Depth=2
	v_or_b32_e32 v10, 0x7f, v1
                                        ; implicit-def: $vgpr0
; %bb.7735:                             ;   in Loop: Header=BB6_7462 Depth=2
	s_and_not1_saveexec_b32 s26, s7
; %bb.7736:                             ;   in Loop: Header=BB6_7462 Depth=2
	v_cmp_lt_i32_e64 s7, -1, v0
	s_delay_alu instid0(VALU_DEP_1)
	v_cndmask_b32_e64 v10, 0xfc, v104, s7
; %bb.7737:                             ;   in Loop: Header=BB6_7462 Depth=2
	s_or_b32 exec_lo, exec_lo, s26
.LBB6_7738:                             ;   in Loop: Header=BB6_7462 Depth=2
	s_delay_alu instid0(SALU_CYCLE_1) | instskip(SKIP_1) | instid1(VALU_DEP_1)
	s_or_b32 exec_lo, exec_lo, s10
	v_and_b32_e32 v0, 0xff, v16
	v_cmp_ne_u16_e64 s7, 0, v0
	v_mov_b32_e32 v0, 0
	s_and_saveexec_b32 s10, s7
	s_cbranch_execz .LBB6_7748
; %bb.7739:                             ;   in Loop: Header=BB6_7462 Depth=2
	v_bfe_i32 v4, v16, 0, 8
	v_bfrev_b32_e32 v0, 1
	s_mov_b32 s26, exec_lo
	s_delay_alu instid0(VALU_DEP_2)
	v_cmpx_ne_u16_e32 0xff80, v4
	s_cbranch_execz .LBB6_7747
; %bb.7740:                             ;   in Loop: Header=BB6_7462 Depth=2
	v_and_b32_e32 v0, 0x7c, v16
	v_and_b32_e32 v1, 3, v16
	s_delay_alu instid0(VALU_DEP_2) | instskip(SKIP_1) | instid1(SALU_CYCLE_1)
	v_cmp_ne_u32_e64 s7, 0x7c, v0
                                        ; implicit-def: $vgpr0
	s_and_saveexec_b32 s27, s7
	s_xor_b32 s27, exec_lo, s27
	s_cbranch_execz .LBB6_7744
; %bb.7741:                             ;   in Loop: Header=BB6_7462 Depth=2
	v_bfe_u32 v0, v16, 2, 5
	s_mov_b32 s28, exec_lo
	s_delay_alu instid0(VALU_DEP_1)
	v_cmpx_eq_u32_e32 0, v0
; %bb.7742:                             ;   in Loop: Header=BB6_7462 Depth=2
	v_clz_i32_u32_e32 v0, v1
	s_delay_alu instid0(VALU_DEP_1) | instskip(NEXT) | instid1(VALU_DEP_1)
	v_min_u32_e32 v0, 32, v0
	v_subrev_nc_u32_e32 v1, 29, v0
	s_delay_alu instid0(VALU_DEP_1) | instskip(NEXT) | instid1(VALU_DEP_1)
	v_lshlrev_b64_e32 v[6:7], v1, v[16:17]
	v_dual_sub_nc_u32 v0, 30, v0 :: v_dual_bitop2_b32 v1, 3, v6 bitop3:0x40
; %bb.7743:                             ;   in Loop: Header=BB6_7462 Depth=2
	s_or_b32 exec_lo, exec_lo, s28
	v_lshlrev_b32_e32 v4, 24, v16
	s_delay_alu instid0(VALU_DEP_1) | instskip(NEXT) | instid1(VALU_DEP_1)
	v_and_b32_e32 v4, 0x80000000, v4
	v_lshl_add_u32 v0, v0, 23, v4
                                        ; implicit-def: $vgpr4
	s_delay_alu instid0(VALU_DEP_1) | instskip(NEXT) | instid1(VALU_DEP_1)
	v_lshl_or_b32 v0, v1, 21, v0
                                        ; implicit-def: $vgpr1
	v_add_nc_u32_e32 v0, 0x38000000, v0
.LBB6_7744:                             ;   in Loop: Header=BB6_7462 Depth=2
	s_and_not1_saveexec_b32 s27, s27
; %bb.7745:                             ;   in Loop: Header=BB6_7462 Depth=2
	v_cmp_lt_i16_e64 s7, -1, v4
	s_delay_alu instid0(VALU_DEP_1) | instskip(SKIP_1) | instid1(VALU_DEP_1)
	v_cndmask_b32_e64 v0, 0xff800000, v105, s7
	v_cmp_eq_u32_e64 s7, 0, v1
	v_cndmask_b32_e64 v0, 0x7f800001, v0, s7
; %bb.7746:                             ;   in Loop: Header=BB6_7462 Depth=2
	s_or_b32 exec_lo, exec_lo, s27
.LBB6_7747:                             ;   in Loop: Header=BB6_7462 Depth=2
	s_delay_alu instid0(SALU_CYCLE_1)
	s_or_b32 exec_lo, exec_lo, s26
.LBB6_7748:                             ;   in Loop: Header=BB6_7462 Depth=2
	s_delay_alu instid0(SALU_CYCLE_1) | instskip(SKIP_3) | instid1(VALU_DEP_1)
	s_or_b32 exec_lo, exec_lo, s10
	v_and_b32_e32 v4, 0xff, v12
	s_mov_b32 s26, 0
	s_mov_b32 s10, exec_lo
	v_cmpx_lt_i16_e32 0x7f, v4
	s_xor_b32 s10, exec_lo, s10
	s_cbranch_execz .LBB6_8025
; %bb.7749:                             ;   in Loop: Header=BB6_7462 Depth=2
	s_mov_b32 s26, -1
	s_mov_b32 s27, exec_lo
	v_cmpx_eq_u16_e32 0x80, v4
; %bb.7750:                             ;   in Loop: Header=BB6_7462 Depth=2
	s_xor_b32 s26, exec_lo, -1
; %bb.7751:                             ;   in Loop: Header=BB6_7462 Depth=2
	s_or_b32 exec_lo, exec_lo, s27
	s_delay_alu instid0(SALU_CYCLE_1)
	s_and_b32 s26, s26, exec_lo
                                        ; implicit-def: $vgpr4
	s_or_saveexec_b32 s10, s10
	v_bfrev_b32_e32 v1, 1
	s_xor_b32 exec_lo, exec_lo, s10
	s_cbranch_execnz .LBB6_8026
.LBB6_7752:                             ;   in Loop: Header=BB6_7462 Depth=2
	s_or_b32 exec_lo, exec_lo, s10
	s_and_saveexec_b32 s10, s26
	s_cbranch_execz .LBB6_7754
.LBB6_7753:                             ;   in Loop: Header=BB6_7462 Depth=2
	v_and_b32_e32 v1, 3, v12
	v_bfe_u32 v8, v12, 2, 5
	s_delay_alu instid0(VALU_DEP_2) | instskip(NEXT) | instid1(VALU_DEP_2)
	v_clz_i32_u32_e32 v4, v1
	v_cmp_eq_u32_e64 s7, 0, v8
	s_delay_alu instid0(VALU_DEP_2) | instskip(NEXT) | instid1(VALU_DEP_1)
	v_min_u32_e32 v4, 32, v4
	v_subrev_nc_u32_e32 v6, 29, v4
	s_delay_alu instid0(VALU_DEP_1) | instskip(SKIP_2) | instid1(VALU_DEP_2)
	v_lshlrev_b64_e32 v[6:7], v6, v[12:13]
	v_lshlrev_b32_e32 v7, 24, v12
	v_sub_nc_u32_e32 v4, 30, v4
	v_and_b32_e32 v7, 0x80000000, v7
	s_delay_alu instid0(VALU_DEP_2) | instskip(SKIP_1) | instid1(VALU_DEP_2)
	v_dual_cndmask_b32 v4, v8, v4, s7 :: v_dual_bitop2_b32 v6, 3, v6 bitop3:0x40
	v_bfe_i32 v8, v12, 0, 8
	v_cndmask_b32_e64 v6, v1, v6, s7
	s_delay_alu instid0(VALU_DEP_3) | instskip(NEXT) | instid1(VALU_DEP_3)
	v_lshl_add_u32 v4, v4, 23, v7
	v_cmp_lt_i16_e64 s7, -1, v8
	s_delay_alu instid0(VALU_DEP_2) | instskip(NEXT) | instid1(VALU_DEP_2)
	v_lshl_or_b32 v4, v6, 21, v4
	v_cndmask_b32_e64 v7, 0xff800000, v105, s7
	v_and_b32_e32 v6, 0x7c, v12
	v_cmp_eq_u32_e64 s7, 0, v1
	s_delay_alu instid0(VALU_DEP_4) | instskip(NEXT) | instid1(VALU_DEP_2)
	v_add_nc_u32_e32 v4, 0x38000000, v4
	v_cndmask_b32_e64 v1, 0x7f800001, v7, s7
	s_delay_alu instid0(VALU_DEP_4) | instskip(NEXT) | instid1(VALU_DEP_1)
	v_cmp_eq_u32_e64 s7, 0x7c, v6
	v_cndmask_b32_e64 v1, v4, v1, s7
.LBB6_7754:                             ;   in Loop: Header=BB6_7462 Depth=2
	s_or_b32 exec_lo, exec_lo, s10
	s_delay_alu instid0(VALU_DEP_1) | instskip(SKIP_1) | instid1(VALU_DEP_1)
	v_dual_mul_f32 v0, v0, v1 :: v_dual_mov_b32 v7, v5
                                        ; implicit-def: $vgpr11
	s_mov_b32 s10, exec_lo
	v_and_b32_e32 v6, 0x7f800000, v0
	v_and_b32_e32 v4, 0x7fffff, v0
	v_lshrrev_b32_e32 v1, 24, v0
	s_delay_alu instid0(VALU_DEP_3)
	v_cmpx_ne_u64_e32 0x7f800000, v[6:7]
	s_xor_b32 s26, exec_lo, s10
	s_cbranch_execz .LBB6_7768
; %bb.7755:                             ;   in Loop: Header=BB6_7462 Depth=2
	v_and_b32_e32 v6, 0x7fffffff, v0
	v_mov_b32_e32 v7, v5
	v_and_b32_e32 v8, 0x80, v1
                                        ; implicit-def: $vgpr11
	s_mov_b32 s10, exec_lo
	s_delay_alu instid0(VALU_DEP_2)
	v_cmpx_gt_u64_e32 0x47600001, v[6:7]
	s_xor_b32 s27, exec_lo, s10
	s_cbranch_execz .LBB6_7765
; %bb.7756:                             ;   in Loop: Header=BB6_7462 Depth=2
	v_mov_b32_e32 v11, 0
	s_mov_b32 s28, exec_lo
	v_cmpx_ne_u32_e32 0, v0
	s_cbranch_execz .LBB6_7764
; %bb.7757:                             ;   in Loop: Header=BB6_7462 Depth=2
	v_bfe_u32 v9, v0, 23, 8
	v_or_b32_e32 v6, 0x800000, v4
	s_mov_b32 s29, exec_lo
	s_delay_alu instid0(VALU_DEP_2) | instskip(SKIP_1) | instid1(VALU_DEP_1)
	v_dual_mov_b32 v7, v5 :: v_dual_sub_nc_u32 v0, 0x71, v9
	v_cmp_gt_u32_e64 s7, 0x72, v9
	v_cndmask_b32_e64 v0, 0, v0, s7
	v_cmp_eq_u32_e64 s7, 0, v9
	s_delay_alu instid0(VALU_DEP_1) | instskip(NEXT) | instid1(VALU_DEP_1)
	v_cndmask_b32_e64 v11, v0, 0x70, s7
	v_dual_cndmask_b32 v6, v6, v4, s7 :: v_dual_add_nc_u32 v0, 21, v11
	v_add_nc_u32_e32 v14, 20, v11
	s_delay_alu instid0(VALU_DEP_2) | instskip(NEXT) | instid1(VALU_DEP_2)
	v_lshlrev_b64_e64 v[0:1], v0, -1
	v_lshlrev_b64_e64 v[14:15], v14, 1
	s_delay_alu instid0(VALU_DEP_2) | instskip(NEXT) | instid1(VALU_DEP_3)
	v_bfi_b32 v35, v1, 0, 0
	v_bfi_b32 v34, v0, 0, v6
	v_lshrrev_b64 v[0:1], v11, v[6:7]
	s_delay_alu instid0(VALU_DEP_1) | instskip(NEXT) | instid1(VALU_DEP_3)
	v_mov_b64_e32 v[6:7], v[0:1]
	v_cmpx_eq_u64_e64 v[34:35], v[14:15]
; %bb.7758:                             ;   in Loop: Header=BB6_7462 Depth=2
	v_bfe_u32 v6, v0, 21, 1
	v_mov_b32_e32 v7, v5
	s_delay_alu instid0(VALU_DEP_1) | instskip(NEXT) | instid1(VALU_DEP_1)
	v_add_nc_u64_e32 v[6:7], v[0:1], v[6:7]
	v_add_nc_u64_e32 v[6:7], -1, v[6:7]
; %bb.7759:                             ;   in Loop: Header=BB6_7462 Depth=2
	s_or_b32 exec_lo, exec_lo, s29
	v_add_nc_u32_e32 v1, 0xffffff81, v9
	v_lshrrev_b32_e32 v4, 23, v0
	s_mov_b32 s10, exec_lo
	s_delay_alu instid0(VALU_DEP_2) | instskip(NEXT) | instid1(VALU_DEP_1)
	v_cndmask_b32_e64 v1, v1, 0xffffff82, s7
	v_add3_u32 v7, v11, v1, v4
	v_and_b32_e32 v1, 0x1fffff, v6
                                        ; implicit-def: $vgpr6
	s_delay_alu instid0(VALU_DEP_1) | instskip(NEXT) | instid1(VALU_DEP_1)
	v_dual_add_nc_u32 v9, 14, v7 :: v_dual_add_nc_u32 v4, v1, v0
                                        ; implicit-def: $vgpr0_vgpr1
	v_cmpx_ne_u32_e32 0, v9
	s_xor_b32 s10, exec_lo, s10
; %bb.7760:                             ;   in Loop: Header=BB6_7462 Depth=2
	s_delay_alu instid0(VALU_DEP_2) | instskip(SKIP_1) | instid1(VALU_DEP_1)
	v_cmp_lt_u64_e64 s7, 0xffffff, v[4:5]
	v_add_nc_u32_e32 v0, 15, v7
	v_cndmask_b32_e64 v6, v9, v0, s7
	v_cndmask_b32_e64 v0, 0, 1, s7
	s_delay_alu instid0(VALU_DEP_1)
	v_lshrrev_b64 v[0:1], v0, v[4:5]
; %bb.7761:                             ;   in Loop: Header=BB6_7462 Depth=2
	s_and_not1_saveexec_b32 s7, s10
; %bb.7762:                             ;   in Loop: Header=BB6_7462 Depth=2
	v_mov_b64_e32 v[0:1], v[4:5]
	v_bfe_u32 v6, v4, 23, 1
; %bb.7763:                             ;   in Loop: Header=BB6_7462 Depth=2
	s_or_b32 exec_lo, exec_lo, s7
	s_delay_alu instid0(VALU_DEP_2) | instskip(NEXT) | instid1(VALU_DEP_2)
	v_lshrrev_b64 v[0:1], 21, v[0:1]
	v_cmp_gt_i32_e64 s7, 32, v6
	v_min_i32_e32 v4, 31, v6
	v_cmp_eq_u32_e64 s10, 0, v6
	s_delay_alu instid0(VALU_DEP_2) | instskip(SKIP_1) | instid1(VALU_DEP_2)
	v_dual_cndmask_b32 v1, 0, v1, s7 :: v_dual_lshlrev_b32 v4, 2, v4
	v_cndmask_b32_e64 v0, 3, v0, s7
	v_and_b32_e32 v4, 0xfc, v4
	s_delay_alu instid0(VALU_DEP_2) | instskip(NEXT) | instid1(VALU_DEP_2)
	v_cmp_eq_u64_e64 s7, 0, v[0:1]
	v_and_or_b32 v0, v0, 3, v4
	s_and_b32 s7, s10, s7
	s_delay_alu instid0(VALU_DEP_1) | instid1(SALU_CYCLE_1)
	v_cndmask_b32_e64 v0, v0, 0, s7
	s_delay_alu instid0(VALU_DEP_1)
	v_or_b32_e32 v11, v0, v8
.LBB6_7764:                             ;   in Loop: Header=BB6_7462 Depth=2
	s_or_b32 exec_lo, exec_lo, s28
                                        ; implicit-def: $vgpr8
.LBB6_7765:                             ;   in Loop: Header=BB6_7462 Depth=2
	s_and_not1_saveexec_b32 s7, s27
; %bb.7766:                             ;   in Loop: Header=BB6_7462 Depth=2
	v_or_b32_e32 v11, 0x7b, v8
; %bb.7767:                             ;   in Loop: Header=BB6_7462 Depth=2
	s_or_b32 exec_lo, exec_lo, s7
                                        ; implicit-def: $vgpr0
                                        ; implicit-def: $vgpr1
.LBB6_7768:                             ;   in Loop: Header=BB6_7462 Depth=2
	s_and_not1_saveexec_b32 s10, s26
	s_cbranch_execz .LBB6_7774
; %bb.7769:                             ;   in Loop: Header=BB6_7462 Depth=2
	v_cmp_ne_u64_e64 s7, 0, v[4:5]
                                        ; implicit-def: $vgpr11
	s_and_saveexec_b32 s26, s7
	s_delay_alu instid0(SALU_CYCLE_1)
	s_xor_b32 s7, exec_lo, s26
; %bb.7770:                             ;   in Loop: Header=BB6_7462 Depth=2
	v_or_b32_e32 v11, 0x7f, v1
                                        ; implicit-def: $vgpr0
; %bb.7771:                             ;   in Loop: Header=BB6_7462 Depth=2
	s_and_not1_saveexec_b32 s26, s7
; %bb.7772:                             ;   in Loop: Header=BB6_7462 Depth=2
	v_cmp_lt_i32_e64 s7, -1, v0
	s_delay_alu instid0(VALU_DEP_1)
	v_cndmask_b32_e64 v11, 0xfc, v104, s7
; %bb.7773:                             ;   in Loop: Header=BB6_7462 Depth=2
	s_or_b32 exec_lo, exec_lo, s26
.LBB6_7774:                             ;   in Loop: Header=BB6_7462 Depth=2
	s_delay_alu instid0(SALU_CYCLE_1) | instskip(SKIP_3) | instid1(VALU_DEP_2)
	s_or_b32 exec_lo, exec_lo, s10
	v_lshrrev_b16 v0, 8, v16
	v_mov_b32_e32 v4, 0
	s_mov_b32 s10, exec_lo
	v_cmpx_ne_u16_e32 0, v0
	s_cbranch_execz .LBB6_7784
; %bb.7775:                             ;   in Loop: Header=BB6_7462 Depth=2
	v_bfrev_b32_e32 v4, 1
	s_mov_b32 s26, exec_lo
	v_cmpx_ne_u16_e32 0x80, v0
	s_cbranch_execz .LBB6_7783
; %bb.7776:                             ;   in Loop: Header=BB6_7462 Depth=2
	v_and_b32_e32 v6, 0xffff, v0
	s_delay_alu instid0(VALU_DEP_1) | instskip(SKIP_1) | instid1(VALU_DEP_2)
	v_and_b32_e32 v4, 0x7c, v6
	v_and_b32_e32 v1, 3, v6
	v_cmp_ne_u32_e64 s7, 0x7c, v4
                                        ; implicit-def: $vgpr4
	s_and_saveexec_b32 s27, s7
	s_delay_alu instid0(SALU_CYCLE_1)
	s_xor_b32 s27, exec_lo, s27
	s_cbranch_execz .LBB6_7780
; %bb.7777:                             ;   in Loop: Header=BB6_7462 Depth=2
	v_bfe_u32 v4, v6, 2, 5
	s_mov_b32 s28, exec_lo
	s_delay_alu instid0(VALU_DEP_1)
	v_cmpx_eq_u32_e32 0, v4
	s_cbranch_execz .LBB6_7779
; %bb.7778:                             ;   in Loop: Header=BB6_7462 Depth=2
	v_clz_i32_u32_e32 v1, v1
	s_delay_alu instid0(VALU_DEP_1) | instskip(SKIP_1) | instid1(VALU_DEP_2)
	v_min_u32_e32 v4, 32, v1
	v_mov_b32_e32 v1, v5
	v_subrev_nc_u32_e32 v6, 29, v4
	v_sub_nc_u32_e32 v4, 30, v4
	s_delay_alu instid0(VALU_DEP_2) | instskip(NEXT) | instid1(VALU_DEP_1)
	v_lshlrev_b64_e32 v[0:1], v6, v[0:1]
	v_and_b32_e32 v1, 3, v0
.LBB6_7779:                             ;   in Loop: Header=BB6_7462 Depth=2
	s_or_b32 exec_lo, exec_lo, s28
	v_lshlrev_b32_e32 v0, 16, v16
	s_delay_alu instid0(VALU_DEP_1) | instskip(NEXT) | instid1(VALU_DEP_1)
	v_and_b32_e32 v0, 0x80000000, v0
	v_lshl_add_u32 v0, v4, 23, v0
	s_delay_alu instid0(VALU_DEP_1) | instskip(NEXT) | instid1(VALU_DEP_1)
	v_lshl_or_b32 v0, v1, 21, v0
                                        ; implicit-def: $vgpr1
	v_add_nc_u32_e32 v4, 0x38000000, v0
.LBB6_7780:                             ;   in Loop: Header=BB6_7462 Depth=2
	s_and_not1_saveexec_b32 s27, s27
; %bb.7781:                             ;   in Loop: Header=BB6_7462 Depth=2
	v_cmp_lt_i16_e64 s7, -1, v16
	s_delay_alu instid0(VALU_DEP_1) | instskip(SKIP_1) | instid1(VALU_DEP_1)
	v_cndmask_b32_e64 v0, 0xff800000, v105, s7
	v_cmp_eq_u32_e64 s7, 0, v1
	v_cndmask_b32_e64 v4, 0x7f800001, v0, s7
; %bb.7782:                             ;   in Loop: Header=BB6_7462 Depth=2
	s_or_b32 exec_lo, exec_lo, s27
.LBB6_7783:                             ;   in Loop: Header=BB6_7462 Depth=2
	s_delay_alu instid0(SALU_CYCLE_1)
	s_or_b32 exec_lo, exec_lo, s26
.LBB6_7784:                             ;   in Loop: Header=BB6_7462 Depth=2
	s_delay_alu instid0(SALU_CYCLE_1) | instskip(SKIP_3) | instid1(VALU_DEP_1)
	s_or_b32 exec_lo, exec_lo, s10
	v_lshrrev_b16 v0, 8, v12
	s_mov_b32 s26, 0
	s_mov_b32 s10, exec_lo
	v_cmpx_lt_i16_e32 0x7f, v0
	s_xor_b32 s10, exec_lo, s10
	s_cbranch_execz .LBB6_8027
; %bb.7785:                             ;   in Loop: Header=BB6_7462 Depth=2
	s_mov_b32 s26, -1
	s_mov_b32 s27, exec_lo
	v_cmpx_eq_u16_e32 0x80, v0
; %bb.7786:                             ;   in Loop: Header=BB6_7462 Depth=2
	s_xor_b32 s26, exec_lo, -1
; %bb.7787:                             ;   in Loop: Header=BB6_7462 Depth=2
	s_or_b32 exec_lo, exec_lo, s27
	s_delay_alu instid0(SALU_CYCLE_1)
	s_and_b32 s26, s26, exec_lo
	s_or_saveexec_b32 s10, s10
	v_bfrev_b32_e32 v1, 1
	s_xor_b32 exec_lo, exec_lo, s10
	s_cbranch_execnz .LBB6_8028
.LBB6_7788:                             ;   in Loop: Header=BB6_7462 Depth=2
	s_or_b32 exec_lo, exec_lo, s10
	s_and_saveexec_b32 s10, s26
	s_cbranch_execz .LBB6_7790
.LBB6_7789:                             ;   in Loop: Header=BB6_7462 Depth=2
	v_and_b32_e32 v8, 0xffff, v0
	s_delay_alu instid0(VALU_DEP_1) | instskip(NEXT) | instid1(VALU_DEP_1)
	v_and_b32_e32 v9, 3, v8
	v_clz_i32_u32_e32 v1, v9
	s_delay_alu instid0(VALU_DEP_1) | instskip(SKIP_1) | instid1(VALU_DEP_2)
	v_min_u32_e32 v14, 32, v1
	v_mov_b32_e32 v1, v5
	v_subrev_nc_u32_e32 v6, 29, v14
	s_delay_alu instid0(VALU_DEP_1) | instskip(SKIP_2) | instid1(VALU_DEP_2)
	v_lshlrev_b64_e32 v[6:7], v6, v[0:1]
	v_bfe_u32 v1, v8, 2, 5
	v_dual_lshlrev_b32 v0, 24, v0 :: v_dual_sub_nc_u32 v7, 30, v14
	v_cmp_eq_u32_e64 s7, 0, v1
	s_delay_alu instid0(VALU_DEP_2) | instskip(NEXT) | instid1(VALU_DEP_2)
	v_and_b32_e32 v0, 0x80000000, v0
	v_dual_cndmask_b32 v1, v1, v7, s7 :: v_dual_bitop2_b32 v6, 3, v6 bitop3:0x40
	s_delay_alu instid0(VALU_DEP_1) | instskip(SKIP_1) | instid1(VALU_DEP_3)
	v_cndmask_b32_e64 v6, v9, v6, s7
	v_cmp_lt_i16_e64 s7, -1, v12
	v_lshl_add_u32 v0, v1, 23, v0
	s_delay_alu instid0(VALU_DEP_2) | instskip(SKIP_1) | instid1(VALU_DEP_3)
	v_cndmask_b32_e64 v1, 0xff800000, v105, s7
	v_cmp_eq_u32_e64 s7, 0, v9
	v_lshl_or_b32 v0, v6, 21, v0
	v_and_b32_e32 v6, 0x7c, v8
	s_delay_alu instid0(VALU_DEP_3) | instskip(NEXT) | instid1(VALU_DEP_3)
	v_cndmask_b32_e64 v1, 0x7f800001, v1, s7
	v_add_nc_u32_e32 v0, 0x38000000, v0
	s_delay_alu instid0(VALU_DEP_3) | instskip(NEXT) | instid1(VALU_DEP_1)
	v_cmp_eq_u32_e64 s7, 0x7c, v6
	v_cndmask_b32_e64 v1, v0, v1, s7
.LBB6_7790:                             ;   in Loop: Header=BB6_7462 Depth=2
	s_or_b32 exec_lo, exec_lo, s10
	s_delay_alu instid0(VALU_DEP_1) | instskip(SKIP_1) | instid1(VALU_DEP_1)
	v_dual_mul_f32 v0, v4, v1 :: v_dual_mov_b32 v7, v5
                                        ; implicit-def: $vgpr14
	s_mov_b32 s10, exec_lo
	v_and_b32_e32 v6, 0x7f800000, v0
	v_and_b32_e32 v4, 0x7fffff, v0
	v_lshrrev_b32_e32 v1, 24, v0
	s_delay_alu instid0(VALU_DEP_3)
	v_cmpx_ne_u64_e32 0x7f800000, v[6:7]
	s_xor_b32 s26, exec_lo, s10
	s_cbranch_execz .LBB6_7804
; %bb.7791:                             ;   in Loop: Header=BB6_7462 Depth=2
	v_and_b32_e32 v6, 0x7fffffff, v0
	v_mov_b32_e32 v7, v5
	v_and_b32_e32 v8, 0x80, v1
                                        ; implicit-def: $vgpr14
	s_mov_b32 s10, exec_lo
	s_delay_alu instid0(VALU_DEP_2)
	v_cmpx_gt_u64_e32 0x47600001, v[6:7]
	s_xor_b32 s27, exec_lo, s10
	s_cbranch_execz .LBB6_7801
; %bb.7792:                             ;   in Loop: Header=BB6_7462 Depth=2
	v_mov_b32_e32 v14, 0
	s_mov_b32 s28, exec_lo
	v_cmpx_ne_u32_e32 0, v0
	s_cbranch_execz .LBB6_7800
; %bb.7793:                             ;   in Loop: Header=BB6_7462 Depth=2
	v_bfe_u32 v9, v0, 23, 8
	v_or_b32_e32 v6, 0x800000, v4
	s_mov_b32 s29, exec_lo
	s_delay_alu instid0(VALU_DEP_2) | instskip(SKIP_1) | instid1(VALU_DEP_1)
	v_dual_mov_b32 v7, v5 :: v_dual_sub_nc_u32 v0, 0x71, v9
	v_cmp_gt_u32_e64 s7, 0x72, v9
	v_cndmask_b32_e64 v0, 0, v0, s7
	v_cmp_eq_u32_e64 s7, 0, v9
	s_delay_alu instid0(VALU_DEP_1) | instskip(NEXT) | instid1(VALU_DEP_1)
	v_cndmask_b32_e64 v14, v0, 0x70, s7
	v_dual_cndmask_b32 v6, v6, v4, s7 :: v_dual_add_nc_u32 v0, 21, v14
	v_add_nc_u32_e32 v15, 20, v14
	s_delay_alu instid0(VALU_DEP_2) | instskip(NEXT) | instid1(VALU_DEP_2)
	v_lshlrev_b64_e64 v[0:1], v0, -1
	v_lshlrev_b64_e64 v[34:35], v15, 1
	s_delay_alu instid0(VALU_DEP_2) | instskip(NEXT) | instid1(VALU_DEP_3)
	v_bfi_b32 v37, v1, 0, 0
	v_bfi_b32 v36, v0, 0, v6
	v_lshrrev_b64 v[0:1], v14, v[6:7]
	s_delay_alu instid0(VALU_DEP_1) | instskip(NEXT) | instid1(VALU_DEP_3)
	v_mov_b64_e32 v[6:7], v[0:1]
	v_cmpx_eq_u64_e64 v[36:37], v[34:35]
; %bb.7794:                             ;   in Loop: Header=BB6_7462 Depth=2
	v_bfe_u32 v6, v0, 21, 1
	v_mov_b32_e32 v7, v5
	s_delay_alu instid0(VALU_DEP_1) | instskip(NEXT) | instid1(VALU_DEP_1)
	v_add_nc_u64_e32 v[6:7], v[0:1], v[6:7]
	v_add_nc_u64_e32 v[6:7], -1, v[6:7]
; %bb.7795:                             ;   in Loop: Header=BB6_7462 Depth=2
	s_or_b32 exec_lo, exec_lo, s29
	v_add_nc_u32_e32 v1, 0xffffff81, v9
	v_lshrrev_b32_e32 v4, 23, v0
	s_mov_b32 s10, exec_lo
	s_delay_alu instid0(VALU_DEP_2) | instskip(NEXT) | instid1(VALU_DEP_1)
	v_cndmask_b32_e64 v1, v1, 0xffffff82, s7
	v_add3_u32 v7, v14, v1, v4
	v_and_b32_e32 v1, 0x1fffff, v6
                                        ; implicit-def: $vgpr6
	s_delay_alu instid0(VALU_DEP_1) | instskip(NEXT) | instid1(VALU_DEP_1)
	v_dual_add_nc_u32 v9, 14, v7 :: v_dual_add_nc_u32 v4, v1, v0
                                        ; implicit-def: $vgpr0_vgpr1
	v_cmpx_ne_u32_e32 0, v9
	s_xor_b32 s10, exec_lo, s10
; %bb.7796:                             ;   in Loop: Header=BB6_7462 Depth=2
	s_delay_alu instid0(VALU_DEP_2) | instskip(SKIP_1) | instid1(VALU_DEP_1)
	v_cmp_lt_u64_e64 s7, 0xffffff, v[4:5]
	v_add_nc_u32_e32 v0, 15, v7
	v_cndmask_b32_e64 v6, v9, v0, s7
	v_cndmask_b32_e64 v0, 0, 1, s7
	s_delay_alu instid0(VALU_DEP_1)
	v_lshrrev_b64 v[0:1], v0, v[4:5]
; %bb.7797:                             ;   in Loop: Header=BB6_7462 Depth=2
	s_and_not1_saveexec_b32 s7, s10
; %bb.7798:                             ;   in Loop: Header=BB6_7462 Depth=2
	v_mov_b64_e32 v[0:1], v[4:5]
	v_bfe_u32 v6, v4, 23, 1
; %bb.7799:                             ;   in Loop: Header=BB6_7462 Depth=2
	s_or_b32 exec_lo, exec_lo, s7
	s_delay_alu instid0(VALU_DEP_2) | instskip(NEXT) | instid1(VALU_DEP_2)
	v_lshrrev_b64 v[0:1], 21, v[0:1]
	v_cmp_gt_i32_e64 s7, 32, v6
	v_min_i32_e32 v4, 31, v6
	v_cmp_eq_u32_e64 s10, 0, v6
	s_delay_alu instid0(VALU_DEP_2) | instskip(SKIP_1) | instid1(VALU_DEP_2)
	v_dual_cndmask_b32 v1, 0, v1, s7 :: v_dual_lshlrev_b32 v4, 2, v4
	v_cndmask_b32_e64 v0, 3, v0, s7
	v_and_b32_e32 v4, 0xfc, v4
	s_delay_alu instid0(VALU_DEP_2) | instskip(NEXT) | instid1(VALU_DEP_2)
	v_cmp_eq_u64_e64 s7, 0, v[0:1]
	v_and_or_b32 v0, v0, 3, v4
	s_and_b32 s7, s10, s7
	s_delay_alu instid0(VALU_DEP_1) | instid1(SALU_CYCLE_1)
	v_cndmask_b32_e64 v0, v0, 0, s7
	s_delay_alu instid0(VALU_DEP_1)
	v_or_b32_e32 v14, v0, v8
.LBB6_7800:                             ;   in Loop: Header=BB6_7462 Depth=2
	s_or_b32 exec_lo, exec_lo, s28
                                        ; implicit-def: $vgpr8
.LBB6_7801:                             ;   in Loop: Header=BB6_7462 Depth=2
	s_and_not1_saveexec_b32 s7, s27
; %bb.7802:                             ;   in Loop: Header=BB6_7462 Depth=2
	v_or_b32_e32 v14, 0x7b, v8
; %bb.7803:                             ;   in Loop: Header=BB6_7462 Depth=2
	s_or_b32 exec_lo, exec_lo, s7
                                        ; implicit-def: $vgpr0
                                        ; implicit-def: $vgpr1
.LBB6_7804:                             ;   in Loop: Header=BB6_7462 Depth=2
	s_and_not1_saveexec_b32 s10, s26
	s_cbranch_execz .LBB6_7810
; %bb.7805:                             ;   in Loop: Header=BB6_7462 Depth=2
	v_cmp_ne_u64_e64 s7, 0, v[4:5]
                                        ; implicit-def: $vgpr14
	s_and_saveexec_b32 s26, s7
	s_delay_alu instid0(SALU_CYCLE_1)
	s_xor_b32 s7, exec_lo, s26
; %bb.7806:                             ;   in Loop: Header=BB6_7462 Depth=2
	v_or_b32_e32 v14, 0x7f, v1
                                        ; implicit-def: $vgpr0
; %bb.7807:                             ;   in Loop: Header=BB6_7462 Depth=2
	s_and_not1_saveexec_b32 s26, s7
; %bb.7808:                             ;   in Loop: Header=BB6_7462 Depth=2
	v_cmp_lt_i32_e64 s7, -1, v0
	s_delay_alu instid0(VALU_DEP_1)
	v_cndmask_b32_e64 v14, 0xfc, v104, s7
; %bb.7809:                             ;   in Loop: Header=BB6_7462 Depth=2
	s_or_b32 exec_lo, exec_lo, s26
.LBB6_7810:                             ;   in Loop: Header=BB6_7462 Depth=2
	s_delay_alu instid0(SALU_CYCLE_1) | instskip(SKIP_2) | instid1(VALU_DEP_1)
	s_or_b32 exec_lo, exec_lo, s10
	v_dual_mov_b32 v1, 0 :: v_dual_lshrrev_b32 v0, 16, v16
	s_mov_b32 s10, exec_lo
	v_and_b32_e32 v4, 0xff, v0
	s_delay_alu instid0(VALU_DEP_1)
	v_cmpx_ne_u16_e32 0, v4
	s_cbranch_execz .LBB6_7820
; %bb.7811:                             ;   in Loop: Header=BB6_7462 Depth=2
	v_bfrev_b32_e32 v1, 1
	s_mov_b32 s26, exec_lo
	v_cmpx_ne_u16_e32 0x80, v4
	s_cbranch_execz .LBB6_7819
; %bb.7812:                             ;   in Loop: Header=BB6_7462 Depth=2
	v_and_b32_e32 v1, 0x7c0000, v16
	v_bfe_u32 v4, v16, 16, 2
	s_delay_alu instid0(VALU_DEP_2) | instskip(SKIP_1) | instid1(SALU_CYCLE_1)
	v_cmp_ne_u32_e64 s7, 0x7c0000, v1
                                        ; implicit-def: $vgpr1
	s_and_saveexec_b32 s27, s7
	s_xor_b32 s27, exec_lo, s27
	s_cbranch_execz .LBB6_7816
; %bb.7813:                             ;   in Loop: Header=BB6_7462 Depth=2
	v_bfe_u32 v1, v16, 18, 5
	s_mov_b32 s28, exec_lo
	s_delay_alu instid0(VALU_DEP_1)
	v_cmpx_eq_u32_e32 0, v1
; %bb.7814:                             ;   in Loop: Header=BB6_7462 Depth=2
	v_clz_i32_u32_e32 v1, v4
	s_delay_alu instid0(VALU_DEP_1) | instskip(NEXT) | instid1(VALU_DEP_1)
	v_min_u32_e32 v1, 32, v1
	v_subrev_nc_u32_e32 v4, 29, v1
	s_delay_alu instid0(VALU_DEP_1) | instskip(NEXT) | instid1(VALU_DEP_1)
	v_lshlrev_b64_e32 v[6:7], v4, v[0:1]
	v_dual_sub_nc_u32 v1, 30, v1 :: v_dual_bitop2_b32 v4, 3, v6 bitop3:0x40
; %bb.7815:                             ;   in Loop: Header=BB6_7462 Depth=2
	s_or_b32 exec_lo, exec_lo, s28
	v_lshlrev_b32_e32 v0, 24, v0
	s_delay_alu instid0(VALU_DEP_1) | instskip(NEXT) | instid1(VALU_DEP_1)
	v_and_b32_e32 v0, 0x80000000, v0
	v_lshl_add_u32 v0, v1, 23, v0
	s_delay_alu instid0(VALU_DEP_1) | instskip(NEXT) | instid1(VALU_DEP_1)
	v_lshl_or_b32 v0, v4, 21, v0
                                        ; implicit-def: $vgpr4
	v_add_nc_u32_e32 v1, 0x38000000, v0
                                        ; implicit-def: $vgpr0
.LBB6_7816:                             ;   in Loop: Header=BB6_7462 Depth=2
	s_and_not1_saveexec_b32 s27, s27
; %bb.7817:                             ;   in Loop: Header=BB6_7462 Depth=2
	v_bfe_i32 v0, v0, 0, 8
	s_delay_alu instid0(VALU_DEP_1) | instskip(NEXT) | instid1(VALU_DEP_1)
	v_cmp_lt_i16_e64 s7, -1, v0
	v_cndmask_b32_e64 v0, 0xff800000, v105, s7
	v_cmp_eq_u32_e64 s7, 0, v4
	s_delay_alu instid0(VALU_DEP_1)
	v_cndmask_b32_e64 v1, 0x7f800001, v0, s7
; %bb.7818:                             ;   in Loop: Header=BB6_7462 Depth=2
	s_or_b32 exec_lo, exec_lo, s27
.LBB6_7819:                             ;   in Loop: Header=BB6_7462 Depth=2
	s_delay_alu instid0(SALU_CYCLE_1)
	s_or_b32 exec_lo, exec_lo, s26
.LBB6_7820:                             ;   in Loop: Header=BB6_7462 Depth=2
	s_delay_alu instid0(SALU_CYCLE_1) | instskip(SKIP_3) | instid1(VALU_DEP_1)
	s_or_b32 exec_lo, exec_lo, s10
	v_lshrrev_b32_e32 v0, 16, v12
	s_mov_b32 s26, 0
	s_mov_b32 s10, exec_lo
	v_and_b32_e32 v6, 0xff, v0
	s_delay_alu instid0(VALU_DEP_1)
	v_cmpx_lt_i16_e32 0x7f, v6
	s_xor_b32 s10, exec_lo, s10
	s_cbranch_execz .LBB6_8029
; %bb.7821:                             ;   in Loop: Header=BB6_7462 Depth=2
	s_mov_b32 s26, -1
	s_mov_b32 s27, exec_lo
	v_cmpx_eq_u16_e32 0x80, v6
; %bb.7822:                             ;   in Loop: Header=BB6_7462 Depth=2
	s_xor_b32 s26, exec_lo, -1
; %bb.7823:                             ;   in Loop: Header=BB6_7462 Depth=2
	s_or_b32 exec_lo, exec_lo, s27
	s_delay_alu instid0(SALU_CYCLE_1)
	s_and_b32 s26, s26, exec_lo
                                        ; implicit-def: $vgpr6
	s_or_saveexec_b32 s10, s10
	v_bfrev_b32_e32 v4, 1
	s_xor_b32 exec_lo, exec_lo, s10
	s_cbranch_execnz .LBB6_8030
.LBB6_7824:                             ;   in Loop: Header=BB6_7462 Depth=2
	s_or_b32 exec_lo, exec_lo, s10
	s_and_saveexec_b32 s10, s26
	s_cbranch_execz .LBB6_7826
.LBB6_7825:                             ;   in Loop: Header=BB6_7462 Depth=2
	v_and_b32_e32 v4, 3, v0
	v_bfe_u32 v9, v12, 18, 5
	s_delay_alu instid0(VALU_DEP_2) | instskip(NEXT) | instid1(VALU_DEP_2)
	v_clz_i32_u32_e32 v6, v4
	v_cmp_eq_u32_e64 s7, 0, v9
	s_delay_alu instid0(VALU_DEP_2) | instskip(NEXT) | instid1(VALU_DEP_1)
	v_min_u32_e32 v8, 32, v6
	v_subrev_nc_u32_e32 v6, 29, v8
	s_delay_alu instid0(VALU_DEP_1) | instskip(SKIP_3) | instid1(VALU_DEP_3)
	v_lshlrev_b64_e32 v[6:7], v6, v[0:1]
	v_lshlrev_b32_e32 v7, 24, v0
	v_sub_nc_u32_e32 v8, 30, v8
	v_bfe_i32 v0, v0, 0, 8
	v_and_b32_e32 v7, 0x80000000, v7
	s_delay_alu instid0(VALU_DEP_3) | instskip(NEXT) | instid1(VALU_DEP_1)
	v_dual_cndmask_b32 v8, v9, v8, s7 :: v_dual_bitop2_b32 v6, 3, v6 bitop3:0x40
	v_cndmask_b32_e64 v6, v4, v6, s7
	s_delay_alu instid0(VALU_DEP_2) | instskip(SKIP_1) | instid1(VALU_DEP_2)
	v_lshl_add_u32 v7, v8, 23, v7
	v_cmp_lt_i16_e64 s7, -1, v0
	v_lshl_or_b32 v6, v6, 21, v7
	s_delay_alu instid0(VALU_DEP_2) | instskip(SKIP_2) | instid1(VALU_DEP_4)
	v_cndmask_b32_e64 v0, 0xff800000, v105, s7
	v_and_b32_e32 v7, 0x7c0000, v12
	v_cmp_eq_u32_e64 s7, 0, v4
	v_add_nc_u32_e32 v4, 0x38000000, v6
	s_delay_alu instid0(VALU_DEP_2) | instskip(NEXT) | instid1(VALU_DEP_4)
	v_cndmask_b32_e64 v0, 0x7f800001, v0, s7
	v_cmp_eq_u32_e64 s7, 0x7c0000, v7
	s_delay_alu instid0(VALU_DEP_1)
	v_cndmask_b32_e64 v4, v4, v0, s7
.LBB6_7826:                             ;   in Loop: Header=BB6_7462 Depth=2
	s_or_b32 exec_lo, exec_lo, s10
	s_delay_alu instid0(VALU_DEP_1) | instskip(SKIP_2) | instid1(VALU_DEP_2)
	v_mul_f32_e32 v0, v1, v4
	v_mov_b32_e32 v7, v5
                                        ; implicit-def: $vgpr15
	s_mov_b32 s10, exec_lo
	v_and_b32_e32 v6, 0x7f800000, v0
	v_and_b32_e32 v4, 0x7fffff, v0
	v_lshrrev_b32_e32 v1, 24, v0
	s_delay_alu instid0(VALU_DEP_3)
	v_cmpx_ne_u64_e32 0x7f800000, v[6:7]
	s_xor_b32 s26, exec_lo, s10
	s_cbranch_execz .LBB6_7840
; %bb.7827:                             ;   in Loop: Header=BB6_7462 Depth=2
	v_and_b32_e32 v6, 0x7fffffff, v0
	v_mov_b32_e32 v7, v5
	v_and_b32_e32 v8, 0x80, v1
                                        ; implicit-def: $vgpr15
	s_mov_b32 s10, exec_lo
	s_delay_alu instid0(VALU_DEP_2)
	v_cmpx_gt_u64_e32 0x47600001, v[6:7]
	s_xor_b32 s27, exec_lo, s10
	s_cbranch_execz .LBB6_7837
; %bb.7828:                             ;   in Loop: Header=BB6_7462 Depth=2
	v_mov_b32_e32 v15, 0
	s_mov_b32 s28, exec_lo
	v_cmpx_ne_u32_e32 0, v0
	s_cbranch_execz .LBB6_7836
; %bb.7829:                             ;   in Loop: Header=BB6_7462 Depth=2
	v_bfe_u32 v9, v0, 23, 8
	v_or_b32_e32 v6, 0x800000, v4
	s_mov_b32 s29, exec_lo
	s_delay_alu instid0(VALU_DEP_2) | instskip(SKIP_1) | instid1(VALU_DEP_1)
	v_dual_mov_b32 v7, v5 :: v_dual_sub_nc_u32 v0, 0x71, v9
	v_cmp_gt_u32_e64 s7, 0x72, v9
	v_cndmask_b32_e64 v0, 0, v0, s7
	v_cmp_eq_u32_e64 s7, 0, v9
	s_delay_alu instid0(VALU_DEP_1) | instskip(NEXT) | instid1(VALU_DEP_1)
	v_cndmask_b32_e64 v15, v0, 0x70, s7
	v_dual_cndmask_b32 v6, v6, v4, s7 :: v_dual_add_nc_u32 v0, 21, v15
	v_add_nc_u32_e32 v33, 20, v15
	s_delay_alu instid0(VALU_DEP_2) | instskip(NEXT) | instid1(VALU_DEP_2)
	v_lshlrev_b64_e64 v[0:1], v0, -1
	v_lshlrev_b64_e64 v[34:35], v33, 1
	s_delay_alu instid0(VALU_DEP_2) | instskip(NEXT) | instid1(VALU_DEP_3)
	v_bfi_b32 v37, v1, 0, 0
	v_bfi_b32 v36, v0, 0, v6
	v_lshrrev_b64 v[0:1], v15, v[6:7]
	s_delay_alu instid0(VALU_DEP_1) | instskip(NEXT) | instid1(VALU_DEP_3)
	v_mov_b64_e32 v[6:7], v[0:1]
	v_cmpx_eq_u64_e64 v[36:37], v[34:35]
; %bb.7830:                             ;   in Loop: Header=BB6_7462 Depth=2
	v_bfe_u32 v6, v0, 21, 1
	v_mov_b32_e32 v7, v5
	s_delay_alu instid0(VALU_DEP_1) | instskip(NEXT) | instid1(VALU_DEP_1)
	v_add_nc_u64_e32 v[6:7], v[0:1], v[6:7]
	v_add_nc_u64_e32 v[6:7], -1, v[6:7]
; %bb.7831:                             ;   in Loop: Header=BB6_7462 Depth=2
	s_or_b32 exec_lo, exec_lo, s29
	v_add_nc_u32_e32 v1, 0xffffff81, v9
	v_lshrrev_b32_e32 v4, 23, v0
	s_mov_b32 s10, exec_lo
	s_delay_alu instid0(VALU_DEP_2) | instskip(NEXT) | instid1(VALU_DEP_1)
	v_cndmask_b32_e64 v1, v1, 0xffffff82, s7
	v_add3_u32 v7, v15, v1, v4
	v_and_b32_e32 v1, 0x1fffff, v6
                                        ; implicit-def: $vgpr6
	s_delay_alu instid0(VALU_DEP_1) | instskip(NEXT) | instid1(VALU_DEP_1)
	v_dual_add_nc_u32 v9, 14, v7 :: v_dual_add_nc_u32 v4, v1, v0
                                        ; implicit-def: $vgpr0_vgpr1
	v_cmpx_ne_u32_e32 0, v9
	s_xor_b32 s10, exec_lo, s10
; %bb.7832:                             ;   in Loop: Header=BB6_7462 Depth=2
	s_delay_alu instid0(VALU_DEP_2) | instskip(SKIP_1) | instid1(VALU_DEP_1)
	v_cmp_lt_u64_e64 s7, 0xffffff, v[4:5]
	v_add_nc_u32_e32 v0, 15, v7
	v_cndmask_b32_e64 v6, v9, v0, s7
	v_cndmask_b32_e64 v0, 0, 1, s7
	s_delay_alu instid0(VALU_DEP_1)
	v_lshrrev_b64 v[0:1], v0, v[4:5]
; %bb.7833:                             ;   in Loop: Header=BB6_7462 Depth=2
	s_and_not1_saveexec_b32 s7, s10
; %bb.7834:                             ;   in Loop: Header=BB6_7462 Depth=2
	v_mov_b64_e32 v[0:1], v[4:5]
	v_bfe_u32 v6, v4, 23, 1
; %bb.7835:                             ;   in Loop: Header=BB6_7462 Depth=2
	s_or_b32 exec_lo, exec_lo, s7
	s_delay_alu instid0(VALU_DEP_2) | instskip(NEXT) | instid1(VALU_DEP_2)
	v_lshrrev_b64 v[0:1], 21, v[0:1]
	v_cmp_gt_i32_e64 s7, 32, v6
	v_min_i32_e32 v4, 31, v6
	v_cmp_eq_u32_e64 s10, 0, v6
	s_delay_alu instid0(VALU_DEP_2) | instskip(SKIP_1) | instid1(VALU_DEP_2)
	v_dual_cndmask_b32 v1, 0, v1, s7 :: v_dual_lshlrev_b32 v4, 2, v4
	v_cndmask_b32_e64 v0, 3, v0, s7
	v_and_b32_e32 v4, 0xfc, v4
	s_delay_alu instid0(VALU_DEP_2) | instskip(NEXT) | instid1(VALU_DEP_2)
	v_cmp_eq_u64_e64 s7, 0, v[0:1]
	v_and_or_b32 v0, v0, 3, v4
	s_and_b32 s7, s10, s7
	s_delay_alu instid0(VALU_DEP_1) | instid1(SALU_CYCLE_1)
	v_cndmask_b32_e64 v0, v0, 0, s7
	s_delay_alu instid0(VALU_DEP_1)
	v_or_b32_e32 v15, v0, v8
.LBB6_7836:                             ;   in Loop: Header=BB6_7462 Depth=2
	s_or_b32 exec_lo, exec_lo, s28
                                        ; implicit-def: $vgpr8
.LBB6_7837:                             ;   in Loop: Header=BB6_7462 Depth=2
	s_and_not1_saveexec_b32 s7, s27
; %bb.7838:                             ;   in Loop: Header=BB6_7462 Depth=2
	v_or_b32_e32 v15, 0x7b, v8
; %bb.7839:                             ;   in Loop: Header=BB6_7462 Depth=2
	s_or_b32 exec_lo, exec_lo, s7
                                        ; implicit-def: $vgpr0
                                        ; implicit-def: $vgpr1
.LBB6_7840:                             ;   in Loop: Header=BB6_7462 Depth=2
	s_and_not1_saveexec_b32 s10, s26
	s_cbranch_execz .LBB6_7846
; %bb.7841:                             ;   in Loop: Header=BB6_7462 Depth=2
	v_cmp_ne_u64_e64 s7, 0, v[4:5]
                                        ; implicit-def: $vgpr15
	s_and_saveexec_b32 s26, s7
	s_delay_alu instid0(SALU_CYCLE_1)
	s_xor_b32 s7, exec_lo, s26
; %bb.7842:                             ;   in Loop: Header=BB6_7462 Depth=2
	v_or_b32_e32 v15, 0x7f, v1
                                        ; implicit-def: $vgpr0
; %bb.7843:                             ;   in Loop: Header=BB6_7462 Depth=2
	s_and_not1_saveexec_b32 s26, s7
; %bb.7844:                             ;   in Loop: Header=BB6_7462 Depth=2
	v_cmp_lt_i32_e64 s7, -1, v0
	s_delay_alu instid0(VALU_DEP_1)
	v_cndmask_b32_e64 v15, 0xfc, v104, s7
; %bb.7845:                             ;   in Loop: Header=BB6_7462 Depth=2
	s_or_b32 exec_lo, exec_lo, s26
.LBB6_7846:                             ;   in Loop: Header=BB6_7462 Depth=2
	s_delay_alu instid0(SALU_CYCLE_1)
	s_or_b32 exec_lo, exec_lo, s10
	v_mov_b32_e32 v1, 0
	s_mov_b32 s10, exec_lo
	v_cmpx_lt_u32_e32 0xffffff, v16
	s_cbranch_execz .LBB6_7856
; %bb.7847:                             ;   in Loop: Header=BB6_7462 Depth=2
	v_lshrrev_b32_e32 v0, 24, v16
	v_bfrev_b32_e32 v1, 1
	s_mov_b32 s26, exec_lo
	s_delay_alu instid0(VALU_DEP_2)
	v_cmpx_ne_u32_e32 0x80, v0
	s_cbranch_execz .LBB6_7855
; %bb.7848:                             ;   in Loop: Header=BB6_7462 Depth=2
	v_and_b32_e32 v1, 0x7c000000, v16
	v_bfe_u32 v4, v16, 24, 2
	s_delay_alu instid0(VALU_DEP_2) | instskip(SKIP_1) | instid1(SALU_CYCLE_1)
	v_cmp_ne_u32_e64 s7, 0x7c000000, v1
                                        ; implicit-def: $vgpr1
	s_and_saveexec_b32 s27, s7
	s_xor_b32 s27, exec_lo, s27
	s_cbranch_execz .LBB6_7852
; %bb.7849:                             ;   in Loop: Header=BB6_7462 Depth=2
	v_bfe_u32 v1, v16, 26, 5
	s_mov_b32 s28, exec_lo
	s_delay_alu instid0(VALU_DEP_1)
	v_cmpx_eq_u32_e32 0, v1
; %bb.7850:                             ;   in Loop: Header=BB6_7462 Depth=2
	v_clz_i32_u32_e32 v1, v4
	s_delay_alu instid0(VALU_DEP_1) | instskip(NEXT) | instid1(VALU_DEP_1)
	v_min_u32_e32 v4, 32, v1
	v_subrev_nc_u32_e32 v1, 29, v4
	s_delay_alu instid0(VALU_DEP_1) | instskip(SKIP_1) | instid1(VALU_DEP_2)
	v_lshlrev_b64_e32 v[0:1], v1, v[0:1]
	v_sub_nc_u32_e32 v1, 30, v4
	v_and_b32_e32 v4, 3, v0
; %bb.7851:                             ;   in Loop: Header=BB6_7462 Depth=2
	s_or_b32 exec_lo, exec_lo, s28
	v_and_b32_e32 v0, 0x80000000, v16
	s_delay_alu instid0(VALU_DEP_1) | instskip(NEXT) | instid1(VALU_DEP_1)
	v_lshl_add_u32 v0, v1, 23, v0
	v_lshl_or_b32 v0, v4, 21, v0
                                        ; implicit-def: $vgpr4
	s_delay_alu instid0(VALU_DEP_1)
	v_add_nc_u32_e32 v1, 0x38000000, v0
.LBB6_7852:                             ;   in Loop: Header=BB6_7462 Depth=2
	s_and_not1_saveexec_b32 s27, s27
; %bb.7853:                             ;   in Loop: Header=BB6_7462 Depth=2
	v_cmp_lt_i32_e64 s7, -1, v16
	s_delay_alu instid0(VALU_DEP_1) | instskip(SKIP_1) | instid1(VALU_DEP_1)
	v_cndmask_b32_e64 v0, 0xff800000, v105, s7
	v_cmp_eq_u32_e64 s7, 0, v4
	v_cndmask_b32_e64 v1, 0x7f800001, v0, s7
; %bb.7854:                             ;   in Loop: Header=BB6_7462 Depth=2
	s_or_b32 exec_lo, exec_lo, s27
.LBB6_7855:                             ;   in Loop: Header=BB6_7462 Depth=2
	s_delay_alu instid0(SALU_CYCLE_1)
	s_or_b32 exec_lo, exec_lo, s26
.LBB6_7856:                             ;   in Loop: Header=BB6_7462 Depth=2
	s_delay_alu instid0(SALU_CYCLE_1) | instskip(SKIP_3) | instid1(VALU_DEP_2)
	s_or_b32 exec_lo, exec_lo, s10
	v_bfe_u32 v4, v12, 24, 2
	v_bfe_u32 v9, v12, 26, 5
                                        ; implicit-def: $vgpr33
	s_mov_b32 s10, exec_lo
	v_clz_i32_u32_e32 v0, v4
	s_delay_alu instid0(VALU_DEP_2) | instskip(NEXT) | instid1(VALU_DEP_2)
	v_cmp_eq_u32_e64 s7, 0, v9
	v_min_u32_e32 v8, 32, v0
	v_lshrrev_b32_e32 v0, 24, v12
	s_delay_alu instid0(VALU_DEP_2) | instskip(NEXT) | instid1(VALU_DEP_1)
	v_subrev_nc_u32_e32 v6, 29, v8
	v_lshlrev_b64_e32 v[6:7], v6, v[0:1]
	v_sub_nc_u32_e32 v7, 30, v8
	v_and_b32_e32 v8, 0x80000000, v12
	s_delay_alu instid0(VALU_DEP_2) | instskip(NEXT) | instid1(VALU_DEP_1)
	v_dual_cndmask_b32 v7, v9, v7, s7 :: v_dual_bitop2_b32 v6, 3, v6 bitop3:0x40
	v_cndmask_b32_e64 v6, v4, v6, s7
	s_delay_alu instid0(VALU_DEP_2) | instskip(SKIP_1) | instid1(VALU_DEP_2)
	v_lshl_add_u32 v7, v7, 23, v8
	v_cmp_lt_i32_e64 s7, -1, v12
	v_lshl_or_b32 v6, v6, 21, v7
	s_delay_alu instid0(VALU_DEP_2) | instskip(SKIP_2) | instid1(VALU_DEP_4)
	v_cndmask_b32_e64 v8, 0xff800000, v105, s7
	v_and_b32_e32 v7, 0x7c000000, v12
	v_cmp_eq_u32_e64 s7, 0, v4
	v_add_nc_u32_e32 v6, 0x38000000, v6
	s_delay_alu instid0(VALU_DEP_2) | instskip(NEXT) | instid1(VALU_DEP_4)
	v_cndmask_b32_e64 v4, 0x7f800001, v8, s7
	v_cmp_eq_u32_e64 s7, 0x7c000000, v7
	s_delay_alu instid0(VALU_DEP_1) | instskip(SKIP_1) | instid1(VALU_DEP_1)
	v_dual_mov_b32 v7, v5 :: v_dual_cndmask_b32 v4, v6, v4, s7
	v_cmp_ne_u32_e64 s7, 0x80, v0
	v_cndmask_b32_e64 v0, 0x80000000, v4, s7
	v_cmp_lt_u32_e64 s7, 0xffffff, v12
	s_delay_alu instid0(VALU_DEP_1) | instskip(NEXT) | instid1(VALU_DEP_1)
	v_cndmask_b32_e64 v0, 0, v0, s7
	v_mul_f32_e32 v0, v0, v1
	s_delay_alu instid0(VALU_DEP_1) | instskip(SKIP_2) | instid1(VALU_DEP_3)
	v_and_b32_e32 v6, 0x7f800000, v0
	v_and_b32_e32 v4, 0x7fffff, v0
	v_lshrrev_b32_e32 v1, 24, v0
	v_cmpx_ne_u64_e32 0x7f800000, v[6:7]
	s_xor_b32 s26, exec_lo, s10
	s_cbranch_execz .LBB6_7870
; %bb.7857:                             ;   in Loop: Header=BB6_7462 Depth=2
	v_and_b32_e32 v6, 0x7fffffff, v0
	v_mov_b32_e32 v7, v5
	v_and_b32_e32 v8, 0x80, v1
                                        ; implicit-def: $vgpr33
	s_mov_b32 s10, exec_lo
	s_delay_alu instid0(VALU_DEP_2)
	v_cmpx_gt_u64_e32 0x47600001, v[6:7]
	s_xor_b32 s27, exec_lo, s10
	s_cbranch_execz .LBB6_7867
; %bb.7858:                             ;   in Loop: Header=BB6_7462 Depth=2
	v_mov_b32_e32 v33, 0
	s_mov_b32 s28, exec_lo
	v_cmpx_ne_u32_e32 0, v0
	s_cbranch_execz .LBB6_7866
; %bb.7859:                             ;   in Loop: Header=BB6_7462 Depth=2
	v_bfe_u32 v9, v0, 23, 8
	v_or_b32_e32 v6, 0x800000, v4
	s_mov_b32 s29, exec_lo
	s_delay_alu instid0(VALU_DEP_2) | instskip(SKIP_1) | instid1(VALU_DEP_1)
	v_dual_mov_b32 v7, v5 :: v_dual_sub_nc_u32 v0, 0x71, v9
	v_cmp_gt_u32_e64 s7, 0x72, v9
	v_cndmask_b32_e64 v0, 0, v0, s7
	v_cmp_eq_u32_e64 s7, 0, v9
	s_delay_alu instid0(VALU_DEP_1) | instskip(NEXT) | instid1(VALU_DEP_1)
	v_cndmask_b32_e64 v33, v0, 0x70, s7
	v_dual_cndmask_b32 v6, v6, v4, s7 :: v_dual_add_nc_u32 v0, 21, v33
	v_add_nc_u32_e32 v34, 20, v33
	s_delay_alu instid0(VALU_DEP_2) | instskip(NEXT) | instid1(VALU_DEP_2)
	v_lshlrev_b64_e64 v[0:1], v0, -1
	v_lshlrev_b64_e64 v[34:35], v34, 1
	s_delay_alu instid0(VALU_DEP_2) | instskip(NEXT) | instid1(VALU_DEP_3)
	v_bfi_b32 v37, v1, 0, 0
	v_bfi_b32 v36, v0, 0, v6
	v_lshrrev_b64 v[0:1], v33, v[6:7]
	s_delay_alu instid0(VALU_DEP_1) | instskip(NEXT) | instid1(VALU_DEP_3)
	v_mov_b64_e32 v[6:7], v[0:1]
	v_cmpx_eq_u64_e64 v[36:37], v[34:35]
; %bb.7860:                             ;   in Loop: Header=BB6_7462 Depth=2
	v_bfe_u32 v6, v0, 21, 1
	v_mov_b32_e32 v7, v5
	s_delay_alu instid0(VALU_DEP_1) | instskip(NEXT) | instid1(VALU_DEP_1)
	v_add_nc_u64_e32 v[6:7], v[0:1], v[6:7]
	v_add_nc_u64_e32 v[6:7], -1, v[6:7]
; %bb.7861:                             ;   in Loop: Header=BB6_7462 Depth=2
	s_or_b32 exec_lo, exec_lo, s29
	v_add_nc_u32_e32 v1, 0xffffff81, v9
	v_lshrrev_b32_e32 v4, 23, v0
	s_mov_b32 s10, exec_lo
	s_delay_alu instid0(VALU_DEP_2) | instskip(NEXT) | instid1(VALU_DEP_1)
	v_cndmask_b32_e64 v1, v1, 0xffffff82, s7
	v_add3_u32 v7, v33, v1, v4
	v_and_b32_e32 v1, 0x1fffff, v6
                                        ; implicit-def: $vgpr6
	s_delay_alu instid0(VALU_DEP_1) | instskip(NEXT) | instid1(VALU_DEP_1)
	v_dual_add_nc_u32 v9, 14, v7 :: v_dual_add_nc_u32 v4, v1, v0
                                        ; implicit-def: $vgpr0_vgpr1
	v_cmpx_ne_u32_e32 0, v9
	s_xor_b32 s10, exec_lo, s10
; %bb.7862:                             ;   in Loop: Header=BB6_7462 Depth=2
	s_delay_alu instid0(VALU_DEP_2) | instskip(SKIP_1) | instid1(VALU_DEP_1)
	v_cmp_lt_u64_e64 s7, 0xffffff, v[4:5]
	v_add_nc_u32_e32 v0, 15, v7
	v_cndmask_b32_e64 v6, v9, v0, s7
	v_cndmask_b32_e64 v0, 0, 1, s7
	s_delay_alu instid0(VALU_DEP_1)
	v_lshrrev_b64 v[0:1], v0, v[4:5]
; %bb.7863:                             ;   in Loop: Header=BB6_7462 Depth=2
	s_and_not1_saveexec_b32 s7, s10
; %bb.7864:                             ;   in Loop: Header=BB6_7462 Depth=2
	v_mov_b64_e32 v[0:1], v[4:5]
	v_bfe_u32 v6, v4, 23, 1
; %bb.7865:                             ;   in Loop: Header=BB6_7462 Depth=2
	s_or_b32 exec_lo, exec_lo, s7
	s_delay_alu instid0(VALU_DEP_2) | instskip(NEXT) | instid1(VALU_DEP_2)
	v_lshrrev_b64 v[0:1], 21, v[0:1]
	v_cmp_gt_i32_e64 s7, 32, v6
	v_min_i32_e32 v4, 31, v6
	v_cmp_eq_u32_e64 s10, 0, v6
	s_delay_alu instid0(VALU_DEP_2) | instskip(SKIP_1) | instid1(VALU_DEP_2)
	v_dual_cndmask_b32 v1, 0, v1, s7 :: v_dual_lshlrev_b32 v4, 2, v4
	v_cndmask_b32_e64 v0, 3, v0, s7
	v_and_b32_e32 v4, 0xfc, v4
	s_delay_alu instid0(VALU_DEP_2) | instskip(NEXT) | instid1(VALU_DEP_2)
	v_cmp_eq_u64_e64 s7, 0, v[0:1]
	v_and_or_b32 v0, v0, 3, v4
	s_and_b32 s7, s10, s7
	s_delay_alu instid0(VALU_DEP_1) | instid1(SALU_CYCLE_1)
	v_cndmask_b32_e64 v0, v0, 0, s7
	s_delay_alu instid0(VALU_DEP_1)
	v_or_b32_e32 v33, v0, v8
.LBB6_7866:                             ;   in Loop: Header=BB6_7462 Depth=2
	s_or_b32 exec_lo, exec_lo, s28
                                        ; implicit-def: $vgpr8
.LBB6_7867:                             ;   in Loop: Header=BB6_7462 Depth=2
	s_and_not1_saveexec_b32 s7, s27
; %bb.7868:                             ;   in Loop: Header=BB6_7462 Depth=2
	v_or_b32_e32 v33, 0x7b, v8
; %bb.7869:                             ;   in Loop: Header=BB6_7462 Depth=2
	s_or_b32 exec_lo, exec_lo, s7
                                        ; implicit-def: $vgpr0
                                        ; implicit-def: $vgpr1
.LBB6_7870:                             ;   in Loop: Header=BB6_7462 Depth=2
	s_and_not1_saveexec_b32 s10, s26
	s_cbranch_execz .LBB6_7876
; %bb.7871:                             ;   in Loop: Header=BB6_7462 Depth=2
	v_cmp_ne_u64_e64 s7, 0, v[4:5]
                                        ; implicit-def: $vgpr33
	s_and_saveexec_b32 s26, s7
	s_delay_alu instid0(SALU_CYCLE_1)
	s_xor_b32 s7, exec_lo, s26
; %bb.7872:                             ;   in Loop: Header=BB6_7462 Depth=2
	v_or_b32_e32 v33, 0x7f, v1
                                        ; implicit-def: $vgpr0
; %bb.7873:                             ;   in Loop: Header=BB6_7462 Depth=2
	s_and_not1_saveexec_b32 s26, s7
; %bb.7874:                             ;   in Loop: Header=BB6_7462 Depth=2
	v_cmp_lt_i32_e64 s7, -1, v0
	s_delay_alu instid0(VALU_DEP_1)
	v_cndmask_b32_e64 v33, 0xfc, v104, s7
; %bb.7875:                             ;   in Loop: Header=BB6_7462 Depth=2
	s_or_b32 exec_lo, exec_lo, s26
.LBB6_7876:                             ;   in Loop: Header=BB6_7462 Depth=2
	s_delay_alu instid0(SALU_CYCLE_1) | instskip(SKIP_3) | instid1(VALU_DEP_2)
	s_or_b32 exec_lo, exec_lo, s10
	v_and_b32_e32 v0, 0xff, v17
	v_dual_mov_b32 v4, v17 :: v_dual_mov_b32 v6, 0
	s_mov_b32 s10, exec_lo
	v_cmpx_ne_u16_e32 0, v0
	s_cbranch_execz .LBB6_7886
; %bb.7877:                             ;   in Loop: Header=BB6_7462 Depth=2
	v_bfrev_b32_e32 v6, 1
	s_mov_b32 s26, exec_lo
	v_cmpx_ne_u16_e32 0x80, v0
	s_cbranch_execz .LBB6_7885
; %bb.7878:                             ;   in Loop: Header=BB6_7462 Depth=2
	v_and_b32_e32 v1, 0x7c, v17
	v_and_b32_e32 v0, 3, v17
	s_mov_b32 s27, exec_lo
                                        ; implicit-def: $vgpr6
	s_delay_alu instid0(VALU_DEP_2)
	v_cmpx_ne_u32_e32 0x7c, v1
	s_xor_b32 s27, exec_lo, s27
	s_cbranch_execz .LBB6_7882
; %bb.7879:                             ;   in Loop: Header=BB6_7462 Depth=2
	v_bfe_u32 v1, v17, 2, 5
	s_mov_b32 s28, exec_lo
	s_delay_alu instid0(VALU_DEP_1)
	v_cmpx_eq_u32_e32 0, v1
; %bb.7880:                             ;   in Loop: Header=BB6_7462 Depth=2
	v_clz_i32_u32_e32 v0, v0
	s_delay_alu instid0(VALU_DEP_1) | instskip(NEXT) | instid1(VALU_DEP_1)
	v_min_u32_e32 v6, 32, v0
	v_subrev_nc_u32_e32 v0, 29, v6
	s_delay_alu instid0(VALU_DEP_1) | instskip(NEXT) | instid1(VALU_DEP_1)
	v_lshlrev_b64_e32 v[0:1], v0, v[4:5]
	v_dual_sub_nc_u32 v1, 30, v6 :: v_dual_bitop2_b32 v0, 3, v0 bitop3:0x40
; %bb.7881:                             ;   in Loop: Header=BB6_7462 Depth=2
	s_or_b32 exec_lo, exec_lo, s28
	v_lshlrev_b32_e32 v6, 24, v17
	s_delay_alu instid0(VALU_DEP_1) | instskip(NEXT) | instid1(VALU_DEP_1)
	v_and_b32_e32 v6, 0x80000000, v6
	v_lshl_add_u32 v1, v1, 23, v6
	s_delay_alu instid0(VALU_DEP_1) | instskip(NEXT) | instid1(VALU_DEP_1)
	v_lshl_or_b32 v0, v0, 21, v1
	v_add_nc_u32_e32 v6, 0x38000000, v0
                                        ; implicit-def: $vgpr0
.LBB6_7882:                             ;   in Loop: Header=BB6_7462 Depth=2
	s_and_not1_saveexec_b32 s27, s27
; %bb.7883:                             ;   in Loop: Header=BB6_7462 Depth=2
	v_bfe_i32 v1, v17, 0, 8
	s_delay_alu instid0(VALU_DEP_1) | instskip(NEXT) | instid1(VALU_DEP_1)
	v_cmp_lt_i16_e64 s7, -1, v1
	v_cndmask_b32_e64 v1, 0xff800000, v105, s7
	v_cmp_eq_u32_e64 s7, 0, v0
	s_delay_alu instid0(VALU_DEP_1)
	v_cndmask_b32_e64 v6, 0x7f800001, v1, s7
; %bb.7884:                             ;   in Loop: Header=BB6_7462 Depth=2
	s_or_b32 exec_lo, exec_lo, s27
.LBB6_7885:                             ;   in Loop: Header=BB6_7462 Depth=2
	s_delay_alu instid0(SALU_CYCLE_1)
	s_or_b32 exec_lo, exec_lo, s26
.LBB6_7886:                             ;   in Loop: Header=BB6_7462 Depth=2
	s_delay_alu instid0(SALU_CYCLE_1) | instskip(SKIP_4) | instid1(VALU_DEP_2)
	s_or_b32 exec_lo, exec_lo, s10
	v_and_b32_e32 v1, 0xff, v13
	v_mov_b32_e32 v0, v13
	s_mov_b32 s26, 0
	s_mov_b32 s10, exec_lo
	v_cmpx_lt_i16_e32 0x7f, v1
	s_xor_b32 s10, exec_lo, s10
	s_cbranch_execz .LBB6_8031
; %bb.7887:                             ;   in Loop: Header=BB6_7462 Depth=2
	s_mov_b32 s26, -1
	s_mov_b32 s27, exec_lo
	v_cmpx_eq_u16_e32 0x80, v1
; %bb.7888:                             ;   in Loop: Header=BB6_7462 Depth=2
	s_xor_b32 s26, exec_lo, -1
; %bb.7889:                             ;   in Loop: Header=BB6_7462 Depth=2
	s_or_b32 exec_lo, exec_lo, s27
	s_delay_alu instid0(SALU_CYCLE_1)
	s_and_b32 s26, s26, exec_lo
                                        ; implicit-def: $vgpr1
	s_or_saveexec_b32 s10, s10
	v_bfrev_b32_e32 v7, 1
	s_xor_b32 exec_lo, exec_lo, s10
	s_cbranch_execnz .LBB6_8032
.LBB6_7890:                             ;   in Loop: Header=BB6_7462 Depth=2
	s_or_b32 exec_lo, exec_lo, s10
	v_mov_b32_e32 v1, v5
	s_and_saveexec_b32 s10, s26
	s_cbranch_execz .LBB6_7892
.LBB6_7891:                             ;   in Loop: Header=BB6_7462 Depth=2
	v_and_b32_e32 v7, 3, v13
	s_delay_alu instid0(VALU_DEP_1) | instskip(NEXT) | instid1(VALU_DEP_1)
	v_clz_i32_u32_e32 v8, v7
	v_min_u32_e32 v34, 32, v8
	s_delay_alu instid0(VALU_DEP_1) | instskip(NEXT) | instid1(VALU_DEP_1)
	v_subrev_nc_u32_e32 v8, 29, v34
	v_lshlrev_b64_e32 v[8:9], v8, v[0:1]
	v_bfe_u32 v9, v13, 2, 5
	v_dual_lshlrev_b32 v1, 24, v13 :: v_dual_sub_nc_u32 v34, 30, v34
	s_delay_alu instid0(VALU_DEP_2) | instskip(NEXT) | instid1(VALU_DEP_2)
	v_cmp_eq_u32_e64 s7, 0, v9
	v_and_b32_e32 v1, 0x80000000, v1
	s_delay_alu instid0(VALU_DEP_2) | instskip(SKIP_1) | instid1(VALU_DEP_2)
	v_dual_cndmask_b32 v9, v9, v34, s7 :: v_dual_bitop2_b32 v8, 3, v8 bitop3:0x40
	v_bfe_i32 v34, v13, 0, 8
	v_cndmask_b32_e64 v8, v7, v8, s7
	s_delay_alu instid0(VALU_DEP_3) | instskip(NEXT) | instid1(VALU_DEP_3)
	v_lshl_add_u32 v1, v9, 23, v1
	v_cmp_lt_i16_e64 s7, -1, v34
	s_delay_alu instid0(VALU_DEP_2) | instskip(NEXT) | instid1(VALU_DEP_2)
	v_lshl_or_b32 v1, v8, 21, v1
	v_cndmask_b32_e64 v9, 0xff800000, v105, s7
	v_and_b32_e32 v8, 0x7c, v13
	v_cmp_eq_u32_e64 s7, 0, v7
	s_delay_alu instid0(VALU_DEP_4) | instskip(NEXT) | instid1(VALU_DEP_2)
	v_add_nc_u32_e32 v1, 0x38000000, v1
	v_cndmask_b32_e64 v7, 0x7f800001, v9, s7
	s_delay_alu instid0(VALU_DEP_4) | instskip(NEXT) | instid1(VALU_DEP_1)
	v_cmp_eq_u32_e64 s7, 0x7c, v8
	v_cndmask_b32_e64 v7, v1, v7, s7
.LBB6_7892:                             ;   in Loop: Header=BB6_7462 Depth=2
	s_or_b32 exec_lo, exec_lo, s10
	s_delay_alu instid0(VALU_DEP_1) | instskip(SKIP_2) | instid1(VALU_DEP_2)
	v_dual_mul_f32 v9, v6, v7 :: v_dual_mov_b32 v35, v5
	v_mov_b32_e32 v7, v5
                                        ; implicit-def: $vgpr8
	s_mov_b32 s10, exec_lo
	v_and_b32_e32 v34, 0x7f800000, v9
	v_and_b32_e32 v6, 0x7fffff, v9
	v_lshrrev_b32_e32 v1, 24, v9
	s_delay_alu instid0(VALU_DEP_3)
	v_cmpx_ne_u64_e32 0x7f800000, v[34:35]
	s_xor_b32 s26, exec_lo, s10
	s_cbranch_execz .LBB6_7906
; %bb.7893:                             ;   in Loop: Header=BB6_7462 Depth=2
	v_and_b32_e32 v34, 0x7fffffff, v9
	v_mov_b32_e32 v35, v5
	v_and_b32_e32 v1, 0x80, v1
                                        ; implicit-def: $vgpr8
	s_mov_b32 s10, exec_lo
	s_delay_alu instid0(VALU_DEP_2)
	v_cmpx_gt_u64_e32 0x47600001, v[34:35]
	s_xor_b32 s27, exec_lo, s10
	s_cbranch_execz .LBB6_7903
; %bb.7894:                             ;   in Loop: Header=BB6_7462 Depth=2
	v_mov_b32_e32 v8, 0
	s_mov_b32 s28, exec_lo
	v_cmpx_ne_u32_e32 0, v9
	s_cbranch_execz .LBB6_7902
; %bb.7895:                             ;   in Loop: Header=BB6_7462 Depth=2
	v_bfe_u32 v34, v9, 23, 8
	v_or_b32_e32 v36, 0x800000, v6
	s_delay_alu instid0(VALU_DEP_2) | instskip(SKIP_1) | instid1(VALU_DEP_1)
	v_sub_nc_u32_e32 v8, 0x71, v34
	v_cmp_gt_u32_e64 s7, 0x72, v34
	v_cndmask_b32_e64 v8, 0, v8, s7
	v_cmp_eq_u32_e64 s7, 0, v34
	s_delay_alu instid0(VALU_DEP_1) | instskip(NEXT) | instid1(VALU_DEP_1)
	v_cndmask_b32_e64 v35, v8, 0x70, s7
	v_dual_cndmask_b32 v6, v36, v6, s7 :: v_dual_add_nc_u32 v8, 21, v35
	v_add_nc_u32_e32 v37, 20, v35
	s_delay_alu instid0(VALU_DEP_2) | instskip(NEXT) | instid1(VALU_DEP_2)
	v_lshlrev_b64_e64 v[8:9], v8, -1
	v_lshlrev_b64_e64 v[36:37], v37, 1
	s_delay_alu instid0(VALU_DEP_2) | instskip(SKIP_1) | instid1(VALU_DEP_4)
	v_bfi_b32 v8, v8, 0, v6
	v_lshrrev_b64 v[6:7], v35, v[6:7]
	v_bfi_b32 v9, v9, 0, 0
	s_delay_alu instid0(VALU_DEP_1) | instskip(NEXT) | instid1(VALU_DEP_3)
	v_cmp_eq_u64_e64 s10, v[8:9], v[36:37]
	v_mov_b64_e32 v[8:9], v[6:7]
	s_and_saveexec_b32 s29, s10
; %bb.7896:                             ;   in Loop: Header=BB6_7462 Depth=2
	v_bfe_u32 v8, v6, 21, 1
	v_mov_b32_e32 v9, v5
	s_delay_alu instid0(VALU_DEP_1) | instskip(NEXT) | instid1(VALU_DEP_1)
	v_add_nc_u64_e32 v[8:9], v[6:7], v[8:9]
	v_add_nc_u64_e32 v[8:9], -1, v[8:9]
; %bb.7897:                             ;   in Loop: Header=BB6_7462 Depth=2
	s_or_b32 exec_lo, exec_lo, s29
	v_add_nc_u32_e32 v7, 0xffffff81, v34
	v_lshrrev_b32_e32 v9, 23, v6
	s_mov_b32 s10, exec_lo
	s_delay_alu instid0(VALU_DEP_2) | instskip(NEXT) | instid1(VALU_DEP_1)
	v_cndmask_b32_e64 v7, v7, 0xffffff82, s7
	v_add3_u32 v9, v35, v7, v9
	v_and_b32_e32 v7, 0x1fffff, v8
                                        ; implicit-def: $vgpr8
	s_delay_alu instid0(VALU_DEP_1) | instskip(SKIP_1) | instid1(VALU_DEP_2)
	v_dual_add_nc_u32 v34, 14, v9 :: v_dual_add_nc_u32 v6, v7, v6
	v_mov_b32_e32 v7, v5
	v_cmpx_ne_u32_e32 0, v34
	s_xor_b32 s10, exec_lo, s10
; %bb.7898:                             ;   in Loop: Header=BB6_7462 Depth=2
	s_delay_alu instid0(VALU_DEP_2) | instskip(SKIP_1) | instid1(VALU_DEP_2)
	v_cmp_lt_u64_e64 s7, 0xffffff, v[6:7]
	v_add_nc_u32_e32 v8, 15, v9
	v_cndmask_b32_e64 v9, 0, 1, s7
	s_delay_alu instid0(VALU_DEP_2) | instskip(NEXT) | instid1(VALU_DEP_2)
	v_cndmask_b32_e64 v8, v34, v8, s7
	v_lshrrev_b64 v[6:7], v9, v[6:7]
; %bb.7899:                             ;   in Loop: Header=BB6_7462 Depth=2
	s_and_not1_saveexec_b32 s7, s10
; %bb.7900:                             ;   in Loop: Header=BB6_7462 Depth=2
	s_delay_alu instid0(VALU_DEP_1)
	v_bfe_u32 v8, v6, 23, 1
; %bb.7901:                             ;   in Loop: Header=BB6_7462 Depth=2
	s_or_b32 exec_lo, exec_lo, s7
	s_delay_alu instid0(VALU_DEP_2) | instskip(NEXT) | instid1(VALU_DEP_2)
	v_lshrrev_b64 v[6:7], 21, v[6:7]
	v_cmp_gt_i32_e64 s7, 32, v8
	v_min_i32_e32 v9, 31, v8
	v_cmp_eq_u32_e64 s10, 0, v8
	s_delay_alu instid0(VALU_DEP_2) | instskip(SKIP_1) | instid1(VALU_DEP_2)
	v_dual_cndmask_b32 v7, 0, v7, s7 :: v_dual_lshlrev_b32 v9, 2, v9
	v_cndmask_b32_e64 v6, 3, v6, s7
	v_and_b32_e32 v9, 0xfc, v9
	s_delay_alu instid0(VALU_DEP_2) | instskip(NEXT) | instid1(VALU_DEP_2)
	v_cmp_eq_u64_e64 s7, 0, v[6:7]
	v_and_or_b32 v6, v6, 3, v9
	s_and_b32 s7, s10, s7
	s_delay_alu instid0(VALU_DEP_1) | instid1(SALU_CYCLE_1)
	v_cndmask_b32_e64 v6, v6, 0, s7
	s_delay_alu instid0(VALU_DEP_1)
	v_or_b32_e32 v8, v6, v1
.LBB6_7902:                             ;   in Loop: Header=BB6_7462 Depth=2
	s_or_b32 exec_lo, exec_lo, s28
                                        ; implicit-def: $vgpr1
.LBB6_7903:                             ;   in Loop: Header=BB6_7462 Depth=2
	s_and_not1_saveexec_b32 s7, s27
; %bb.7904:                             ;   in Loop: Header=BB6_7462 Depth=2
	v_or_b32_e32 v8, 0x7b, v1
; %bb.7905:                             ;   in Loop: Header=BB6_7462 Depth=2
	s_or_b32 exec_lo, exec_lo, s7
                                        ; implicit-def: $vgpr9
                                        ; implicit-def: $vgpr6_vgpr7
                                        ; implicit-def: $vgpr1
.LBB6_7906:                             ;   in Loop: Header=BB6_7462 Depth=2
	s_and_not1_saveexec_b32 s10, s26
	s_cbranch_execz .LBB6_7912
; %bb.7907:                             ;   in Loop: Header=BB6_7462 Depth=2
	v_cmp_ne_u64_e64 s7, 0, v[6:7]
                                        ; implicit-def: $vgpr8
	s_and_saveexec_b32 s26, s7
	s_delay_alu instid0(SALU_CYCLE_1)
	s_xor_b32 s7, exec_lo, s26
; %bb.7908:                             ;   in Loop: Header=BB6_7462 Depth=2
	v_or_b32_e32 v8, 0x7f, v1
                                        ; implicit-def: $vgpr9
; %bb.7909:                             ;   in Loop: Header=BB6_7462 Depth=2
	s_and_not1_saveexec_b32 s26, s7
; %bb.7910:                             ;   in Loop: Header=BB6_7462 Depth=2
	v_cmp_lt_i32_e64 s7, -1, v9
	s_delay_alu instid0(VALU_DEP_1)
	v_cndmask_b32_e64 v8, 0xfc, v104, s7
; %bb.7911:                             ;   in Loop: Header=BB6_7462 Depth=2
	s_or_b32 exec_lo, exec_lo, s26
.LBB6_7912:                             ;   in Loop: Header=BB6_7462 Depth=2
	s_delay_alu instid0(SALU_CYCLE_1) | instskip(SKIP_3) | instid1(VALU_DEP_2)
	s_or_b32 exec_lo, exec_lo, s10
	v_lshrrev_b16 v6, 8, v4
	v_mov_b32_e32 v1, 0
	s_mov_b32 s10, exec_lo
	v_cmpx_ne_u16_e32 0, v6
	s_cbranch_execz .LBB6_7922
; %bb.7913:                             ;   in Loop: Header=BB6_7462 Depth=2
	v_bfrev_b32_e32 v1, 1
	s_mov_b32 s26, exec_lo
	v_cmpx_ne_u16_e32 0x80, v6
	s_cbranch_execz .LBB6_7921
; %bb.7914:                             ;   in Loop: Header=BB6_7462 Depth=2
	v_and_b32_e32 v9, 0xffff, v6
	s_delay_alu instid0(VALU_DEP_1) | instskip(SKIP_1) | instid1(VALU_DEP_2)
	v_and_b32_e32 v1, 0x7c, v9
	v_and_b32_e32 v7, 3, v9
	v_cmp_ne_u32_e64 s7, 0x7c, v1
                                        ; implicit-def: $vgpr1
	s_and_saveexec_b32 s27, s7
	s_delay_alu instid0(SALU_CYCLE_1)
	s_xor_b32 s27, exec_lo, s27
	s_cbranch_execz .LBB6_7918
; %bb.7915:                             ;   in Loop: Header=BB6_7462 Depth=2
	v_bfe_u32 v1, v9, 2, 5
	s_mov_b32 s28, exec_lo
	s_delay_alu instid0(VALU_DEP_1)
	v_cmpx_eq_u32_e32 0, v1
	s_cbranch_execz .LBB6_7917
; %bb.7916:                             ;   in Loop: Header=BB6_7462 Depth=2
	v_clz_i32_u32_e32 v1, v7
	s_delay_alu instid0(VALU_DEP_1) | instskip(SKIP_1) | instid1(VALU_DEP_2)
	v_min_u32_e32 v1, 32, v1
	v_mov_b32_e32 v7, v5
	v_subrev_nc_u32_e32 v9, 29, v1
	v_sub_nc_u32_e32 v1, 30, v1
	s_delay_alu instid0(VALU_DEP_2) | instskip(NEXT) | instid1(VALU_DEP_1)
	v_lshlrev_b64_e32 v[6:7], v9, v[6:7]
	v_and_b32_e32 v7, 3, v6
.LBB6_7917:                             ;   in Loop: Header=BB6_7462 Depth=2
	s_or_b32 exec_lo, exec_lo, s28
	v_lshlrev_b32_e32 v4, 16, v4
	s_delay_alu instid0(VALU_DEP_1) | instskip(NEXT) | instid1(VALU_DEP_1)
	v_and_b32_e32 v4, 0x80000000, v4
	v_lshl_add_u32 v1, v1, 23, v4
	s_delay_alu instid0(VALU_DEP_1) | instskip(NEXT) | instid1(VALU_DEP_1)
	v_lshl_or_b32 v1, v7, 21, v1
                                        ; implicit-def: $vgpr7
	v_add_nc_u32_e32 v1, 0x38000000, v1
.LBB6_7918:                             ;   in Loop: Header=BB6_7462 Depth=2
	s_and_not1_saveexec_b32 s27, s27
; %bb.7919:                             ;   in Loop: Header=BB6_7462 Depth=2
	v_cmp_lt_i16_e64 s7, -1, v4
	s_delay_alu instid0(VALU_DEP_1) | instskip(SKIP_1) | instid1(VALU_DEP_1)
	v_cndmask_b32_e64 v1, 0xff800000, v105, s7
	v_cmp_eq_u32_e64 s7, 0, v7
	v_cndmask_b32_e64 v1, 0x7f800001, v1, s7
; %bb.7920:                             ;   in Loop: Header=BB6_7462 Depth=2
	s_or_b32 exec_lo, exec_lo, s27
.LBB6_7921:                             ;   in Loop: Header=BB6_7462 Depth=2
	s_delay_alu instid0(SALU_CYCLE_1)
	s_or_b32 exec_lo, exec_lo, s26
.LBB6_7922:                             ;   in Loop: Header=BB6_7462 Depth=2
	s_delay_alu instid0(SALU_CYCLE_1) | instskip(SKIP_3) | instid1(VALU_DEP_1)
	s_or_b32 exec_lo, exec_lo, s10
	v_lshrrev_b16 v6, 8, v0
	s_mov_b32 s26, 0
	s_mov_b32 s10, exec_lo
	v_cmpx_lt_i16_e32 0x7f, v6
	s_xor_b32 s10, exec_lo, s10
	s_cbranch_execz .LBB6_8033
; %bb.7923:                             ;   in Loop: Header=BB6_7462 Depth=2
	s_mov_b32 s26, -1
	s_mov_b32 s27, exec_lo
	v_cmpx_eq_u16_e32 0x80, v6
; %bb.7924:                             ;   in Loop: Header=BB6_7462 Depth=2
	s_xor_b32 s26, exec_lo, -1
; %bb.7925:                             ;   in Loop: Header=BB6_7462 Depth=2
	s_or_b32 exec_lo, exec_lo, s27
	s_delay_alu instid0(SALU_CYCLE_1)
	s_and_b32 s26, s26, exec_lo
	s_or_saveexec_b32 s10, s10
	v_bfrev_b32_e32 v4, 1
	s_xor_b32 exec_lo, exec_lo, s10
	s_cbranch_execnz .LBB6_8034
.LBB6_7926:                             ;   in Loop: Header=BB6_7462 Depth=2
	s_or_b32 exec_lo, exec_lo, s10
	s_and_saveexec_b32 s10, s26
	s_cbranch_execz .LBB6_7928
.LBB6_7927:                             ;   in Loop: Header=BB6_7462 Depth=2
	v_and_b32_e32 v4, 0xffff, v6
	s_delay_alu instid0(VALU_DEP_1) | instskip(NEXT) | instid1(VALU_DEP_1)
	v_and_b32_e32 v9, 3, v4
	v_clz_i32_u32_e32 v7, v9
	s_delay_alu instid0(VALU_DEP_1) | instskip(SKIP_1) | instid1(VALU_DEP_2)
	v_min_u32_e32 v36, 32, v7
	v_mov_b32_e32 v7, v5
	v_subrev_nc_u32_e32 v34, 29, v36
	s_delay_alu instid0(VALU_DEP_1) | instskip(SKIP_3) | instid1(VALU_DEP_3)
	v_lshlrev_b64_e32 v[34:35], v34, v[6:7]
	v_bfe_u32 v7, v4, 2, 5
	v_dual_lshlrev_b32 v6, 24, v6 :: v_dual_sub_nc_u32 v35, 30, v36
	v_and_b32_e32 v4, 0x7c, v4
	v_cmp_eq_u32_e64 s7, 0, v7
	s_delay_alu instid0(VALU_DEP_3) | instskip(NEXT) | instid1(VALU_DEP_2)
	v_and_b32_e32 v6, 0x80000000, v6
	v_dual_cndmask_b32 v7, v7, v35, s7 :: v_dual_bitop2_b32 v34, 3, v34 bitop3:0x40
	s_delay_alu instid0(VALU_DEP_1) | instskip(SKIP_1) | instid1(VALU_DEP_3)
	v_cndmask_b32_e64 v34, v9, v34, s7
	v_cmp_lt_i16_e64 s7, -1, v0
	v_lshl_add_u32 v6, v7, 23, v6
	s_delay_alu instid0(VALU_DEP_2) | instskip(SKIP_1) | instid1(VALU_DEP_3)
	v_cndmask_b32_e64 v0, 0xff800000, v105, s7
	v_cmp_eq_u32_e64 s7, 0, v9
	v_lshl_or_b32 v6, v34, 21, v6
	s_delay_alu instid0(VALU_DEP_2) | instskip(NEXT) | instid1(VALU_DEP_2)
	v_cndmask_b32_e64 v0, 0x7f800001, v0, s7
	v_add_nc_u32_e32 v6, 0x38000000, v6
	v_cmp_eq_u32_e64 s7, 0x7c, v4
	s_delay_alu instid0(VALU_DEP_1)
	v_cndmask_b32_e64 v4, v6, v0, s7
.LBB6_7928:                             ;   in Loop: Header=BB6_7462 Depth=2
	s_or_b32 exec_lo, exec_lo, s10
	s_delay_alu instid0(VALU_DEP_1) | instskip(SKIP_2) | instid1(VALU_DEP_2)
	v_mul_f32_e32 v0, v1, v4
	v_mov_b32_e32 v7, v5
                                        ; implicit-def: $vgpr9
	s_mov_b32 s10, exec_lo
	v_and_b32_e32 v6, 0x7f800000, v0
	v_and_b32_e32 v4, 0x7fffff, v0
	v_lshrrev_b32_e32 v1, 24, v0
	s_delay_alu instid0(VALU_DEP_3)
	v_cmpx_ne_u64_e32 0x7f800000, v[6:7]
	s_xor_b32 s26, exec_lo, s10
	s_cbranch_execz .LBB6_7942
; %bb.7929:                             ;   in Loop: Header=BB6_7462 Depth=2
	v_and_b32_e32 v6, 0x7fffffff, v0
	v_mov_b32_e32 v7, v5
	v_and_b32_e32 v34, 0x80, v1
                                        ; implicit-def: $vgpr9
	s_mov_b32 s10, exec_lo
	s_delay_alu instid0(VALU_DEP_2)
	v_cmpx_gt_u64_e32 0x47600001, v[6:7]
	s_xor_b32 s27, exec_lo, s10
	s_cbranch_execz .LBB6_7939
; %bb.7930:                             ;   in Loop: Header=BB6_7462 Depth=2
	v_mov_b32_e32 v9, 0
	s_mov_b32 s28, exec_lo
	v_cmpx_ne_u32_e32 0, v0
	s_cbranch_execz .LBB6_7938
; %bb.7931:                             ;   in Loop: Header=BB6_7462 Depth=2
	v_bfe_u32 v9, v0, 23, 8
	v_or_b32_e32 v6, 0x800000, v4
	s_mov_b32 s29, exec_lo
	s_delay_alu instid0(VALU_DEP_2) | instskip(SKIP_1) | instid1(VALU_DEP_1)
	v_dual_mov_b32 v7, v5 :: v_dual_sub_nc_u32 v0, 0x71, v9
	v_cmp_gt_u32_e64 s7, 0x72, v9
	v_cndmask_b32_e64 v0, 0, v0, s7
	v_cmp_eq_u32_e64 s7, 0, v9
	s_delay_alu instid0(VALU_DEP_1) | instskip(NEXT) | instid1(VALU_DEP_1)
	v_cndmask_b32_e64 v35, v0, 0x70, s7
	v_dual_cndmask_b32 v6, v6, v4, s7 :: v_dual_add_nc_u32 v0, 21, v35
	v_add_nc_u32_e32 v36, 20, v35
	s_delay_alu instid0(VALU_DEP_2) | instskip(NEXT) | instid1(VALU_DEP_2)
	v_lshlrev_b64_e64 v[0:1], v0, -1
	v_lshlrev_b64_e64 v[36:37], v36, 1
	s_delay_alu instid0(VALU_DEP_2) | instskip(NEXT) | instid1(VALU_DEP_3)
	v_bfi_b32 v39, v1, 0, 0
	v_bfi_b32 v38, v0, 0, v6
	v_lshrrev_b64 v[0:1], v35, v[6:7]
	s_delay_alu instid0(VALU_DEP_1) | instskip(NEXT) | instid1(VALU_DEP_3)
	v_mov_b64_e32 v[6:7], v[0:1]
	v_cmpx_eq_u64_e64 v[38:39], v[36:37]
; %bb.7932:                             ;   in Loop: Header=BB6_7462 Depth=2
	v_bfe_u32 v6, v0, 21, 1
	v_mov_b32_e32 v7, v5
	s_delay_alu instid0(VALU_DEP_1) | instskip(NEXT) | instid1(VALU_DEP_1)
	v_add_nc_u64_e32 v[6:7], v[0:1], v[6:7]
	v_add_nc_u64_e32 v[6:7], -1, v[6:7]
; %bb.7933:                             ;   in Loop: Header=BB6_7462 Depth=2
	s_or_b32 exec_lo, exec_lo, s29
	v_add_nc_u32_e32 v1, 0xffffff81, v9
	v_lshrrev_b32_e32 v4, 23, v0
	s_mov_b32 s10, exec_lo
	s_delay_alu instid0(VALU_DEP_2) | instskip(NEXT) | instid1(VALU_DEP_1)
	v_cndmask_b32_e64 v1, v1, 0xffffff82, s7
	v_add3_u32 v7, v35, v1, v4
	v_and_b32_e32 v1, 0x1fffff, v6
                                        ; implicit-def: $vgpr6
	s_delay_alu instid0(VALU_DEP_1) | instskip(NEXT) | instid1(VALU_DEP_1)
	v_dual_add_nc_u32 v9, 14, v7 :: v_dual_add_nc_u32 v4, v1, v0
                                        ; implicit-def: $vgpr0_vgpr1
	v_cmpx_ne_u32_e32 0, v9
	s_xor_b32 s10, exec_lo, s10
; %bb.7934:                             ;   in Loop: Header=BB6_7462 Depth=2
	s_delay_alu instid0(VALU_DEP_2) | instskip(SKIP_1) | instid1(VALU_DEP_1)
	v_cmp_lt_u64_e64 s7, 0xffffff, v[4:5]
	v_add_nc_u32_e32 v0, 15, v7
	v_cndmask_b32_e64 v6, v9, v0, s7
	v_cndmask_b32_e64 v0, 0, 1, s7
	s_delay_alu instid0(VALU_DEP_1)
	v_lshrrev_b64 v[0:1], v0, v[4:5]
; %bb.7935:                             ;   in Loop: Header=BB6_7462 Depth=2
	s_and_not1_saveexec_b32 s7, s10
; %bb.7936:                             ;   in Loop: Header=BB6_7462 Depth=2
	v_mov_b64_e32 v[0:1], v[4:5]
	v_bfe_u32 v6, v4, 23, 1
; %bb.7937:                             ;   in Loop: Header=BB6_7462 Depth=2
	s_or_b32 exec_lo, exec_lo, s7
	s_delay_alu instid0(VALU_DEP_2) | instskip(NEXT) | instid1(VALU_DEP_2)
	v_lshrrev_b64 v[0:1], 21, v[0:1]
	v_cmp_gt_i32_e64 s7, 32, v6
	v_min_i32_e32 v4, 31, v6
	v_cmp_eq_u32_e64 s10, 0, v6
	s_delay_alu instid0(VALU_DEP_2) | instskip(SKIP_1) | instid1(VALU_DEP_2)
	v_dual_cndmask_b32 v1, 0, v1, s7 :: v_dual_lshlrev_b32 v4, 2, v4
	v_cndmask_b32_e64 v0, 3, v0, s7
	v_and_b32_e32 v4, 0xfc, v4
	s_delay_alu instid0(VALU_DEP_2) | instskip(NEXT) | instid1(VALU_DEP_2)
	v_cmp_eq_u64_e64 s7, 0, v[0:1]
	v_and_or_b32 v0, v0, 3, v4
	s_and_b32 s7, s10, s7
	s_delay_alu instid0(VALU_DEP_1) | instid1(SALU_CYCLE_1)
	v_cndmask_b32_e64 v0, v0, 0, s7
	s_delay_alu instid0(VALU_DEP_1)
	v_or_b32_e32 v9, v0, v34
.LBB6_7938:                             ;   in Loop: Header=BB6_7462 Depth=2
	s_or_b32 exec_lo, exec_lo, s28
                                        ; implicit-def: $vgpr34
.LBB6_7939:                             ;   in Loop: Header=BB6_7462 Depth=2
	s_and_not1_saveexec_b32 s7, s27
; %bb.7940:                             ;   in Loop: Header=BB6_7462 Depth=2
	v_or_b32_e32 v9, 0x7b, v34
; %bb.7941:                             ;   in Loop: Header=BB6_7462 Depth=2
	s_or_b32 exec_lo, exec_lo, s7
                                        ; implicit-def: $vgpr0
                                        ; implicit-def: $vgpr1
.LBB6_7942:                             ;   in Loop: Header=BB6_7462 Depth=2
	s_and_not1_saveexec_b32 s10, s26
	s_cbranch_execz .LBB6_7948
; %bb.7943:                             ;   in Loop: Header=BB6_7462 Depth=2
	v_cmp_ne_u64_e64 s7, 0, v[4:5]
                                        ; implicit-def: $vgpr9
	s_and_saveexec_b32 s26, s7
	s_delay_alu instid0(SALU_CYCLE_1)
	s_xor_b32 s7, exec_lo, s26
; %bb.7944:                             ;   in Loop: Header=BB6_7462 Depth=2
	v_or_b32_e32 v9, 0x7f, v1
                                        ; implicit-def: $vgpr0
; %bb.7945:                             ;   in Loop: Header=BB6_7462 Depth=2
	s_and_not1_saveexec_b32 s26, s7
; %bb.7946:                             ;   in Loop: Header=BB6_7462 Depth=2
	v_cmp_lt_i32_e64 s7, -1, v0
	s_delay_alu instid0(VALU_DEP_1)
	v_cndmask_b32_e64 v9, 0xfc, v104, s7
; %bb.7947:                             ;   in Loop: Header=BB6_7462 Depth=2
	s_or_b32 exec_lo, exec_lo, s26
.LBB6_7948:                             ;   in Loop: Header=BB6_7462 Depth=2
	s_delay_alu instid0(SALU_CYCLE_1) | instskip(SKIP_2) | instid1(VALU_DEP_1)
	s_or_b32 exec_lo, exec_lo, s10
	v_dual_mov_b32 v1, 0 :: v_dual_lshrrev_b32 v0, 16, v17
	s_mov_b32 s10, exec_lo
	v_and_b32_e32 v4, 0xff, v0
	s_delay_alu instid0(VALU_DEP_1)
	v_cmpx_ne_u16_e32 0, v4
	s_cbranch_execz .LBB6_7958
; %bb.7949:                             ;   in Loop: Header=BB6_7462 Depth=2
	v_bfrev_b32_e32 v1, 1
	s_mov_b32 s26, exec_lo
	v_cmpx_ne_u16_e32 0x80, v4
	s_cbranch_execz .LBB6_7957
; %bb.7950:                             ;   in Loop: Header=BB6_7462 Depth=2
	v_and_b32_e32 v1, 0x7c0000, v17
	v_bfe_u32 v4, v17, 16, 2
	s_delay_alu instid0(VALU_DEP_2) | instskip(SKIP_1) | instid1(SALU_CYCLE_1)
	v_cmp_ne_u32_e64 s7, 0x7c0000, v1
                                        ; implicit-def: $vgpr1
	s_and_saveexec_b32 s27, s7
	s_xor_b32 s27, exec_lo, s27
	s_cbranch_execz .LBB6_7954
; %bb.7951:                             ;   in Loop: Header=BB6_7462 Depth=2
	v_bfe_u32 v1, v17, 18, 5
	s_mov_b32 s28, exec_lo
	s_delay_alu instid0(VALU_DEP_1)
	v_cmpx_eq_u32_e32 0, v1
; %bb.7952:                             ;   in Loop: Header=BB6_7462 Depth=2
	v_clz_i32_u32_e32 v1, v4
	s_delay_alu instid0(VALU_DEP_1) | instskip(NEXT) | instid1(VALU_DEP_1)
	v_min_u32_e32 v1, 32, v1
	v_subrev_nc_u32_e32 v4, 29, v1
	s_delay_alu instid0(VALU_DEP_1) | instskip(NEXT) | instid1(VALU_DEP_1)
	v_lshlrev_b64_e32 v[6:7], v4, v[0:1]
	v_dual_sub_nc_u32 v1, 30, v1 :: v_dual_bitop2_b32 v4, 3, v6 bitop3:0x40
; %bb.7953:                             ;   in Loop: Header=BB6_7462 Depth=2
	s_or_b32 exec_lo, exec_lo, s28
	v_lshlrev_b32_e32 v0, 24, v0
	s_delay_alu instid0(VALU_DEP_1) | instskip(NEXT) | instid1(VALU_DEP_1)
	v_and_b32_e32 v0, 0x80000000, v0
	v_lshl_add_u32 v0, v1, 23, v0
	s_delay_alu instid0(VALU_DEP_1) | instskip(NEXT) | instid1(VALU_DEP_1)
	v_lshl_or_b32 v0, v4, 21, v0
                                        ; implicit-def: $vgpr4
	v_add_nc_u32_e32 v1, 0x38000000, v0
                                        ; implicit-def: $vgpr0
.LBB6_7954:                             ;   in Loop: Header=BB6_7462 Depth=2
	s_and_not1_saveexec_b32 s27, s27
; %bb.7955:                             ;   in Loop: Header=BB6_7462 Depth=2
	v_bfe_i32 v0, v0, 0, 8
	s_delay_alu instid0(VALU_DEP_1) | instskip(NEXT) | instid1(VALU_DEP_1)
	v_cmp_lt_i16_e64 s7, -1, v0
	v_cndmask_b32_e64 v0, 0xff800000, v105, s7
	v_cmp_eq_u32_e64 s7, 0, v4
	s_delay_alu instid0(VALU_DEP_1)
	v_cndmask_b32_e64 v1, 0x7f800001, v0, s7
; %bb.7956:                             ;   in Loop: Header=BB6_7462 Depth=2
	s_or_b32 exec_lo, exec_lo, s27
.LBB6_7957:                             ;   in Loop: Header=BB6_7462 Depth=2
	s_delay_alu instid0(SALU_CYCLE_1)
	s_or_b32 exec_lo, exec_lo, s26
.LBB6_7958:                             ;   in Loop: Header=BB6_7462 Depth=2
	s_delay_alu instid0(SALU_CYCLE_1) | instskip(SKIP_3) | instid1(VALU_DEP_1)
	s_or_b32 exec_lo, exec_lo, s10
	v_lshrrev_b32_e32 v0, 16, v13
	s_mov_b32 s26, 0
	s_mov_b32 s10, exec_lo
	v_and_b32_e32 v6, 0xff, v0
	s_delay_alu instid0(VALU_DEP_1)
	v_cmpx_lt_i16_e32 0x7f, v6
	s_xor_b32 s10, exec_lo, s10
	s_cbranch_execz .LBB6_8035
; %bb.7959:                             ;   in Loop: Header=BB6_7462 Depth=2
	s_mov_b32 s26, -1
	s_mov_b32 s27, exec_lo
	v_cmpx_eq_u16_e32 0x80, v6
; %bb.7960:                             ;   in Loop: Header=BB6_7462 Depth=2
	s_xor_b32 s26, exec_lo, -1
; %bb.7961:                             ;   in Loop: Header=BB6_7462 Depth=2
	s_or_b32 exec_lo, exec_lo, s27
	s_delay_alu instid0(SALU_CYCLE_1)
	s_and_b32 s26, s26, exec_lo
                                        ; implicit-def: $vgpr6
	s_or_saveexec_b32 s10, s10
	v_bfrev_b32_e32 v4, 1
	s_xor_b32 exec_lo, exec_lo, s10
	s_cbranch_execnz .LBB6_8036
.LBB6_7962:                             ;   in Loop: Header=BB6_7462 Depth=2
	s_or_b32 exec_lo, exec_lo, s10
	s_and_saveexec_b32 s10, s26
	s_cbranch_execz .LBB6_7964
.LBB6_7963:                             ;   in Loop: Header=BB6_7462 Depth=2
	v_and_b32_e32 v4, 3, v0
	v_bfe_u32 v35, v13, 18, 5
	s_delay_alu instid0(VALU_DEP_2) | instskip(NEXT) | instid1(VALU_DEP_2)
	v_clz_i32_u32_e32 v6, v4
	v_cmp_eq_u32_e64 s7, 0, v35
	s_delay_alu instid0(VALU_DEP_2) | instskip(NEXT) | instid1(VALU_DEP_1)
	v_min_u32_e32 v34, 32, v6
	v_subrev_nc_u32_e32 v6, 29, v34
	v_sub_nc_u32_e32 v34, 30, v34
	s_delay_alu instid0(VALU_DEP_2) | instskip(NEXT) | instid1(VALU_DEP_2)
	v_lshlrev_b64_e32 v[6:7], v6, v[0:1]
	v_dual_lshlrev_b32 v7, 24, v0 :: v_dual_cndmask_b32 v34, v35, v34, s7
	v_bfe_i32 v0, v0, 0, 8
	s_delay_alu instid0(VALU_DEP_2) | instskip(NEXT) | instid1(VALU_DEP_4)
	v_and_b32_e32 v7, 0x80000000, v7
	v_and_b32_e32 v6, 3, v6
	s_delay_alu instid0(VALU_DEP_2) | instskip(NEXT) | instid1(VALU_DEP_2)
	v_lshl_add_u32 v7, v34, 23, v7
	v_cndmask_b32_e64 v6, v4, v6, s7
	v_cmp_lt_i16_e64 s7, -1, v0
	s_delay_alu instid0(VALU_DEP_2) | instskip(NEXT) | instid1(VALU_DEP_2)
	v_lshl_or_b32 v6, v6, 21, v7
	v_cndmask_b32_e64 v0, 0xff800000, v105, s7
	v_and_b32_e32 v7, 0x7c0000, v13
	v_cmp_eq_u32_e64 s7, 0, v4
	s_delay_alu instid0(VALU_DEP_4) | instskip(NEXT) | instid1(VALU_DEP_2)
	v_add_nc_u32_e32 v4, 0x38000000, v6
	v_cndmask_b32_e64 v0, 0x7f800001, v0, s7
	s_delay_alu instid0(VALU_DEP_4) | instskip(NEXT) | instid1(VALU_DEP_1)
	v_cmp_eq_u32_e64 s7, 0x7c0000, v7
	v_cndmask_b32_e64 v4, v4, v0, s7
.LBB6_7964:                             ;   in Loop: Header=BB6_7462 Depth=2
	s_or_b32 exec_lo, exec_lo, s10
	s_delay_alu instid0(VALU_DEP_1) | instskip(SKIP_2) | instid1(VALU_DEP_2)
	v_mul_f32_e32 v0, v1, v4
	v_mov_b32_e32 v7, v5
                                        ; implicit-def: $vgpr34
	s_mov_b32 s10, exec_lo
	v_and_b32_e32 v6, 0x7f800000, v0
	v_and_b32_e32 v4, 0x7fffff, v0
	v_lshrrev_b32_e32 v1, 24, v0
	s_delay_alu instid0(VALU_DEP_3)
	v_cmpx_ne_u64_e32 0x7f800000, v[6:7]
	s_xor_b32 s26, exec_lo, s10
	s_cbranch_execz .LBB6_7978
; %bb.7965:                             ;   in Loop: Header=BB6_7462 Depth=2
	v_and_b32_e32 v6, 0x7fffffff, v0
	v_mov_b32_e32 v7, v5
	v_and_b32_e32 v35, 0x80, v1
                                        ; implicit-def: $vgpr34
	s_mov_b32 s10, exec_lo
	s_delay_alu instid0(VALU_DEP_2)
	v_cmpx_gt_u64_e32 0x47600001, v[6:7]
	s_xor_b32 s27, exec_lo, s10
	s_cbranch_execz .LBB6_7975
; %bb.7966:                             ;   in Loop: Header=BB6_7462 Depth=2
	v_mov_b32_e32 v34, 0
	s_mov_b32 s28, exec_lo
	v_cmpx_ne_u32_e32 0, v0
	s_cbranch_execz .LBB6_7974
; %bb.7967:                             ;   in Loop: Header=BB6_7462 Depth=2
	v_bfe_u32 v34, v0, 23, 8
	v_or_b32_e32 v6, 0x800000, v4
	s_mov_b32 s29, exec_lo
	s_delay_alu instid0(VALU_DEP_2) | instskip(SKIP_1) | instid1(VALU_DEP_1)
	v_dual_mov_b32 v7, v5 :: v_dual_sub_nc_u32 v0, 0x71, v34
	v_cmp_gt_u32_e64 s7, 0x72, v34
	v_cndmask_b32_e64 v0, 0, v0, s7
	v_cmp_eq_u32_e64 s7, 0, v34
	s_delay_alu instid0(VALU_DEP_1) | instskip(SKIP_1) | instid1(VALU_DEP_2)
	v_cndmask_b32_e64 v36, v0, 0x70, s7
	v_cndmask_b32_e64 v6, v6, v4, s7
	v_dual_add_nc_u32 v0, 21, v36 :: v_dual_add_nc_u32 v37, 20, v36
	s_delay_alu instid0(VALU_DEP_1) | instskip(NEXT) | instid1(VALU_DEP_2)
	v_lshlrev_b64_e64 v[0:1], v0, -1
	v_lshlrev_b64_e64 v[38:39], v37, 1
	s_delay_alu instid0(VALU_DEP_2) | instskip(NEXT) | instid1(VALU_DEP_3)
	v_bfi_b32 v49, v1, 0, 0
	v_bfi_b32 v48, v0, 0, v6
	v_lshrrev_b64 v[0:1], v36, v[6:7]
	s_delay_alu instid0(VALU_DEP_1) | instskip(NEXT) | instid1(VALU_DEP_3)
	v_mov_b64_e32 v[6:7], v[0:1]
	v_cmpx_eq_u64_e64 v[48:49], v[38:39]
; %bb.7968:                             ;   in Loop: Header=BB6_7462 Depth=2
	v_bfe_u32 v6, v0, 21, 1
	v_mov_b32_e32 v7, v5
	s_delay_alu instid0(VALU_DEP_1) | instskip(NEXT) | instid1(VALU_DEP_1)
	v_add_nc_u64_e32 v[6:7], v[0:1], v[6:7]
	v_add_nc_u64_e32 v[6:7], -1, v[6:7]
; %bb.7969:                             ;   in Loop: Header=BB6_7462 Depth=2
	s_or_b32 exec_lo, exec_lo, s29
	v_add_nc_u32_e32 v1, 0xffffff81, v34
	v_lshrrev_b32_e32 v4, 23, v0
	s_mov_b32 s10, exec_lo
	s_delay_alu instid0(VALU_DEP_2) | instskip(NEXT) | instid1(VALU_DEP_1)
	v_cndmask_b32_e64 v1, v1, 0xffffff82, s7
	v_add3_u32 v7, v36, v1, v4
	v_and_b32_e32 v1, 0x1fffff, v6
                                        ; implicit-def: $vgpr6
	s_delay_alu instid0(VALU_DEP_1) | instskip(NEXT) | instid1(VALU_DEP_1)
	v_dual_add_nc_u32 v34, 14, v7 :: v_dual_add_nc_u32 v4, v1, v0
                                        ; implicit-def: $vgpr0_vgpr1
	v_cmpx_ne_u32_e32 0, v34
	s_xor_b32 s10, exec_lo, s10
; %bb.7970:                             ;   in Loop: Header=BB6_7462 Depth=2
	s_delay_alu instid0(VALU_DEP_2) | instskip(SKIP_1) | instid1(VALU_DEP_1)
	v_cmp_lt_u64_e64 s7, 0xffffff, v[4:5]
	v_add_nc_u32_e32 v0, 15, v7
	v_cndmask_b32_e64 v6, v34, v0, s7
	v_cndmask_b32_e64 v0, 0, 1, s7
	s_delay_alu instid0(VALU_DEP_1)
	v_lshrrev_b64 v[0:1], v0, v[4:5]
; %bb.7971:                             ;   in Loop: Header=BB6_7462 Depth=2
	s_and_not1_saveexec_b32 s7, s10
; %bb.7972:                             ;   in Loop: Header=BB6_7462 Depth=2
	v_mov_b64_e32 v[0:1], v[4:5]
	v_bfe_u32 v6, v4, 23, 1
; %bb.7973:                             ;   in Loop: Header=BB6_7462 Depth=2
	s_or_b32 exec_lo, exec_lo, s7
	s_delay_alu instid0(VALU_DEP_2) | instskip(NEXT) | instid1(VALU_DEP_2)
	v_lshrrev_b64 v[0:1], 21, v[0:1]
	v_cmp_gt_i32_e64 s7, 32, v6
	v_min_i32_e32 v4, 31, v6
	v_cmp_eq_u32_e64 s10, 0, v6
	s_delay_alu instid0(VALU_DEP_2) | instskip(SKIP_1) | instid1(VALU_DEP_2)
	v_dual_cndmask_b32 v1, 0, v1, s7 :: v_dual_lshlrev_b32 v4, 2, v4
	v_cndmask_b32_e64 v0, 3, v0, s7
	v_and_b32_e32 v4, 0xfc, v4
	s_delay_alu instid0(VALU_DEP_2) | instskip(NEXT) | instid1(VALU_DEP_2)
	v_cmp_eq_u64_e64 s7, 0, v[0:1]
	v_and_or_b32 v0, v0, 3, v4
	s_and_b32 s7, s10, s7
	s_delay_alu instid0(VALU_DEP_1) | instid1(SALU_CYCLE_1)
	v_cndmask_b32_e64 v0, v0, 0, s7
	s_delay_alu instid0(VALU_DEP_1)
	v_or_b32_e32 v34, v0, v35
.LBB6_7974:                             ;   in Loop: Header=BB6_7462 Depth=2
	s_or_b32 exec_lo, exec_lo, s28
                                        ; implicit-def: $vgpr35
.LBB6_7975:                             ;   in Loop: Header=BB6_7462 Depth=2
	s_and_not1_saveexec_b32 s7, s27
; %bb.7976:                             ;   in Loop: Header=BB6_7462 Depth=2
	v_or_b32_e32 v34, 0x7b, v35
; %bb.7977:                             ;   in Loop: Header=BB6_7462 Depth=2
	s_or_b32 exec_lo, exec_lo, s7
                                        ; implicit-def: $vgpr0
                                        ; implicit-def: $vgpr1
.LBB6_7978:                             ;   in Loop: Header=BB6_7462 Depth=2
	s_and_not1_saveexec_b32 s10, s26
	s_cbranch_execz .LBB6_7984
; %bb.7979:                             ;   in Loop: Header=BB6_7462 Depth=2
	v_cmp_ne_u64_e64 s7, 0, v[4:5]
                                        ; implicit-def: $vgpr34
	s_and_saveexec_b32 s26, s7
	s_delay_alu instid0(SALU_CYCLE_1)
	s_xor_b32 s7, exec_lo, s26
; %bb.7980:                             ;   in Loop: Header=BB6_7462 Depth=2
	v_or_b32_e32 v34, 0x7f, v1
                                        ; implicit-def: $vgpr0
; %bb.7981:                             ;   in Loop: Header=BB6_7462 Depth=2
	s_and_not1_saveexec_b32 s26, s7
; %bb.7982:                             ;   in Loop: Header=BB6_7462 Depth=2
	v_cmp_lt_i32_e64 s7, -1, v0
	s_delay_alu instid0(VALU_DEP_1)
	v_cndmask_b32_e64 v34, 0xfc, v104, s7
; %bb.7983:                             ;   in Loop: Header=BB6_7462 Depth=2
	s_or_b32 exec_lo, exec_lo, s26
.LBB6_7984:                             ;   in Loop: Header=BB6_7462 Depth=2
	s_delay_alu instid0(SALU_CYCLE_1)
	s_or_b32 exec_lo, exec_lo, s10
	v_mov_b32_e32 v1, 0
	s_mov_b32 s10, exec_lo
	v_cmpx_lt_u64_e64 s[12:13], v[16:17]
	s_cbranch_execz .LBB6_7994
; %bb.7985:                             ;   in Loop: Header=BB6_7462 Depth=2
	v_lshrrev_b32_e32 v0, 24, v17
	v_bfrev_b32_e32 v1, 1
	s_mov_b32 s26, exec_lo
	s_delay_alu instid0(VALU_DEP_2)
	v_cmpx_ne_u32_e32 0x80, v0
	s_cbranch_execz .LBB6_7993
; %bb.7986:                             ;   in Loop: Header=BB6_7462 Depth=2
	v_and_b32_e32 v1, 0x7c000000, v17
	v_bfe_u32 v4, v17, 24, 2
	s_delay_alu instid0(VALU_DEP_2) | instskip(SKIP_1) | instid1(SALU_CYCLE_1)
	v_cmp_ne_u32_e64 s7, 0x7c000000, v1
                                        ; implicit-def: $vgpr1
	s_and_saveexec_b32 s27, s7
	s_xor_b32 s27, exec_lo, s27
	s_cbranch_execz .LBB6_7990
; %bb.7987:                             ;   in Loop: Header=BB6_7462 Depth=2
	v_bfe_u32 v1, v17, 26, 5
	s_mov_b32 s28, exec_lo
	s_delay_alu instid0(VALU_DEP_1)
	v_cmpx_eq_u32_e32 0, v1
; %bb.7988:                             ;   in Loop: Header=BB6_7462 Depth=2
	v_clz_i32_u32_e32 v1, v4
	s_delay_alu instid0(VALU_DEP_1) | instskip(NEXT) | instid1(VALU_DEP_1)
	v_min_u32_e32 v4, 32, v1
	v_subrev_nc_u32_e32 v1, 29, v4
	s_delay_alu instid0(VALU_DEP_1) | instskip(SKIP_1) | instid1(VALU_DEP_2)
	v_lshlrev_b64_e32 v[0:1], v1, v[0:1]
	v_sub_nc_u32_e32 v1, 30, v4
	v_and_b32_e32 v4, 3, v0
; %bb.7989:                             ;   in Loop: Header=BB6_7462 Depth=2
	s_or_b32 exec_lo, exec_lo, s28
	v_and_b32_e32 v0, 0x80000000, v17
                                        ; implicit-def: $vgpr16_vgpr17
	s_delay_alu instid0(VALU_DEP_1) | instskip(NEXT) | instid1(VALU_DEP_1)
	v_lshl_add_u32 v0, v1, 23, v0
	v_lshl_or_b32 v0, v4, 21, v0
                                        ; implicit-def: $vgpr4
	s_delay_alu instid0(VALU_DEP_1)
	v_add_nc_u32_e32 v1, 0x38000000, v0
.LBB6_7990:                             ;   in Loop: Header=BB6_7462 Depth=2
	s_and_not1_saveexec_b32 s27, s27
; %bb.7991:                             ;   in Loop: Header=BB6_7462 Depth=2
	v_cmp_lt_i64_e64 s7, -1, v[16:17]
	s_delay_alu instid0(VALU_DEP_1) | instskip(SKIP_1) | instid1(VALU_DEP_1)
	v_cndmask_b32_e64 v0, 0xff800000, v105, s7
	v_cmp_eq_u32_e64 s7, 0, v4
	v_cndmask_b32_e64 v1, 0x7f800001, v0, s7
; %bb.7992:                             ;   in Loop: Header=BB6_7462 Depth=2
	s_or_b32 exec_lo, exec_lo, s27
.LBB6_7993:                             ;   in Loop: Header=BB6_7462 Depth=2
	s_delay_alu instid0(SALU_CYCLE_1)
	s_or_b32 exec_lo, exec_lo, s26
.LBB6_7994:                             ;   in Loop: Header=BB6_7462 Depth=2
	s_delay_alu instid0(SALU_CYCLE_1) | instskip(SKIP_2) | instid1(VALU_DEP_2)
	s_or_b32 exec_lo, exec_lo, s10
	v_bfe_u32 v4, v13, 24, 2
	v_bfe_u32 v17, v13, 26, 5
	v_clz_i32_u32_e32 v0, v4
	s_delay_alu instid0(VALU_DEP_2) | instskip(NEXT) | instid1(VALU_DEP_2)
	v_cmp_eq_u32_e64 s7, 0, v17
	v_min_u32_e32 v16, 32, v0
	v_lshrrev_b32_e32 v0, 24, v13
	s_delay_alu instid0(VALU_DEP_2) | instskip(NEXT) | instid1(VALU_DEP_1)
	v_subrev_nc_u32_e32 v6, 29, v16
	v_lshlrev_b64_e32 v[6:7], v6, v[0:1]
	v_sub_nc_u32_e32 v7, 30, v16
	v_and_b32_e32 v16, 0x80000000, v13
	s_delay_alu instid0(VALU_DEP_2) | instskip(NEXT) | instid1(VALU_DEP_1)
	v_dual_cndmask_b32 v7, v17, v7, s7 :: v_dual_bitop2_b32 v6, 3, v6 bitop3:0x40
	v_lshl_add_u32 v7, v7, 23, v16
	s_delay_alu instid0(VALU_DEP_2) | instskip(SKIP_1) | instid1(VALU_DEP_2)
	v_cndmask_b32_e64 v6, v4, v6, s7
	v_cmp_lt_i64_e64 s7, -1, v[12:13]
	v_lshl_or_b32 v6, v6, 21, v7
	v_and_b32_e32 v7, 0x7c000000, v13
	s_delay_alu instid0(VALU_DEP_3) | instskip(SKIP_1) | instid1(VALU_DEP_4)
	v_cndmask_b32_e64 v16, 0xff800000, v105, s7
	v_cmp_eq_u32_e64 s7, 0, v4
	v_add_nc_u32_e32 v6, 0x38000000, v6
	s_delay_alu instid0(VALU_DEP_2) | instskip(SKIP_1) | instid1(VALU_DEP_1)
	v_cndmask_b32_e64 v4, 0x7f800001, v16, s7
	v_cmp_eq_u32_e64 s7, 0x7c000000, v7
	v_dual_mov_b32 v7, v5 :: v_dual_cndmask_b32 v4, v6, v4, s7
	v_cmp_ne_u32_e64 s7, 0x80, v0
	s_delay_alu instid0(VALU_DEP_1) | instskip(SKIP_1) | instid1(VALU_DEP_1)
	v_cndmask_b32_e64 v0, 0x80000000, v4, s7
	v_cmp_lt_u64_e64 s7, s[12:13], v[12:13]
	v_cndmask_b32_e64 v0, 0, v0, s7
	s_delay_alu instid0(VALU_DEP_1) | instskip(NEXT) | instid1(VALU_DEP_1)
	v_mul_f32_e32 v1, v0, v1
                                        ; implicit-def: $vgpr0
	v_and_b32_e32 v6, 0x7f800000, v1
	v_and_b32_e32 v4, 0x7fffff, v1
	s_delay_alu instid0(VALU_DEP_2) | instskip(SKIP_2) | instid1(SALU_CYCLE_1)
	v_cmp_ne_u64_e64 s7, 0x7f800000, v[6:7]
	v_lshrrev_b32_e32 v6, 24, v1
	s_and_saveexec_b32 s10, s7
	s_xor_b32 s26, exec_lo, s10
	s_cbranch_execz .LBB6_8008
; %bb.7995:                             ;   in Loop: Header=BB6_7462 Depth=2
	v_and_b32_e32 v12, 0x7fffffff, v1
	v_mov_b32_e32 v13, v5
                                        ; implicit-def: $vgpr0
	s_delay_alu instid0(VALU_DEP_1) | instskip(SKIP_2) | instid1(SALU_CYCLE_1)
	v_cmp_gt_u64_e64 s7, 0x47600001, v[12:13]
	v_and_b32_e32 v12, 0x80, v6
	s_and_saveexec_b32 s10, s7
	s_xor_b32 s27, exec_lo, s10
	s_cbranch_execz .LBB6_8005
; %bb.7996:                             ;   in Loop: Header=BB6_7462 Depth=2
	v_mov_b32_e32 v0, 0
	s_mov_b32 s28, exec_lo
	v_cmpx_ne_u32_e32 0, v1
	s_cbranch_execz .LBB6_8004
; %bb.7997:                             ;   in Loop: Header=BB6_7462 Depth=2
	v_bfe_u32 v13, v1, 23, 8
	v_or_b32_e32 v6, 0x800000, v4
	s_mov_b32 s29, exec_lo
	s_delay_alu instid0(VALU_DEP_2) | instskip(SKIP_1) | instid1(VALU_DEP_1)
	v_dual_mov_b32 v7, v5 :: v_dual_sub_nc_u32 v0, 0x71, v13
	v_cmp_gt_u32_e64 s7, 0x72, v13
	v_cndmask_b32_e64 v0, 0, v0, s7
	v_cmp_eq_u32_e64 s7, 0, v13
	s_delay_alu instid0(VALU_DEP_1) | instskip(SKIP_1) | instid1(VALU_DEP_2)
	v_cndmask_b32_e64 v16, v0, 0x70, s7
	v_cndmask_b32_e64 v6, v6, v4, s7
	v_dual_add_nc_u32 v0, 21, v16 :: v_dual_add_nc_u32 v17, 20, v16
	s_delay_alu instid0(VALU_DEP_1) | instskip(NEXT) | instid1(VALU_DEP_2)
	v_lshlrev_b64_e64 v[0:1], v0, -1
	v_lshlrev_b64_e64 v[36:37], v17, 1
	s_delay_alu instid0(VALU_DEP_2) | instskip(NEXT) | instid1(VALU_DEP_3)
	v_bfi_b32 v39, v1, 0, 0
	v_bfi_b32 v38, v0, 0, v6
	v_lshrrev_b64 v[0:1], v16, v[6:7]
	s_delay_alu instid0(VALU_DEP_1) | instskip(NEXT) | instid1(VALU_DEP_3)
	v_mov_b64_e32 v[6:7], v[0:1]
	v_cmpx_eq_u64_e64 v[38:39], v[36:37]
; %bb.7998:                             ;   in Loop: Header=BB6_7462 Depth=2
	v_bfe_u32 v6, v0, 21, 1
	v_mov_b32_e32 v7, v5
	s_delay_alu instid0(VALU_DEP_1) | instskip(NEXT) | instid1(VALU_DEP_1)
	v_add_nc_u64_e32 v[6:7], v[0:1], v[6:7]
	v_add_nc_u64_e32 v[6:7], -1, v[6:7]
; %bb.7999:                             ;   in Loop: Header=BB6_7462 Depth=2
	s_or_b32 exec_lo, exec_lo, s29
	v_add_nc_u32_e32 v1, 0xffffff81, v13
	v_lshrrev_b32_e32 v4, 23, v0
	s_mov_b32 s10, exec_lo
	s_delay_alu instid0(VALU_DEP_2) | instskip(NEXT) | instid1(VALU_DEP_1)
	v_cndmask_b32_e64 v1, v1, 0xffffff82, s7
	v_add3_u32 v7, v16, v1, v4
	v_and_b32_e32 v1, 0x1fffff, v6
                                        ; implicit-def: $vgpr6
	s_delay_alu instid0(VALU_DEP_1) | instskip(NEXT) | instid1(VALU_DEP_1)
	v_dual_add_nc_u32 v13, 14, v7 :: v_dual_add_nc_u32 v4, v1, v0
                                        ; implicit-def: $vgpr0_vgpr1
	v_cmpx_ne_u32_e32 0, v13
	s_xor_b32 s10, exec_lo, s10
; %bb.8000:                             ;   in Loop: Header=BB6_7462 Depth=2
	s_delay_alu instid0(VALU_DEP_2) | instskip(SKIP_1) | instid1(VALU_DEP_1)
	v_cmp_lt_u64_e64 s7, 0xffffff, v[4:5]
	v_add_nc_u32_e32 v0, 15, v7
	v_cndmask_b32_e64 v6, v13, v0, s7
	v_cndmask_b32_e64 v0, 0, 1, s7
	s_delay_alu instid0(VALU_DEP_1)
	v_lshrrev_b64 v[0:1], v0, v[4:5]
; %bb.8001:                             ;   in Loop: Header=BB6_7462 Depth=2
	s_and_not1_saveexec_b32 s7, s10
; %bb.8002:                             ;   in Loop: Header=BB6_7462 Depth=2
	v_mov_b64_e32 v[0:1], v[4:5]
	v_bfe_u32 v6, v4, 23, 1
; %bb.8003:                             ;   in Loop: Header=BB6_7462 Depth=2
	s_or_b32 exec_lo, exec_lo, s7
	s_delay_alu instid0(VALU_DEP_2) | instskip(NEXT) | instid1(VALU_DEP_2)
	v_lshrrev_b64 v[0:1], 21, v[0:1]
	v_cmp_gt_i32_e64 s7, 32, v6
	v_min_i32_e32 v4, 31, v6
	v_cmp_eq_u32_e64 s10, 0, v6
	s_delay_alu instid0(VALU_DEP_2) | instskip(SKIP_1) | instid1(VALU_DEP_2)
	v_dual_cndmask_b32 v1, 0, v1, s7 :: v_dual_lshlrev_b32 v4, 2, v4
	v_cndmask_b32_e64 v0, 3, v0, s7
	v_and_b32_e32 v4, 0xfc, v4
	s_delay_alu instid0(VALU_DEP_2) | instskip(NEXT) | instid1(VALU_DEP_2)
	v_cmp_eq_u64_e64 s7, 0, v[0:1]
	v_and_or_b32 v0, v0, 3, v4
	s_and_b32 s7, s10, s7
	s_delay_alu instid0(VALU_DEP_1) | instid1(SALU_CYCLE_1)
	v_cndmask_b32_e64 v0, v0, 0, s7
	s_delay_alu instid0(VALU_DEP_1)
	v_or_b32_e32 v0, v0, v12
.LBB6_8004:                             ;   in Loop: Header=BB6_7462 Depth=2
	s_or_b32 exec_lo, exec_lo, s28
                                        ; implicit-def: $vgpr12
.LBB6_8005:                             ;   in Loop: Header=BB6_7462 Depth=2
	s_and_not1_saveexec_b32 s7, s27
; %bb.8006:                             ;   in Loop: Header=BB6_7462 Depth=2
	v_or_b32_e32 v0, 0x7b, v12
; %bb.8007:                             ;   in Loop: Header=BB6_7462 Depth=2
	s_or_b32 exec_lo, exec_lo, s7
                                        ; implicit-def: $vgpr1
                                        ; implicit-def: $vgpr6
.LBB6_8008:                             ;   in Loop: Header=BB6_7462 Depth=2
	s_and_not1_saveexec_b32 s10, s26
	s_cbranch_execz .LBB6_7461
; %bb.8009:                             ;   in Loop: Header=BB6_7462 Depth=2
	v_cmp_ne_u64_e64 s7, 0, v[4:5]
                                        ; implicit-def: $vgpr0
	s_and_saveexec_b32 s26, s7
	s_delay_alu instid0(SALU_CYCLE_1)
	s_xor_b32 s7, exec_lo, s26
; %bb.8010:                             ;   in Loop: Header=BB6_7462 Depth=2
	v_or_b32_e32 v0, 0x7f, v6
                                        ; implicit-def: $vgpr1
; %bb.8011:                             ;   in Loop: Header=BB6_7462 Depth=2
	s_and_not1_saveexec_b32 s26, s7
	s_cbranch_execz .LBB6_7460
; %bb.8012:                             ;   in Loop: Header=BB6_7462 Depth=2
	v_cmp_lt_i32_e64 s7, -1, v1
	s_delay_alu instid0(VALU_DEP_1)
	v_cndmask_b32_e64 v0, 0xfc, v104, s7
	s_branch .LBB6_7460
.LBB6_8013:                             ;   in Loop: Header=BB6_7462 Depth=2
	s_or_saveexec_b32 s10, s10
	v_bfrev_b32_e32 v1, 1
	s_xor_b32 exec_lo, exec_lo, s10
	s_cbranch_execz .LBB6_7476
.LBB6_8014:                             ;   in Loop: Header=BB6_7462 Depth=2
	v_cmp_ne_u16_e64 s7, 0, v4
	v_mov_b32_e32 v1, 0
	s_and_not1_b32 s26, s26, exec_lo
	s_and_b32 s7, s7, exec_lo
	s_delay_alu instid0(SALU_CYCLE_1)
	s_or_b32 s26, s26, s7
	s_or_b32 exec_lo, exec_lo, s10
	s_and_saveexec_b32 s10, s26
	s_cbranch_execnz .LBB6_7477
	s_branch .LBB6_7478
.LBB6_8015:                             ;   in Loop: Header=BB6_7462 Depth=2
	s_or_saveexec_b32 s10, s10
	v_bfrev_b32_e32 v1, 1
	s_xor_b32 exec_lo, exec_lo, s10
	s_cbranch_execz .LBB6_7512
.LBB6_8016:                             ;   in Loop: Header=BB6_7462 Depth=2
	v_cmp_ne_u16_e64 s7, 0, v0
	v_mov_b32_e32 v1, 0
	s_and_not1_b32 s26, s26, exec_lo
	s_and_b32 s7, s7, exec_lo
	s_delay_alu instid0(SALU_CYCLE_1)
	s_or_b32 s26, s26, s7
	s_or_b32 exec_lo, exec_lo, s10
	s_and_saveexec_b32 s10, s26
	s_cbranch_execnz .LBB6_7513
	s_branch .LBB6_7514
.LBB6_8017:                             ;   in Loop: Header=BB6_7462 Depth=2
	s_or_saveexec_b32 s10, s10
	v_bfrev_b32_e32 v4, 1
	s_xor_b32 exec_lo, exec_lo, s10
	s_cbranch_execz .LBB6_7548
.LBB6_8018:                             ;   in Loop: Header=BB6_7462 Depth=2
	v_cmp_ne_u16_e64 s7, 0, v6
	v_mov_b32_e32 v4, 0
	s_and_not1_b32 s26, s26, exec_lo
	s_and_b32 s7, s7, exec_lo
	s_delay_alu instid0(SALU_CYCLE_1)
	s_or_b32 s26, s26, s7
	s_or_b32 exec_lo, exec_lo, s10
	s_and_saveexec_b32 s10, s26
	s_cbranch_execnz .LBB6_7549
	s_branch .LBB6_7550
.LBB6_8019:                             ;   in Loop: Header=BB6_7462 Depth=2
	s_or_saveexec_b32 s10, s10
	v_bfrev_b32_e32 v7, 1
	s_xor_b32 exec_lo, exec_lo, s10
	s_cbranch_execz .LBB6_7614
.LBB6_8020:                             ;   in Loop: Header=BB6_7462 Depth=2
	v_cmp_ne_u16_e64 s7, 0, v1
	v_mov_b32_e32 v7, 0
	s_and_not1_b32 s26, s26, exec_lo
	s_and_b32 s7, s7, exec_lo
	s_delay_alu instid0(SALU_CYCLE_1)
	s_or_b32 s26, s26, s7
	s_or_b32 exec_lo, exec_lo, s10
	v_mov_b32_e32 v1, v5
	s_and_saveexec_b32 s10, s26
	s_cbranch_execnz .LBB6_7615
	s_branch .LBB6_7616
.LBB6_8021:                             ;   in Loop: Header=BB6_7462 Depth=2
	s_or_saveexec_b32 s10, s10
	v_bfrev_b32_e32 v4, 1
	s_xor_b32 exec_lo, exec_lo, s10
	s_cbranch_execz .LBB6_7650
.LBB6_8022:                             ;   in Loop: Header=BB6_7462 Depth=2
	v_cmp_ne_u16_e64 s7, 0, v6
	v_mov_b32_e32 v4, 0
	s_and_not1_b32 s26, s26, exec_lo
	s_and_b32 s7, s7, exec_lo
	s_delay_alu instid0(SALU_CYCLE_1)
	s_or_b32 s26, s26, s7
	s_or_b32 exec_lo, exec_lo, s10
	s_and_saveexec_b32 s10, s26
	s_cbranch_execnz .LBB6_7651
	s_branch .LBB6_7652
.LBB6_8023:                             ;   in Loop: Header=BB6_7462 Depth=2
	s_or_saveexec_b32 s10, s10
	v_bfrev_b32_e32 v4, 1
	s_xor_b32 exec_lo, exec_lo, s10
	s_cbranch_execz .LBB6_7686
.LBB6_8024:                             ;   in Loop: Header=BB6_7462 Depth=2
	v_cmp_ne_u16_e64 s7, 0, v6
	v_mov_b32_e32 v4, 0
	s_and_not1_b32 s26, s26, exec_lo
	s_and_b32 s7, s7, exec_lo
	s_delay_alu instid0(SALU_CYCLE_1)
	s_or_b32 s26, s26, s7
	s_or_b32 exec_lo, exec_lo, s10
	s_and_saveexec_b32 s10, s26
	s_cbranch_execnz .LBB6_7687
	s_branch .LBB6_7688
.LBB6_8025:                             ;   in Loop: Header=BB6_7462 Depth=2
	s_or_saveexec_b32 s10, s10
	v_bfrev_b32_e32 v1, 1
	s_xor_b32 exec_lo, exec_lo, s10
	s_cbranch_execz .LBB6_7752
.LBB6_8026:                             ;   in Loop: Header=BB6_7462 Depth=2
	v_cmp_ne_u16_e64 s7, 0, v4
	v_mov_b32_e32 v1, 0
	s_and_not1_b32 s26, s26, exec_lo
	s_and_b32 s7, s7, exec_lo
	s_delay_alu instid0(SALU_CYCLE_1)
	s_or_b32 s26, s26, s7
	s_or_b32 exec_lo, exec_lo, s10
	s_and_saveexec_b32 s10, s26
	s_cbranch_execnz .LBB6_7753
	s_branch .LBB6_7754
.LBB6_8027:                             ;   in Loop: Header=BB6_7462 Depth=2
	s_or_saveexec_b32 s10, s10
	v_bfrev_b32_e32 v1, 1
	s_xor_b32 exec_lo, exec_lo, s10
	s_cbranch_execz .LBB6_7788
.LBB6_8028:                             ;   in Loop: Header=BB6_7462 Depth=2
	v_cmp_ne_u16_e64 s7, 0, v0
	v_mov_b32_e32 v1, 0
	s_and_not1_b32 s26, s26, exec_lo
	s_and_b32 s7, s7, exec_lo
	s_delay_alu instid0(SALU_CYCLE_1)
	s_or_b32 s26, s26, s7
	s_or_b32 exec_lo, exec_lo, s10
	s_and_saveexec_b32 s10, s26
	s_cbranch_execnz .LBB6_7789
	s_branch .LBB6_7790
.LBB6_8029:                             ;   in Loop: Header=BB6_7462 Depth=2
	s_or_saveexec_b32 s10, s10
	v_bfrev_b32_e32 v4, 1
	s_xor_b32 exec_lo, exec_lo, s10
	s_cbranch_execz .LBB6_7824
.LBB6_8030:                             ;   in Loop: Header=BB6_7462 Depth=2
	v_cmp_ne_u16_e64 s7, 0, v6
	v_mov_b32_e32 v4, 0
	s_and_not1_b32 s26, s26, exec_lo
	s_and_b32 s7, s7, exec_lo
	s_delay_alu instid0(SALU_CYCLE_1)
	s_or_b32 s26, s26, s7
	s_or_b32 exec_lo, exec_lo, s10
	s_and_saveexec_b32 s10, s26
	s_cbranch_execnz .LBB6_7825
	s_branch .LBB6_7826
.LBB6_8031:                             ;   in Loop: Header=BB6_7462 Depth=2
	s_or_saveexec_b32 s10, s10
	v_bfrev_b32_e32 v7, 1
	s_xor_b32 exec_lo, exec_lo, s10
	s_cbranch_execz .LBB6_7890
.LBB6_8032:                             ;   in Loop: Header=BB6_7462 Depth=2
	v_cmp_ne_u16_e64 s7, 0, v1
	v_mov_b32_e32 v7, 0
	s_and_not1_b32 s26, s26, exec_lo
	s_and_b32 s7, s7, exec_lo
	s_delay_alu instid0(SALU_CYCLE_1)
	s_or_b32 s26, s26, s7
	s_or_b32 exec_lo, exec_lo, s10
	v_mov_b32_e32 v1, v5
	s_and_saveexec_b32 s10, s26
	s_cbranch_execnz .LBB6_7891
	s_branch .LBB6_7892
.LBB6_8033:                             ;   in Loop: Header=BB6_7462 Depth=2
	s_or_saveexec_b32 s10, s10
	v_bfrev_b32_e32 v4, 1
	s_xor_b32 exec_lo, exec_lo, s10
	s_cbranch_execz .LBB6_7926
.LBB6_8034:                             ;   in Loop: Header=BB6_7462 Depth=2
	v_cmp_ne_u16_e64 s7, 0, v6
	v_mov_b32_e32 v4, 0
	s_and_not1_b32 s26, s26, exec_lo
	s_and_b32 s7, s7, exec_lo
	s_delay_alu instid0(SALU_CYCLE_1)
	s_or_b32 s26, s26, s7
	s_or_b32 exec_lo, exec_lo, s10
	s_and_saveexec_b32 s10, s26
	s_cbranch_execnz .LBB6_7927
	s_branch .LBB6_7928
.LBB6_8035:                             ;   in Loop: Header=BB6_7462 Depth=2
	s_or_saveexec_b32 s10, s10
	v_bfrev_b32_e32 v4, 1
	s_xor_b32 exec_lo, exec_lo, s10
	s_cbranch_execz .LBB6_7962
.LBB6_8036:                             ;   in Loop: Header=BB6_7462 Depth=2
	v_cmp_ne_u16_e64 s7, 0, v6
	v_mov_b32_e32 v4, 0
	s_and_not1_b32 s26, s26, exec_lo
	s_and_b32 s7, s7, exec_lo
	s_delay_alu instid0(SALU_CYCLE_1)
	s_or_b32 s26, s26, s7
	s_or_b32 exec_lo, exec_lo, s10
	s_and_saveexec_b32 s10, s26
	s_cbranch_execnz .LBB6_7963
	s_branch .LBB6_7964
.LBB6_8037:                             ;   in Loop: Header=BB6_4821 Depth=1
	s_or_b32 exec_lo, exec_lo, s25
.LBB6_8038:                             ;   in Loop: Header=BB6_4821 Depth=1
	s_delay_alu instid0(SALU_CYCLE_1) | instskip(SKIP_3) | instid1(VALU_DEP_1)
	s_or_b32 exec_lo, exec_lo, s24
	v_dual_mov_b32 v4, 0 :: v_dual_bitop2_b32 v0, 15, v108 bitop3:0x40
	s_mov_b32 s10, 0
	s_mov_b32 s24, exec_lo
                                        ; implicit-def: $vgpr7
	v_cndmask_b32_e32 v3, v24, v0, vcc_lo
                                        ; implicit-def: $vgpr0
	s_delay_alu instid0(VALU_DEP_1)
	v_cmpx_ne_u32_e32 0, v3
	s_cbranch_execz .LBB6_8040
; %bb.8039:                             ;   in Loop: Header=BB6_4821 Depth=1
	scratch_load_b64 v[0:1], off, s33 offset:236 ; 8-byte Folded Reload
	v_cmp_lt_i32_e64 s7, 0, v23
	s_wait_loadcnt 0x0
	v_and_b32_e32 v1, 0x1f0, v108
	s_mov_b32 s10, exec_lo
	s_delay_alu instid0(VALU_DEP_1) | instskip(NEXT) | instid1(VALU_DEP_1)
	v_cndmask_b32_e32 v1, 0, v1, vcc_lo
	v_and_or_b32 v4, 0x3ffffe00, v108, v1
	v_cndmask_b32_e64 v0, 0, v0, s7
	s_delay_alu instid0(VALU_DEP_1) | instskip(NEXT) | instid1(VALU_DEP_1)
	v_sub_nc_u32_e32 v0, v0, v23
	v_lshl_add_u32 v7, v0, 5, v22
	s_delay_alu instid0(VALU_DEP_1) | instskip(NEXT) | instid1(VALU_DEP_1)
	v_ashrrev_i32_e32 v0, 31, v7
	v_lshrrev_b32_e32 v0, 27, v0
	s_delay_alu instid0(VALU_DEP_1) | instskip(NEXT) | instid1(VALU_DEP_1)
	v_add_nc_u32_e32 v0, v7, v0
	v_ashrrev_i32_e32 v0, 5, v0
.LBB6_8040:                             ;   in Loop: Header=BB6_4821 Depth=1
	s_wait_xcnt 0x0
	s_or_b32 exec_lo, exec_lo, s24
	s_delay_alu instid0(SALU_CYCLE_1)
	s_and_b32 s7, s10, exec_lo
.LBB6_8041:                             ;   in Loop: Header=BB6_4821 Depth=1
	s_or_b32 exec_lo, exec_lo, s23
	s_and_saveexec_b32 s10, s7
	s_cbranch_execz .LBB6_9502
.LBB6_8042:                             ;   in Loop: Header=BB6_4821 Depth=1
	v_lshrrev_b32_e32 v1, 10, v3
	s_mov_b32 s23, exec_lo
	s_delay_alu instid0(VALU_DEP_1) | instskip(NEXT) | instid1(VALU_DEP_1)
	v_dual_sub_nc_u32 v126, v1, v0 :: v_dual_ashrrev_i32 v1, 31, v7
	v_lshrrev_b32_e32 v1, 27, v1
	s_delay_alu instid0(VALU_DEP_2)
	v_cmpx_lt_i32_e32 0, v126
	s_cbranch_execz .LBB6_9454
; %bb.8043:                             ;   in Loop: Header=BB6_4821 Depth=1
	s_clause 0x5
	scratch_store_b32 off, v3, s33 offset:408
	scratch_store_b32 off, v108, s33 offset:400
	;; [unrolled: 1-line block ×3, first 2 shown]
	scratch_store_b64 off, v[106:107], s33 offset:384
	scratch_store_b64 off, v[94:95], s33 offset:376
	;; [unrolled: 1-line block ×3, first 2 shown]
	s_wait_loadcnt 0x0
	s_clause 0x3
	scratch_store_b64 off, v[76:77], s33 offset:268
	scratch_store_b128 off, v[60:63], s33 offset:252
	scratch_store_b32 off, v59, s33 offset:344
	scratch_store_b32 off, v1, s33 offset:416
	s_wait_xcnt 0x0
	v_add_nc_u32_e32 v1, v7, v1
	s_trap 2
	ds_load_b64 v[2:3], v0
	v_lshlrev_b32_e32 v0, 10, v0
	s_clause 0x1
	scratch_store_b32 off, v7, s33 offset:412
	scratch_store_b32 off, v4, s33 offset:404
	v_and_b32_e32 v1, 0xffffffe0, v1
	s_mov_b32 s24, 0
	s_delay_alu instid0(VALU_DEP_1) | instskip(SKIP_2) | instid1(VALU_DEP_2)
	v_sub_nc_u32_e32 v1, v7, v1
	s_wait_xcnt 0x1
	v_add_nc_u64_e32 v[6:7], 0x3e0, v[40:41]
	v_add3_u32 v0, v4, v1, v0
	s_delay_alu instid0(VALU_DEP_1) | instskip(NEXT) | instid1(VALU_DEP_1)
	v_ashrrev_i32_e32 v1, 31, v0
	v_add_nc_u64_e32 v[10:11], v[0:1], v[118:119]
	s_wait_dscnt 0x0
	v_add_nc_u64_e32 v[12:13], v[2:3], v[0:1]
	v_add_nc_u64_e32 v[14:15], v[6:7], v[0:1]
	s_branch .LBB6_8046
.LBB6_8044:                             ;   in Loop: Header=BB6_8046 Depth=2
	s_or_b32 exec_lo, exec_lo, s25
.LBB6_8045:                             ;   in Loop: Header=BB6_8046 Depth=2
	s_delay_alu instid0(SALU_CYCLE_1)
	s_or_b32 exec_lo, exec_lo, s7
	s_clause 0x17
	flat_store_b8 v[14:15], v86 offset:-992 th:TH_STORE_NT
	flat_store_b8 v[14:15], v18 offset:-960 th:TH_STORE_NT
	flat_store_b8 v[14:15], v19 offset:-928 th:TH_STORE_NT
	flat_store_b8 v[14:15], v16 offset:-896 th:TH_STORE_NT
	flat_store_b8 v[14:15], v8 offset:-864 th:TH_STORE_NT
	flat_store_b8 v[14:15], v9 offset:-832 th:TH_STORE_NT
	flat_store_b8 v[14:15], v17 offset:-800 th:TH_STORE_NT
	flat_store_b8 v[14:15], v20 offset:-768 th:TH_STORE_NT
	flat_store_b8 v[14:15], v21 offset:-736 th:TH_STORE_NT
	flat_store_b8 v[14:15], v24 offset:-704 th:TH_STORE_NT
	flat_store_b8 v[14:15], v22 offset:-672 th:TH_STORE_NT
	flat_store_b8 v[14:15], v23 offset:-640 th:TH_STORE_NT
	flat_store_b8 v[14:15], v25 offset:-608 th:TH_STORE_NT
	flat_store_b8 v[14:15], v30 offset:-576 th:TH_STORE_NT
	flat_store_b8 v[14:15], v6 offset:-544 th:TH_STORE_NT
	flat_store_b8 v[14:15], v7 offset:-512 th:TH_STORE_NT
	flat_store_b8 v[14:15], v31 offset:-480 th:TH_STORE_NT
	flat_store_b8 v[14:15], v52 offset:-448 th:TH_STORE_NT
	flat_store_b8 v[14:15], v53 offset:-416 th:TH_STORE_NT
	flat_store_b8 v[14:15], v54 offset:-384 th:TH_STORE_NT
	flat_store_b8 v[14:15], v55 offset:-352 th:TH_STORE_NT
	flat_store_b8 v[14:15], v64 offset:-320 th:TH_STORE_NT
	flat_store_b8 v[14:15], v65 offset:-288 th:TH_STORE_NT
	flat_store_b8 v[14:15], v66 offset:-256 th:TH_STORE_NT
	scratch_load_b64 v[2:3], off, s33 offset:236 ; 8-byte Folded Reload
	s_clause 0x7
	flat_store_b8 v[14:15], v67 offset:-224 th:TH_STORE_NT
	flat_store_b8 v[14:15], v50 offset:-192 th:TH_STORE_NT
	;; [unrolled: 1-line block ×7, first 2 shown]
	flat_store_b8 v[14:15], v1 th:TH_STORE_NT
	scratch_load_b64 v[0:1], off, s33 offset:244 ; 8-byte Folded Reload
	s_wait_loadcnt 0x1
	v_sub_nc_u32_e32 v126, v126, v2
	s_wait_loadcnt 0x0
	v_add_nc_u64_e32 v[10:11], v[10:11], v[0:1]
	v_add_nc_u64_e32 v[12:13], v[12:13], v[0:1]
	v_add_nc_u64_e32 v[14:15], v[14:15], v[0:1]
	v_cmp_gt_i32_e32 vcc_lo, 1, v126
	s_or_b32 s24, vcc_lo, s24
	s_wait_xcnt 0x0
	s_and_not1_b32 exec_lo, exec_lo, s24
	s_cbranch_execz .LBB6_9453
.LBB6_8046:                             ;   Parent Loop BB6_4821 Depth=1
                                        ; =>  This Inner Loop Header: Depth=2
	s_clause 0x1d
	flat_load_i8 v0, v[10:11] th:TH_LOAD_NT
	flat_load_i8 v20, v[10:11] offset:32 th:TH_LOAD_NT
	flat_load_i8 v16, v[10:11] offset:64 th:TH_LOAD_NT
	;; [unrolled: 1-line block ×29, first 2 shown]
	v_dual_mov_b32 v3, 0 :: v_dual_mov_b32 v1, 0
	s_mov_b32 s25, exec_lo
	s_wait_loadcnt_dscnt 0x0
	scratch_store_b64 off, v[4:5], s33 offset:228 ; 8-byte Folded Spill
	flat_load_i8 v4, v[10:11] offset:960 th:TH_LOAD_NT
	s_wait_loadcnt_dscnt 0x0
	scratch_store_b64 off, v[4:5], s33 offset:212 ; 8-byte Folded Spill
	flat_load_i8 v4, v[10:11] offset:992 th:TH_LOAD_NT
	s_wait_loadcnt_dscnt 0x0
	scratch_store_b64 off, v[4:5], s33 offset:196 ; 8-byte Folded Spill
	s_clause 0x1d
	flat_load_i8 v86, v[12:13] th:TH_LOAD_NT
	flat_load_i8 v18, v[12:13] offset:32 th:TH_LOAD_NT
	flat_load_i8 v70, v[12:13] offset:64 th:TH_LOAD_NT
	;; [unrolled: 1-line block ×29, first 2 shown]
	s_wait_loadcnt_dscnt 0x0
	scratch_store_b64 off, v[4:5], s33 offset:220 ; 8-byte Folded Spill
	flat_load_i8 v4, v[12:13] offset:960 th:TH_LOAD_NT
	s_wait_loadcnt_dscnt 0x0
	scratch_store_b64 off, v[4:5], s33 offset:204 ; 8-byte Folded Spill
	flat_load_i8 v4, v[12:13] offset:992 th:TH_LOAD_NT
	s_wait_loadcnt_dscnt 0x0
	scratch_store_b64 off, v[4:5], s33 offset:188 ; 8-byte Folded Spill
	s_wait_xcnt 0x0
	v_cmpx_ne_u16_e32 0, v0
	s_cbranch_execz .LBB6_8056
; %bb.8047:                             ;   in Loop: Header=BB6_8046 Depth=2
	v_bfrev_b32_e32 v1, 1
	s_mov_b32 s26, exec_lo
	v_cmpx_ne_u16_e32 0xff80, v0
	s_cbranch_execz .LBB6_8055
; %bb.8048:                             ;   in Loop: Header=BB6_8046 Depth=2
	v_and_b32_e32 v1, 0x7c, v0
	v_and_b32_e32 v4, 3, v0
	s_delay_alu instid0(VALU_DEP_2) | instskip(SKIP_1) | instid1(SALU_CYCLE_1)
	v_cmp_ne_u32_e32 vcc_lo, 0x7c, v1
                                        ; implicit-def: $vgpr1
	s_and_saveexec_b32 s7, vcc_lo
	s_xor_b32 s7, exec_lo, s7
	s_cbranch_execz .LBB6_8052
; %bb.8049:                             ;   in Loop: Header=BB6_8046 Depth=2
	v_and_b32_e32 v1, 0xff, v0
	s_mov_b32 s27, exec_lo
	s_delay_alu instid0(VALU_DEP_1) | instskip(NEXT) | instid1(VALU_DEP_1)
	v_bfe_u32 v1, v1, 2, 5
	v_cmpx_eq_u32_e32 0, v1
; %bb.8050:                             ;   in Loop: Header=BB6_8046 Depth=2
	v_clz_i32_u32_e32 v1, v4
	s_delay_alu instid0(VALU_DEP_1) | instskip(SKIP_1) | instid1(VALU_DEP_2)
	v_min_u32_e32 v4, 32, v1
	v_mov_b32_e32 v1, v5
	v_subrev_nc_u32_e32 v7, 29, v4
	s_delay_alu instid0(VALU_DEP_1) | instskip(NEXT) | instid1(VALU_DEP_1)
	v_lshlrev_b64_e32 v[26:27], v7, v[0:1]
	v_dual_sub_nc_u32 v1, 30, v4 :: v_dual_bitop2_b32 v4, 3, v26 bitop3:0x40
; %bb.8051:                             ;   in Loop: Header=BB6_8046 Depth=2
	s_or_b32 exec_lo, exec_lo, s27
	v_bfe_i32 v0, v0, 0, 16
	s_delay_alu instid0(VALU_DEP_1) | instskip(NEXT) | instid1(VALU_DEP_1)
	v_and_b32_e32 v0, 0x80000000, v0
	v_lshl_add_u32 v0, v1, 23, v0
	s_delay_alu instid0(VALU_DEP_1) | instskip(NEXT) | instid1(VALU_DEP_1)
	v_lshl_or_b32 v0, v4, 21, v0
                                        ; implicit-def: $vgpr4
	v_add_nc_u32_e32 v1, 0x38000000, v0
                                        ; implicit-def: $vgpr0
.LBB6_8052:                             ;   in Loop: Header=BB6_8046 Depth=2
	s_and_not1_saveexec_b32 s27, s7
; %bb.8053:                             ;   in Loop: Header=BB6_8046 Depth=2
	v_cmp_lt_i16_e64 s7, -1, v0
	v_cmp_eq_u32_e32 vcc_lo, 0, v4
	s_delay_alu instid0(VALU_DEP_2) | instskip(NEXT) | instid1(VALU_DEP_1)
	v_cndmask_b32_e64 v0, 0xff800000, v105, s7
	v_cndmask_b32_e32 v1, 0x7f800001, v0, vcc_lo
; %bb.8054:                             ;   in Loop: Header=BB6_8046 Depth=2
	s_or_b32 exec_lo, exec_lo, s27
.LBB6_8055:                             ;   in Loop: Header=BB6_8046 Depth=2
	s_delay_alu instid0(SALU_CYCLE_1)
	s_or_b32 exec_lo, exec_lo, s26
.LBB6_8056:                             ;   in Loop: Header=BB6_8046 Depth=2
	s_delay_alu instid0(SALU_CYCLE_1) | instskip(NEXT) | instid1(SALU_CYCLE_1)
	s_or_b32 exec_lo, exec_lo, s25
	s_mov_b32 s7, exec_lo
	v_cmpx_ne_u16_e32 0, v86
	s_cbranch_execz .LBB6_8066
; %bb.8057:                             ;   in Loop: Header=BB6_8046 Depth=2
	v_bfrev_b32_e32 v3, 1
	s_mov_b32 s25, exec_lo
	v_cmpx_ne_u16_e32 0xff80, v86
	s_cbranch_execz .LBB6_8065
; %bb.8058:                             ;   in Loop: Header=BB6_8046 Depth=2
	v_and_b32_e32 v3, 0x7c, v86
	v_and_b32_e32 v0, 3, v86
	s_delay_alu instid0(VALU_DEP_2) | instskip(SKIP_1) | instid1(SALU_CYCLE_1)
	v_cmp_ne_u32_e32 vcc_lo, 0x7c, v3
                                        ; implicit-def: $vgpr3
	s_and_saveexec_b32 s26, vcc_lo
	s_xor_b32 s26, exec_lo, s26
	s_cbranch_execz .LBB6_8062
; %bb.8059:                             ;   in Loop: Header=BB6_8046 Depth=2
	v_and_b32_e32 v3, 0xff, v86
	s_mov_b32 s27, exec_lo
	s_delay_alu instid0(VALU_DEP_1) | instskip(NEXT) | instid1(VALU_DEP_1)
	v_bfe_u32 v3, v3, 2, 5
	v_cmpx_eq_u32_e32 0, v3
; %bb.8060:                             ;   in Loop: Header=BB6_8046 Depth=2
	v_clz_i32_u32_e32 v0, v0
	s_delay_alu instid0(VALU_DEP_1) | instskip(SKIP_1) | instid1(VALU_DEP_2)
	v_min_u32_e32 v0, 32, v0
	v_mov_b32_e32 v87, v5
	v_subrev_nc_u32_e32 v3, 29, v0
	s_delay_alu instid0(VALU_DEP_1) | instskip(NEXT) | instid1(VALU_DEP_1)
	v_lshlrev_b64_e32 v[26:27], v3, v[86:87]
	v_dual_sub_nc_u32 v3, 30, v0 :: v_dual_bitop2_b32 v0, 3, v26 bitop3:0x40
; %bb.8061:                             ;   in Loop: Header=BB6_8046 Depth=2
	s_or_b32 exec_lo, exec_lo, s27
	v_bfe_i32 v4, v86, 0, 16
                                        ; implicit-def: $vgpr86
	s_delay_alu instid0(VALU_DEP_1) | instskip(NEXT) | instid1(VALU_DEP_1)
	v_and_b32_e32 v4, 0x80000000, v4
	v_lshl_add_u32 v3, v3, 23, v4
	s_delay_alu instid0(VALU_DEP_1) | instskip(NEXT) | instid1(VALU_DEP_1)
	v_lshl_or_b32 v0, v0, 21, v3
	v_add_nc_u32_e32 v3, 0x38000000, v0
                                        ; implicit-def: $vgpr0
.LBB6_8062:                             ;   in Loop: Header=BB6_8046 Depth=2
	s_and_not1_saveexec_b32 s26, s26
; %bb.8063:                             ;   in Loop: Header=BB6_8046 Depth=2
	v_cmp_lt_i16_e32 vcc_lo, -1, v86
	v_cndmask_b32_e32 v3, 0xff800000, v105, vcc_lo
	v_cmp_eq_u32_e32 vcc_lo, 0, v0
	s_delay_alu instid0(VALU_DEP_2)
	v_cndmask_b32_e32 v3, 0x7f800001, v3, vcc_lo
; %bb.8064:                             ;   in Loop: Header=BB6_8046 Depth=2
	s_or_b32 exec_lo, exec_lo, s26
.LBB6_8065:                             ;   in Loop: Header=BB6_8046 Depth=2
	s_delay_alu instid0(SALU_CYCLE_1)
	s_or_b32 exec_lo, exec_lo, s25
.LBB6_8066:                             ;   in Loop: Header=BB6_8046 Depth=2
	s_delay_alu instid0(SALU_CYCLE_1) | instskip(NEXT) | instid1(VALU_DEP_1)
	s_or_b32 exec_lo, exec_lo, s7
	v_mul_f32_e32 v0, v1, v3
	v_mov_b32_e32 v27, v5
                                        ; implicit-def: $vgpr86
	s_mov_b32 s7, exec_lo
	s_delay_alu instid0(VALU_DEP_2) | instskip(SKIP_1) | instid1(VALU_DEP_2)
	v_and_b32_e32 v26, 0x7f800000, v0
	v_and_b32_e32 v4, 0x7fffff, v0
	v_cmpx_ne_u64_e32 0x7f800000, v[26:27]
	s_xor_b32 s25, exec_lo, s7
	s_cbranch_execz .LBB6_8084
; %bb.8067:                             ;   in Loop: Header=BB6_8046 Depth=2
	v_dual_mov_b32 v27, v5 :: v_dual_lshrrev_b32 v1, 24, v0
	v_and_b32_e32 v26, 0x7fffffff, v0
                                        ; implicit-def: $vgpr86
	s_mov_b32 s7, exec_lo
	s_delay_alu instid0(VALU_DEP_2) | instskip(NEXT) | instid1(VALU_DEP_2)
	v_and_b32_e32 v3, 0x80, v1
	v_cmpx_gt_u64_e32 0x47600001, v[26:27]
	s_xor_b32 s26, exec_lo, s7
	s_cbranch_execz .LBB6_8081
; %bb.8068:                             ;   in Loop: Header=BB6_8046 Depth=2
	v_mov_b32_e32 v86, 0
	s_mov_b32 s27, exec_lo
	v_cmpx_ne_u32_e32 0, v0
	s_cbranch_execz .LBB6_8080
; %bb.8069:                             ;   in Loop: Header=BB6_8046 Depth=2
	v_bfe_u32 v7, v0, 23, 8
	v_or_b32_e32 v1, 0x800000, v4
	s_delay_alu instid0(VALU_DEP_2) | instskip(SKIP_2) | instid1(VALU_DEP_2)
	v_cmp_gt_u32_e64 s7, 0x72, v7
	v_sub_nc_u32_e32 v0, 0x71, v7
	v_cmp_eq_u32_e32 vcc_lo, 0, v7
	v_cndmask_b32_e64 v0, 0, v0, s7
	s_delay_alu instid0(VALU_DEP_1) | instskip(SKIP_1) | instid1(VALU_DEP_2)
	v_cndmask_b32_e64 v9, v0, 0x70, vcc_lo
	v_cndmask_b32_e32 v0, v1, v4, vcc_lo
	v_dual_mov_b32 v1, v5 :: v_dual_add_nc_u32 v4, 21, v9
	s_delay_alu instid0(VALU_DEP_1) | instskip(SKIP_1) | instid1(VALU_DEP_1)
	v_lshlrev_b64_e64 v[26:27], v4, -1
	v_add_nc_u32_e32 v4, 20, v9
	v_lshlrev_b64_e64 v[86:87], v4, 1
	s_delay_alu instid0(VALU_DEP_3) | instskip(SKIP_2) | instid1(VALU_DEP_1)
	v_bfi_b32 v26, v26, 0, v0
	v_lshrrev_b64 v[0:1], v9, v[0:1]
	v_bfi_b32 v27, v27, 0, 0
	v_cmp_eq_u64_e64 s7, v[26:27], v[86:87]
	s_delay_alu instid0(VALU_DEP_3)
	v_mov_b64_e32 v[86:87], v[0:1]
	s_and_saveexec_b32 s28, s7
; %bb.8070:                             ;   in Loop: Header=BB6_8046 Depth=2
	v_bfe_u32 v26, v0, 21, 1
	v_mov_b32_e32 v27, v5
	s_delay_alu instid0(VALU_DEP_1) | instskip(NEXT) | instid1(VALU_DEP_1)
	v_add_nc_u64_e32 v[26:27], v[0:1], v[26:27]
	v_add_nc_u64_e32 v[86:87], -1, v[26:27]
; %bb.8071:                             ;   in Loop: Header=BB6_8046 Depth=2
	s_or_b32 exec_lo, exec_lo, s28
	v_add_nc_u32_e32 v1, 0xffffff81, v7
	v_lshrrev_b32_e32 v4, 23, v0
	s_mov_b32 s7, exec_lo
                                        ; implicit-def: $vgpr7
	s_delay_alu instid0(VALU_DEP_2) | instskip(NEXT) | instid1(VALU_DEP_1)
	v_cndmask_b32_e64 v1, v1, 0xffffff82, vcc_lo
	v_add3_u32 v17, v9, v1, v4
	v_and_b32_e32 v1, 0x1fffff, v86
	s_delay_alu instid0(VALU_DEP_1) | instskip(NEXT) | instid1(VALU_DEP_1)
	v_dual_add_nc_u32 v9, 14, v17 :: v_dual_add_nc_u32 v4, v1, v0
                                        ; implicit-def: $vgpr0_vgpr1
	v_cmpx_ne_u32_e32 0, v9
	s_xor_b32 s7, exec_lo, s7
; %bb.8072:                             ;   in Loop: Header=BB6_8046 Depth=2
	s_delay_alu instid0(VALU_DEP_2) | instskip(SKIP_1) | instid1(VALU_DEP_1)
	v_cmp_lt_u64_e32 vcc_lo, 0xffffff, v[4:5]
	v_add_nc_u32_e32 v0, 15, v17
	v_cndmask_b32_e32 v7, v9, v0, vcc_lo
	v_cndmask_b32_e64 v0, 0, 1, vcc_lo
	s_delay_alu instid0(VALU_DEP_1)
	v_lshrrev_b64 v[0:1], v0, v[4:5]
; %bb.8073:                             ;   in Loop: Header=BB6_8046 Depth=2
	s_and_not1_saveexec_b32 s7, s7
; %bb.8074:                             ;   in Loop: Header=BB6_8046 Depth=2
	v_mov_b64_e32 v[0:1], v[4:5]
	v_bfe_u32 v7, v4, 23, 1
; %bb.8075:                             ;   in Loop: Header=BB6_8046 Depth=2
	s_or_b32 exec_lo, exec_lo, s7
	s_delay_alu instid0(VALU_DEP_2) | instskip(NEXT) | instid1(VALU_DEP_2)
	v_lshrrev_b64 v[0:1], 21, v[0:1]
	v_cmp_gt_i32_e32 vcc_lo, 32, v7
	v_cmp_ne_u32_e64 s7, 0, v7
                                        ; implicit-def: $vgpr86
	s_delay_alu instid0(VALU_DEP_3) | instskip(NEXT) | instid1(VALU_DEP_1)
	v_dual_cndmask_b32 v1, 0, v1 :: v_dual_cndmask_b32 v0, 3, v0
	v_cmp_ne_u64_e32 vcc_lo, 0, v[0:1]
	s_or_b32 s7, s7, vcc_lo
	s_delay_alu instid0(SALU_CYCLE_1) | instskip(NEXT) | instid1(SALU_CYCLE_1)
	s_and_saveexec_b32 s28, s7
	s_xor_b32 s7, exec_lo, s28
; %bb.8076:                             ;   in Loop: Header=BB6_8046 Depth=2
	v_min_i32_e32 v1, 31, v7
	s_delay_alu instid0(VALU_DEP_1) | instskip(NEXT) | instid1(VALU_DEP_1)
	v_lshl_or_b32 v1, v1, 2, v3
                                        ; implicit-def: $vgpr3
	v_and_or_b32 v86, v0, 3, v1
; %bb.8077:                             ;   in Loop: Header=BB6_8046 Depth=2
	s_and_not1_saveexec_b32 s7, s7
; %bb.8078:                             ;   in Loop: Header=BB6_8046 Depth=2
	v_mov_b32_e32 v86, v3
; %bb.8079:                             ;   in Loop: Header=BB6_8046 Depth=2
	s_or_b32 exec_lo, exec_lo, s7
.LBB6_8080:                             ;   in Loop: Header=BB6_8046 Depth=2
	s_delay_alu instid0(SALU_CYCLE_1)
	s_or_b32 exec_lo, exec_lo, s27
                                        ; implicit-def: $vgpr3
.LBB6_8081:                             ;   in Loop: Header=BB6_8046 Depth=2
	s_and_not1_saveexec_b32 s7, s26
; %bb.8082:                             ;   in Loop: Header=BB6_8046 Depth=2
	v_or_b32_e32 v86, 0x7b, v3
; %bb.8083:                             ;   in Loop: Header=BB6_8046 Depth=2
	s_or_b32 exec_lo, exec_lo, s7
                                        ; implicit-def: $vgpr0
.LBB6_8084:                             ;   in Loop: Header=BB6_8046 Depth=2
	s_and_not1_saveexec_b32 s7, s25
	s_cbranch_execz .LBB6_8090
; %bb.8085:                             ;   in Loop: Header=BB6_8046 Depth=2
	s_mov_b32 s25, exec_lo
                                        ; implicit-def: $vgpr86
	v_cmpx_ne_u64_e32 0, v[4:5]
	s_xor_b32 s25, exec_lo, s25
; %bb.8086:                             ;   in Loop: Header=BB6_8046 Depth=2
	v_lshrrev_b32_e32 v0, 24, v0
	s_delay_alu instid0(VALU_DEP_1)
	v_or_b32_e32 v86, 0x7f, v0
                                        ; implicit-def: $vgpr0
; %bb.8087:                             ;   in Loop: Header=BB6_8046 Depth=2
	s_and_not1_saveexec_b32 s25, s25
; %bb.8088:                             ;   in Loop: Header=BB6_8046 Depth=2
	v_cmp_lt_i32_e32 vcc_lo, -1, v0
	v_cndmask_b32_e64 v86, -4, 0x7c, vcc_lo
; %bb.8089:                             ;   in Loop: Header=BB6_8046 Depth=2
	s_or_b32 exec_lo, exec_lo, s25
.LBB6_8090:                             ;   in Loop: Header=BB6_8046 Depth=2
	s_delay_alu instid0(SALU_CYCLE_1)
	s_or_b32 exec_lo, exec_lo, s7
	v_dual_mov_b32 v0, 0 :: v_dual_mov_b32 v1, 0
	s_mov_b32 s7, exec_lo
	v_cmpx_ne_u16_e32 0, v20
	s_cbranch_execz .LBB6_8100
; %bb.8091:                             ;   in Loop: Header=BB6_8046 Depth=2
	v_bfrev_b32_e32 v1, 1
	s_mov_b32 s25, exec_lo
	v_cmpx_ne_u16_e32 0xff80, v20
	s_cbranch_execz .LBB6_8099
; %bb.8092:                             ;   in Loop: Header=BB6_8046 Depth=2
	v_and_b32_e32 v1, 0x7c, v20
	v_and_b32_e32 v3, 3, v20
	s_delay_alu instid0(VALU_DEP_2) | instskip(SKIP_1) | instid1(SALU_CYCLE_1)
	v_cmp_ne_u32_e32 vcc_lo, 0x7c, v1
                                        ; implicit-def: $vgpr1
	s_and_saveexec_b32 s26, vcc_lo
	s_xor_b32 s26, exec_lo, s26
	s_cbranch_execz .LBB6_8096
; %bb.8093:                             ;   in Loop: Header=BB6_8046 Depth=2
	v_and_b32_e32 v1, 0xff, v20
	s_mov_b32 s27, exec_lo
	s_delay_alu instid0(VALU_DEP_1) | instskip(NEXT) | instid1(VALU_DEP_1)
	v_bfe_u32 v1, v1, 2, 5
	v_cmpx_eq_u32_e32 0, v1
	s_cbranch_execz .LBB6_8095
; %bb.8094:                             ;   in Loop: Header=BB6_8046 Depth=2
	v_clz_i32_u32_e32 v1, v3
	s_delay_alu instid0(VALU_DEP_1) | instskip(SKIP_1) | instid1(VALU_DEP_2)
	v_min_u32_e32 v1, 32, v1
	v_mov_b32_e32 v21, v5
	v_subrev_nc_u32_e32 v3, 29, v1
	v_sub_nc_u32_e32 v1, 30, v1
	s_delay_alu instid0(VALU_DEP_2) | instskip(NEXT) | instid1(VALU_DEP_1)
	v_lshlrev_b64_e32 v[26:27], v3, v[20:21]
	v_and_b32_e32 v3, 3, v26
.LBB6_8095:                             ;   in Loop: Header=BB6_8046 Depth=2
	s_or_b32 exec_lo, exec_lo, s27
	v_bfe_i32 v4, v20, 0, 16
                                        ; implicit-def: $vgpr20
	s_delay_alu instid0(VALU_DEP_1) | instskip(NEXT) | instid1(VALU_DEP_1)
	v_and_b32_e32 v4, 0x80000000, v4
	v_lshl_add_u32 v1, v1, 23, v4
	s_delay_alu instid0(VALU_DEP_1) | instskip(NEXT) | instid1(VALU_DEP_1)
	v_lshl_or_b32 v1, v3, 21, v1
                                        ; implicit-def: $vgpr3
	v_add_nc_u32_e32 v1, 0x38000000, v1
.LBB6_8096:                             ;   in Loop: Header=BB6_8046 Depth=2
	s_and_not1_saveexec_b32 s26, s26
; %bb.8097:                             ;   in Loop: Header=BB6_8046 Depth=2
	v_cmp_lt_i16_e32 vcc_lo, -1, v20
	v_cndmask_b32_e32 v1, 0xff800000, v105, vcc_lo
	v_cmp_eq_u32_e32 vcc_lo, 0, v3
	s_delay_alu instid0(VALU_DEP_2)
	v_cndmask_b32_e32 v1, 0x7f800001, v1, vcc_lo
; %bb.8098:                             ;   in Loop: Header=BB6_8046 Depth=2
	s_or_b32 exec_lo, exec_lo, s26
.LBB6_8099:                             ;   in Loop: Header=BB6_8046 Depth=2
	s_delay_alu instid0(SALU_CYCLE_1)
	s_or_b32 exec_lo, exec_lo, s25
.LBB6_8100:                             ;   in Loop: Header=BB6_8046 Depth=2
	s_delay_alu instid0(SALU_CYCLE_1) | instskip(NEXT) | instid1(SALU_CYCLE_1)
	s_or_b32 exec_lo, exec_lo, s7
	s_mov_b32 s7, exec_lo
	v_cmpx_ne_u16_e32 0, v18
	s_cbranch_execz .LBB6_8110
; %bb.8101:                             ;   in Loop: Header=BB6_8046 Depth=2
	v_bfrev_b32_e32 v0, 1
	s_mov_b32 s25, exec_lo
	v_cmpx_ne_u16_e32 0xff80, v18
	s_cbranch_execz .LBB6_8109
; %bb.8102:                             ;   in Loop: Header=BB6_8046 Depth=2
	v_and_b32_e32 v0, 0x7c, v18
	v_and_b32_e32 v3, 3, v18
	s_delay_alu instid0(VALU_DEP_2) | instskip(SKIP_1) | instid1(SALU_CYCLE_1)
	v_cmp_ne_u32_e32 vcc_lo, 0x7c, v0
                                        ; implicit-def: $vgpr0
	s_and_saveexec_b32 s26, vcc_lo
	s_xor_b32 s26, exec_lo, s26
	s_cbranch_execz .LBB6_8106
; %bb.8103:                             ;   in Loop: Header=BB6_8046 Depth=2
	v_and_b32_e32 v0, 0xff, v18
	s_mov_b32 s27, exec_lo
	s_delay_alu instid0(VALU_DEP_1) | instskip(NEXT) | instid1(VALU_DEP_1)
	v_bfe_u32 v0, v0, 2, 5
	v_cmpx_eq_u32_e32 0, v0
	s_cbranch_execz .LBB6_8105
; %bb.8104:                             ;   in Loop: Header=BB6_8046 Depth=2
	v_clz_i32_u32_e32 v0, v3
	s_delay_alu instid0(VALU_DEP_1) | instskip(SKIP_1) | instid1(VALU_DEP_2)
	v_min_u32_e32 v0, 32, v0
	v_mov_b32_e32 v19, v5
	v_subrev_nc_u32_e32 v3, 29, v0
	v_sub_nc_u32_e32 v0, 30, v0
	s_delay_alu instid0(VALU_DEP_2) | instskip(NEXT) | instid1(VALU_DEP_1)
	v_lshlrev_b64_e32 v[20:21], v3, v[18:19]
	v_and_b32_e32 v3, 3, v20
.LBB6_8105:                             ;   in Loop: Header=BB6_8046 Depth=2
	s_or_b32 exec_lo, exec_lo, s27
	v_bfe_i32 v4, v18, 0, 16
                                        ; implicit-def: $vgpr18
	s_delay_alu instid0(VALU_DEP_1) | instskip(NEXT) | instid1(VALU_DEP_1)
	v_and_b32_e32 v4, 0x80000000, v4
	v_lshl_add_u32 v0, v0, 23, v4
	s_delay_alu instid0(VALU_DEP_1) | instskip(NEXT) | instid1(VALU_DEP_1)
	v_lshl_or_b32 v0, v3, 21, v0
                                        ; implicit-def: $vgpr3
	v_add_nc_u32_e32 v0, 0x38000000, v0
.LBB6_8106:                             ;   in Loop: Header=BB6_8046 Depth=2
	s_and_not1_saveexec_b32 s26, s26
; %bb.8107:                             ;   in Loop: Header=BB6_8046 Depth=2
	v_cmp_lt_i16_e32 vcc_lo, -1, v18
	v_cndmask_b32_e32 v0, 0xff800000, v105, vcc_lo
	v_cmp_eq_u32_e32 vcc_lo, 0, v3
	s_delay_alu instid0(VALU_DEP_2)
	v_cndmask_b32_e32 v0, 0x7f800001, v0, vcc_lo
; %bb.8108:                             ;   in Loop: Header=BB6_8046 Depth=2
	s_or_b32 exec_lo, exec_lo, s26
.LBB6_8109:                             ;   in Loop: Header=BB6_8046 Depth=2
	s_delay_alu instid0(SALU_CYCLE_1)
	s_or_b32 exec_lo, exec_lo, s25
.LBB6_8110:                             ;   in Loop: Header=BB6_8046 Depth=2
	s_delay_alu instid0(SALU_CYCLE_1) | instskip(NEXT) | instid1(VALU_DEP_1)
	s_or_b32 exec_lo, exec_lo, s7
	v_mul_f32_e32 v0, v1, v0
	v_mov_b32_e32 v19, v5
	s_delay_alu instid0(VALU_DEP_2) | instskip(SKIP_1) | instid1(VALU_DEP_2)
	v_and_b32_e32 v18, 0x7f800000, v0
	v_and_b32_e32 v4, 0x7fffff, v0
	v_cmp_ne_u64_e32 vcc_lo, 0x7f800000, v[18:19]
                                        ; implicit-def: $vgpr18
	s_and_saveexec_b32 s7, vcc_lo
	s_delay_alu instid0(SALU_CYCLE_1)
	s_xor_b32 s25, exec_lo, s7
	s_cbranch_execz .LBB6_8128
; %bb.8111:                             ;   in Loop: Header=BB6_8046 Depth=2
	v_and_b32_e32 v18, 0x7fffffff, v0
	v_dual_mov_b32 v19, v5 :: v_dual_lshrrev_b32 v1, 24, v0
	s_delay_alu instid0(VALU_DEP_1) | instskip(NEXT) | instid1(VALU_DEP_2)
	v_cmp_gt_u64_e32 vcc_lo, 0x47600001, v[18:19]
	v_and_b32_e32 v3, 0x80, v1
                                        ; implicit-def: $vgpr18
	s_and_saveexec_b32 s7, vcc_lo
	s_delay_alu instid0(SALU_CYCLE_1)
	s_xor_b32 s26, exec_lo, s7
	s_cbranch_execz .LBB6_8125
; %bb.8112:                             ;   in Loop: Header=BB6_8046 Depth=2
	v_mov_b32_e32 v18, 0
	s_mov_b32 s27, exec_lo
	v_cmpx_ne_u32_e32 0, v0
	s_cbranch_execz .LBB6_8124
; %bb.8113:                             ;   in Loop: Header=BB6_8046 Depth=2
	v_bfe_u32 v7, v0, 23, 8
	v_or_b32_e32 v1, 0x800000, v4
	s_delay_alu instid0(VALU_DEP_2) | instskip(SKIP_2) | instid1(VALU_DEP_2)
	v_cmp_gt_u32_e64 s7, 0x72, v7
	v_sub_nc_u32_e32 v0, 0x71, v7
	v_cmp_eq_u32_e32 vcc_lo, 0, v7
	v_cndmask_b32_e64 v0, 0, v0, s7
	s_delay_alu instid0(VALU_DEP_1) | instskip(SKIP_1) | instid1(VALU_DEP_2)
	v_cndmask_b32_e64 v9, v0, 0x70, vcc_lo
	v_cndmask_b32_e32 v0, v1, v4, vcc_lo
	v_dual_mov_b32 v1, v5 :: v_dual_add_nc_u32 v4, 21, v9
	s_delay_alu instid0(VALU_DEP_1) | instskip(SKIP_1) | instid1(VALU_DEP_1)
	v_lshlrev_b64_e64 v[18:19], v4, -1
	v_add_nc_u32_e32 v4, 20, v9
	v_lshlrev_b64_e64 v[20:21], v4, 1
	s_delay_alu instid0(VALU_DEP_3) | instskip(SKIP_2) | instid1(VALU_DEP_1)
	v_bfi_b32 v18, v18, 0, v0
	v_lshrrev_b64 v[0:1], v9, v[0:1]
	v_bfi_b32 v19, v19, 0, 0
	v_cmp_eq_u64_e64 s7, v[18:19], v[20:21]
	s_delay_alu instid0(VALU_DEP_3)
	v_mov_b64_e32 v[18:19], v[0:1]
	s_and_saveexec_b32 s28, s7
; %bb.8114:                             ;   in Loop: Header=BB6_8046 Depth=2
	v_bfe_u32 v18, v0, 21, 1
	v_mov_b32_e32 v19, v5
	s_delay_alu instid0(VALU_DEP_1) | instskip(NEXT) | instid1(VALU_DEP_1)
	v_add_nc_u64_e32 v[18:19], v[0:1], v[18:19]
	v_add_nc_u64_e32 v[18:19], -1, v[18:19]
; %bb.8115:                             ;   in Loop: Header=BB6_8046 Depth=2
	s_or_b32 exec_lo, exec_lo, s28
	v_add_nc_u32_e32 v1, 0xffffff81, v7
	v_lshrrev_b32_e32 v4, 23, v0
	s_mov_b32 s7, exec_lo
                                        ; implicit-def: $vgpr7
	s_delay_alu instid0(VALU_DEP_2) | instskip(NEXT) | instid1(VALU_DEP_1)
	v_cndmask_b32_e64 v1, v1, 0xffffff82, vcc_lo
	v_add3_u32 v17, v9, v1, v4
	v_and_b32_e32 v1, 0x1fffff, v18
	s_delay_alu instid0(VALU_DEP_1) | instskip(NEXT) | instid1(VALU_DEP_1)
	v_dual_add_nc_u32 v9, 14, v17 :: v_dual_add_nc_u32 v4, v1, v0
                                        ; implicit-def: $vgpr0_vgpr1
	v_cmpx_ne_u32_e32 0, v9
	s_xor_b32 s7, exec_lo, s7
; %bb.8116:                             ;   in Loop: Header=BB6_8046 Depth=2
	s_delay_alu instid0(VALU_DEP_2) | instskip(SKIP_1) | instid1(VALU_DEP_1)
	v_cmp_lt_u64_e32 vcc_lo, 0xffffff, v[4:5]
	v_add_nc_u32_e32 v0, 15, v17
	v_cndmask_b32_e32 v7, v9, v0, vcc_lo
	v_cndmask_b32_e64 v0, 0, 1, vcc_lo
	s_delay_alu instid0(VALU_DEP_1)
	v_lshrrev_b64 v[0:1], v0, v[4:5]
; %bb.8117:                             ;   in Loop: Header=BB6_8046 Depth=2
	s_and_not1_saveexec_b32 s7, s7
; %bb.8118:                             ;   in Loop: Header=BB6_8046 Depth=2
	v_mov_b64_e32 v[0:1], v[4:5]
	v_bfe_u32 v7, v4, 23, 1
; %bb.8119:                             ;   in Loop: Header=BB6_8046 Depth=2
	s_or_b32 exec_lo, exec_lo, s7
	s_delay_alu instid0(VALU_DEP_2) | instskip(NEXT) | instid1(VALU_DEP_2)
	v_lshrrev_b64 v[0:1], 21, v[0:1]
	v_cmp_gt_i32_e32 vcc_lo, 32, v7
	v_cmp_ne_u32_e64 s7, 0, v7
                                        ; implicit-def: $vgpr18
	s_delay_alu instid0(VALU_DEP_3) | instskip(NEXT) | instid1(VALU_DEP_1)
	v_dual_cndmask_b32 v1, 0, v1 :: v_dual_cndmask_b32 v0, 3, v0
	v_cmp_ne_u64_e32 vcc_lo, 0, v[0:1]
	s_or_b32 s7, s7, vcc_lo
	s_delay_alu instid0(SALU_CYCLE_1) | instskip(NEXT) | instid1(SALU_CYCLE_1)
	s_and_saveexec_b32 s28, s7
	s_xor_b32 s7, exec_lo, s28
; %bb.8120:                             ;   in Loop: Header=BB6_8046 Depth=2
	v_min_i32_e32 v1, 31, v7
	s_delay_alu instid0(VALU_DEP_1) | instskip(NEXT) | instid1(VALU_DEP_1)
	v_lshl_or_b32 v1, v1, 2, v3
                                        ; implicit-def: $vgpr3
	v_and_or_b32 v18, v0, 3, v1
; %bb.8121:                             ;   in Loop: Header=BB6_8046 Depth=2
	s_and_not1_saveexec_b32 s7, s7
; %bb.8122:                             ;   in Loop: Header=BB6_8046 Depth=2
	v_mov_b32_e32 v18, v3
; %bb.8123:                             ;   in Loop: Header=BB6_8046 Depth=2
	s_or_b32 exec_lo, exec_lo, s7
.LBB6_8124:                             ;   in Loop: Header=BB6_8046 Depth=2
	s_delay_alu instid0(SALU_CYCLE_1)
	s_or_b32 exec_lo, exec_lo, s27
                                        ; implicit-def: $vgpr3
.LBB6_8125:                             ;   in Loop: Header=BB6_8046 Depth=2
	s_and_not1_saveexec_b32 s7, s26
; %bb.8126:                             ;   in Loop: Header=BB6_8046 Depth=2
	v_or_b32_e32 v18, 0x7b, v3
; %bb.8127:                             ;   in Loop: Header=BB6_8046 Depth=2
	s_or_b32 exec_lo, exec_lo, s7
                                        ; implicit-def: $vgpr0
.LBB6_8128:                             ;   in Loop: Header=BB6_8046 Depth=2
	s_and_not1_saveexec_b32 s7, s25
	s_cbranch_execz .LBB6_8134
; %bb.8129:                             ;   in Loop: Header=BB6_8046 Depth=2
	s_mov_b32 s25, exec_lo
                                        ; implicit-def: $vgpr18
	v_cmpx_ne_u64_e32 0, v[4:5]
	s_xor_b32 s25, exec_lo, s25
; %bb.8130:                             ;   in Loop: Header=BB6_8046 Depth=2
	v_lshrrev_b32_e32 v0, 24, v0
	s_delay_alu instid0(VALU_DEP_1)
	v_or_b32_e32 v18, 0x7f, v0
                                        ; implicit-def: $vgpr0
; %bb.8131:                             ;   in Loop: Header=BB6_8046 Depth=2
	s_and_not1_saveexec_b32 s25, s25
; %bb.8132:                             ;   in Loop: Header=BB6_8046 Depth=2
	v_cmp_lt_i32_e32 vcc_lo, -1, v0
	v_cndmask_b32_e64 v18, -4, 0x7c, vcc_lo
; %bb.8133:                             ;   in Loop: Header=BB6_8046 Depth=2
	s_or_b32 exec_lo, exec_lo, s25
.LBB6_8134:                             ;   in Loop: Header=BB6_8046 Depth=2
	s_delay_alu instid0(SALU_CYCLE_1)
	s_or_b32 exec_lo, exec_lo, s7
	v_dual_mov_b32 v0, 0 :: v_dual_mov_b32 v1, 0
	s_mov_b32 s7, exec_lo
	v_cmpx_ne_u16_e32 0, v16
	s_cbranch_execz .LBB6_8144
; %bb.8135:                             ;   in Loop: Header=BB6_8046 Depth=2
	v_bfrev_b32_e32 v1, 1
	s_mov_b32 s25, exec_lo
	v_cmpx_ne_u16_e32 0xff80, v16
	s_cbranch_execz .LBB6_8143
; %bb.8136:                             ;   in Loop: Header=BB6_8046 Depth=2
	v_and_b32_e32 v1, 0x7c, v16
	v_and_b32_e32 v3, 3, v16
	s_delay_alu instid0(VALU_DEP_2) | instskip(SKIP_1) | instid1(SALU_CYCLE_1)
	v_cmp_ne_u32_e32 vcc_lo, 0x7c, v1
                                        ; implicit-def: $vgpr1
	s_and_saveexec_b32 s26, vcc_lo
	s_xor_b32 s26, exec_lo, s26
	s_cbranch_execz .LBB6_8140
; %bb.8137:                             ;   in Loop: Header=BB6_8046 Depth=2
	v_and_b32_e32 v1, 0xff, v16
	s_mov_b32 s27, exec_lo
	s_delay_alu instid0(VALU_DEP_1) | instskip(NEXT) | instid1(VALU_DEP_1)
	v_bfe_u32 v1, v1, 2, 5
	v_cmpx_eq_u32_e32 0, v1
	s_cbranch_execz .LBB6_8139
; %bb.8138:                             ;   in Loop: Header=BB6_8046 Depth=2
	v_clz_i32_u32_e32 v1, v3
	s_delay_alu instid0(VALU_DEP_1) | instskip(SKIP_1) | instid1(VALU_DEP_2)
	v_min_u32_e32 v1, 32, v1
	v_mov_b32_e32 v17, v5
	v_subrev_nc_u32_e32 v3, 29, v1
	v_sub_nc_u32_e32 v1, 30, v1
	s_delay_alu instid0(VALU_DEP_2) | instskip(NEXT) | instid1(VALU_DEP_1)
	v_lshlrev_b64_e32 v[20:21], v3, v[16:17]
	v_and_b32_e32 v3, 3, v20
.LBB6_8139:                             ;   in Loop: Header=BB6_8046 Depth=2
	s_or_b32 exec_lo, exec_lo, s27
	v_bfe_i32 v4, v16, 0, 16
                                        ; implicit-def: $vgpr16
	s_delay_alu instid0(VALU_DEP_1) | instskip(NEXT) | instid1(VALU_DEP_1)
	v_and_b32_e32 v4, 0x80000000, v4
	v_lshl_add_u32 v1, v1, 23, v4
	s_delay_alu instid0(VALU_DEP_1) | instskip(NEXT) | instid1(VALU_DEP_1)
	v_lshl_or_b32 v1, v3, 21, v1
                                        ; implicit-def: $vgpr3
	v_add_nc_u32_e32 v1, 0x38000000, v1
.LBB6_8140:                             ;   in Loop: Header=BB6_8046 Depth=2
	s_and_not1_saveexec_b32 s26, s26
; %bb.8141:                             ;   in Loop: Header=BB6_8046 Depth=2
	v_cmp_lt_i16_e32 vcc_lo, -1, v16
	v_cndmask_b32_e32 v1, 0xff800000, v105, vcc_lo
	v_cmp_eq_u32_e32 vcc_lo, 0, v3
	s_delay_alu instid0(VALU_DEP_2)
	v_cndmask_b32_e32 v1, 0x7f800001, v1, vcc_lo
; %bb.8142:                             ;   in Loop: Header=BB6_8046 Depth=2
	s_or_b32 exec_lo, exec_lo, s26
.LBB6_8143:                             ;   in Loop: Header=BB6_8046 Depth=2
	s_delay_alu instid0(SALU_CYCLE_1)
	s_or_b32 exec_lo, exec_lo, s25
.LBB6_8144:                             ;   in Loop: Header=BB6_8046 Depth=2
	s_delay_alu instid0(SALU_CYCLE_1) | instskip(NEXT) | instid1(SALU_CYCLE_1)
	s_or_b32 exec_lo, exec_lo, s7
	s_mov_b32 s7, exec_lo
	v_cmpx_ne_u16_e32 0, v70
	s_cbranch_execz .LBB6_8154
; %bb.8145:                             ;   in Loop: Header=BB6_8046 Depth=2
	v_bfrev_b32_e32 v0, 1
	s_mov_b32 s25, exec_lo
	v_cmpx_ne_u16_e32 0xff80, v70
	s_cbranch_execz .LBB6_8153
; %bb.8146:                             ;   in Loop: Header=BB6_8046 Depth=2
	v_and_b32_e32 v0, 0x7c, v70
	v_and_b32_e32 v3, 3, v70
	s_delay_alu instid0(VALU_DEP_2) | instskip(SKIP_1) | instid1(SALU_CYCLE_1)
	v_cmp_ne_u32_e32 vcc_lo, 0x7c, v0
                                        ; implicit-def: $vgpr0
	s_and_saveexec_b32 s26, vcc_lo
	s_xor_b32 s26, exec_lo, s26
	s_cbranch_execz .LBB6_8150
; %bb.8147:                             ;   in Loop: Header=BB6_8046 Depth=2
	v_and_b32_e32 v0, 0xff, v70
	s_mov_b32 s27, exec_lo
	s_delay_alu instid0(VALU_DEP_1) | instskip(NEXT) | instid1(VALU_DEP_1)
	v_bfe_u32 v0, v0, 2, 5
	v_cmpx_eq_u32_e32 0, v0
	s_cbranch_execz .LBB6_8149
; %bb.8148:                             ;   in Loop: Header=BB6_8046 Depth=2
	v_clz_i32_u32_e32 v0, v3
	s_delay_alu instid0(VALU_DEP_1) | instskip(SKIP_1) | instid1(VALU_DEP_2)
	v_min_u32_e32 v0, 32, v0
	v_mov_b32_e32 v71, v5
	v_subrev_nc_u32_e32 v3, 29, v0
	v_sub_nc_u32_e32 v0, 30, v0
	s_delay_alu instid0(VALU_DEP_2) | instskip(NEXT) | instid1(VALU_DEP_1)
	v_lshlrev_b64_e32 v[16:17], v3, v[70:71]
	v_and_b32_e32 v3, 3, v16
.LBB6_8149:                             ;   in Loop: Header=BB6_8046 Depth=2
	s_or_b32 exec_lo, exec_lo, s27
	v_bfe_i32 v4, v70, 0, 16
                                        ; implicit-def: $vgpr70
	s_delay_alu instid0(VALU_DEP_1) | instskip(NEXT) | instid1(VALU_DEP_1)
	v_and_b32_e32 v4, 0x80000000, v4
	v_lshl_add_u32 v0, v0, 23, v4
	s_delay_alu instid0(VALU_DEP_1) | instskip(NEXT) | instid1(VALU_DEP_1)
	v_lshl_or_b32 v0, v3, 21, v0
                                        ; implicit-def: $vgpr3
	v_add_nc_u32_e32 v0, 0x38000000, v0
.LBB6_8150:                             ;   in Loop: Header=BB6_8046 Depth=2
	s_and_not1_saveexec_b32 s26, s26
; %bb.8151:                             ;   in Loop: Header=BB6_8046 Depth=2
	v_cmp_lt_i16_e32 vcc_lo, -1, v70
	v_cndmask_b32_e32 v0, 0xff800000, v105, vcc_lo
	v_cmp_eq_u32_e32 vcc_lo, 0, v3
	s_delay_alu instid0(VALU_DEP_2)
	v_cndmask_b32_e32 v0, 0x7f800001, v0, vcc_lo
; %bb.8152:                             ;   in Loop: Header=BB6_8046 Depth=2
	s_or_b32 exec_lo, exec_lo, s26
.LBB6_8153:                             ;   in Loop: Header=BB6_8046 Depth=2
	s_delay_alu instid0(SALU_CYCLE_1)
	s_or_b32 exec_lo, exec_lo, s25
.LBB6_8154:                             ;   in Loop: Header=BB6_8046 Depth=2
	s_delay_alu instid0(SALU_CYCLE_1) | instskip(NEXT) | instid1(VALU_DEP_1)
	s_or_b32 exec_lo, exec_lo, s7
	v_mul_f32_e32 v0, v1, v0
	v_mov_b32_e32 v17, v5
                                        ; implicit-def: $vgpr19
	s_mov_b32 s7, exec_lo
	s_delay_alu instid0(VALU_DEP_2) | instskip(SKIP_1) | instid1(VALU_DEP_2)
	v_and_b32_e32 v16, 0x7f800000, v0
	v_and_b32_e32 v4, 0x7fffff, v0
	v_cmpx_ne_u64_e32 0x7f800000, v[16:17]
	s_xor_b32 s25, exec_lo, s7
	s_cbranch_execz .LBB6_8172
; %bb.8155:                             ;   in Loop: Header=BB6_8046 Depth=2
	v_dual_mov_b32 v17, v5 :: v_dual_lshrrev_b32 v1, 24, v0
	v_and_b32_e32 v16, 0x7fffffff, v0
                                        ; implicit-def: $vgpr19
	s_mov_b32 s7, exec_lo
	s_delay_alu instid0(VALU_DEP_2) | instskip(NEXT) | instid1(VALU_DEP_2)
	v_and_b32_e32 v3, 0x80, v1
	v_cmpx_gt_u64_e32 0x47600001, v[16:17]
	s_xor_b32 s26, exec_lo, s7
	s_cbranch_execz .LBB6_8169
; %bb.8156:                             ;   in Loop: Header=BB6_8046 Depth=2
	v_mov_b32_e32 v19, 0
	s_mov_b32 s27, exec_lo
	v_cmpx_ne_u32_e32 0, v0
	s_cbranch_execz .LBB6_8168
; %bb.8157:                             ;   in Loop: Header=BB6_8046 Depth=2
	v_bfe_u32 v7, v0, 23, 8
	v_or_b32_e32 v1, 0x800000, v4
	s_delay_alu instid0(VALU_DEP_2) | instskip(SKIP_2) | instid1(VALU_DEP_2)
	v_cmp_gt_u32_e64 s7, 0x72, v7
	v_sub_nc_u32_e32 v0, 0x71, v7
	v_cmp_eq_u32_e32 vcc_lo, 0, v7
	v_cndmask_b32_e64 v0, 0, v0, s7
	s_delay_alu instid0(VALU_DEP_1) | instskip(SKIP_1) | instid1(VALU_DEP_2)
	v_cndmask_b32_e64 v9, v0, 0x70, vcc_lo
	v_cndmask_b32_e32 v0, v1, v4, vcc_lo
	v_dual_mov_b32 v1, v5 :: v_dual_add_nc_u32 v4, 21, v9
	s_delay_alu instid0(VALU_DEP_1) | instskip(SKIP_1) | instid1(VALU_DEP_1)
	v_lshlrev_b64_e64 v[16:17], v4, -1
	v_add_nc_u32_e32 v4, 20, v9
	v_lshlrev_b64_e64 v[20:21], v4, 1
	s_delay_alu instid0(VALU_DEP_3) | instskip(SKIP_2) | instid1(VALU_DEP_1)
	v_bfi_b32 v16, v16, 0, v0
	v_lshrrev_b64 v[0:1], v9, v[0:1]
	v_bfi_b32 v17, v17, 0, 0
	v_cmp_eq_u64_e64 s7, v[16:17], v[20:21]
	s_delay_alu instid0(VALU_DEP_3)
	v_mov_b64_e32 v[16:17], v[0:1]
	s_and_saveexec_b32 s28, s7
; %bb.8158:                             ;   in Loop: Header=BB6_8046 Depth=2
	v_bfe_u32 v16, v0, 21, 1
	v_mov_b32_e32 v17, v5
	s_delay_alu instid0(VALU_DEP_1) | instskip(NEXT) | instid1(VALU_DEP_1)
	v_add_nc_u64_e32 v[16:17], v[0:1], v[16:17]
	v_add_nc_u64_e32 v[16:17], -1, v[16:17]
; %bb.8159:                             ;   in Loop: Header=BB6_8046 Depth=2
	s_or_b32 exec_lo, exec_lo, s28
	v_add_nc_u32_e32 v1, 0xffffff81, v7
	v_lshrrev_b32_e32 v4, 23, v0
	s_mov_b32 s7, exec_lo
                                        ; implicit-def: $vgpr7
	s_delay_alu instid0(VALU_DEP_2) | instskip(NEXT) | instid1(VALU_DEP_1)
	v_cndmask_b32_e64 v1, v1, 0xffffff82, vcc_lo
	v_add3_u32 v17, v9, v1, v4
	v_and_b32_e32 v1, 0x1fffff, v16
	s_delay_alu instid0(VALU_DEP_1) | instskip(NEXT) | instid1(VALU_DEP_1)
	v_dual_add_nc_u32 v9, 14, v17 :: v_dual_add_nc_u32 v4, v1, v0
                                        ; implicit-def: $vgpr0_vgpr1
	v_cmpx_ne_u32_e32 0, v9
	s_xor_b32 s7, exec_lo, s7
; %bb.8160:                             ;   in Loop: Header=BB6_8046 Depth=2
	s_delay_alu instid0(VALU_DEP_2) | instskip(SKIP_1) | instid1(VALU_DEP_1)
	v_cmp_lt_u64_e32 vcc_lo, 0xffffff, v[4:5]
	v_add_nc_u32_e32 v0, 15, v17
	v_cndmask_b32_e32 v7, v9, v0, vcc_lo
	v_cndmask_b32_e64 v0, 0, 1, vcc_lo
	s_delay_alu instid0(VALU_DEP_1)
	v_lshrrev_b64 v[0:1], v0, v[4:5]
; %bb.8161:                             ;   in Loop: Header=BB6_8046 Depth=2
	s_and_not1_saveexec_b32 s7, s7
; %bb.8162:                             ;   in Loop: Header=BB6_8046 Depth=2
	v_mov_b64_e32 v[0:1], v[4:5]
	v_bfe_u32 v7, v4, 23, 1
; %bb.8163:                             ;   in Loop: Header=BB6_8046 Depth=2
	s_or_b32 exec_lo, exec_lo, s7
	s_delay_alu instid0(VALU_DEP_2) | instskip(NEXT) | instid1(VALU_DEP_2)
	v_lshrrev_b64 v[0:1], 21, v[0:1]
	v_cmp_gt_i32_e32 vcc_lo, 32, v7
	v_cmp_ne_u32_e64 s7, 0, v7
                                        ; implicit-def: $vgpr19
	s_delay_alu instid0(VALU_DEP_3) | instskip(NEXT) | instid1(VALU_DEP_1)
	v_dual_cndmask_b32 v1, 0, v1 :: v_dual_cndmask_b32 v0, 3, v0
	v_cmp_ne_u64_e32 vcc_lo, 0, v[0:1]
	s_or_b32 s7, s7, vcc_lo
	s_delay_alu instid0(SALU_CYCLE_1) | instskip(NEXT) | instid1(SALU_CYCLE_1)
	s_and_saveexec_b32 s28, s7
	s_xor_b32 s7, exec_lo, s28
; %bb.8164:                             ;   in Loop: Header=BB6_8046 Depth=2
	v_min_i32_e32 v1, 31, v7
	s_delay_alu instid0(VALU_DEP_1) | instskip(NEXT) | instid1(VALU_DEP_1)
	v_lshl_or_b32 v1, v1, 2, v3
                                        ; implicit-def: $vgpr3
	v_and_or_b32 v19, v0, 3, v1
; %bb.8165:                             ;   in Loop: Header=BB6_8046 Depth=2
	s_and_not1_saveexec_b32 s7, s7
; %bb.8166:                             ;   in Loop: Header=BB6_8046 Depth=2
	v_mov_b32_e32 v19, v3
; %bb.8167:                             ;   in Loop: Header=BB6_8046 Depth=2
	s_or_b32 exec_lo, exec_lo, s7
.LBB6_8168:                             ;   in Loop: Header=BB6_8046 Depth=2
	s_delay_alu instid0(SALU_CYCLE_1)
	s_or_b32 exec_lo, exec_lo, s27
                                        ; implicit-def: $vgpr3
.LBB6_8169:                             ;   in Loop: Header=BB6_8046 Depth=2
	s_and_not1_saveexec_b32 s7, s26
; %bb.8170:                             ;   in Loop: Header=BB6_8046 Depth=2
	v_or_b32_e32 v19, 0x7b, v3
; %bb.8171:                             ;   in Loop: Header=BB6_8046 Depth=2
	s_or_b32 exec_lo, exec_lo, s7
                                        ; implicit-def: $vgpr0
.LBB6_8172:                             ;   in Loop: Header=BB6_8046 Depth=2
	s_and_not1_saveexec_b32 s7, s25
	s_cbranch_execz .LBB6_8178
; %bb.8173:                             ;   in Loop: Header=BB6_8046 Depth=2
	s_mov_b32 s25, exec_lo
                                        ; implicit-def: $vgpr19
	v_cmpx_ne_u64_e32 0, v[4:5]
	s_xor_b32 s25, exec_lo, s25
; %bb.8174:                             ;   in Loop: Header=BB6_8046 Depth=2
	v_lshrrev_b32_e32 v0, 24, v0
	s_delay_alu instid0(VALU_DEP_1)
	v_or_b32_e32 v19, 0x7f, v0
                                        ; implicit-def: $vgpr0
; %bb.8175:                             ;   in Loop: Header=BB6_8046 Depth=2
	s_and_not1_saveexec_b32 s25, s25
; %bb.8176:                             ;   in Loop: Header=BB6_8046 Depth=2
	v_cmp_lt_i32_e32 vcc_lo, -1, v0
	v_cndmask_b32_e64 v19, -4, 0x7c, vcc_lo
; %bb.8177:                             ;   in Loop: Header=BB6_8046 Depth=2
	s_or_b32 exec_lo, exec_lo, s25
.LBB6_8178:                             ;   in Loop: Header=BB6_8046 Depth=2
	s_delay_alu instid0(SALU_CYCLE_1)
	s_or_b32 exec_lo, exec_lo, s7
	v_dual_mov_b32 v0, 0 :: v_dual_mov_b32 v1, 0
	s_mov_b32 s7, exec_lo
	v_cmpx_ne_u16_e32 0, v114
	s_cbranch_execz .LBB6_8188
; %bb.8179:                             ;   in Loop: Header=BB6_8046 Depth=2
	v_bfrev_b32_e32 v1, 1
	s_mov_b32 s25, exec_lo
	v_cmpx_ne_u16_e32 0xff80, v114
	s_cbranch_execz .LBB6_8187
; %bb.8180:                             ;   in Loop: Header=BB6_8046 Depth=2
	v_and_b32_e32 v1, 0x7c, v114
	v_and_b32_e32 v3, 3, v114
	s_delay_alu instid0(VALU_DEP_2) | instskip(SKIP_1) | instid1(SALU_CYCLE_1)
	v_cmp_ne_u32_e32 vcc_lo, 0x7c, v1
                                        ; implicit-def: $vgpr1
	s_and_saveexec_b32 s26, vcc_lo
	s_xor_b32 s26, exec_lo, s26
	s_cbranch_execz .LBB6_8184
; %bb.8181:                             ;   in Loop: Header=BB6_8046 Depth=2
	v_and_b32_e32 v1, 0xff, v114
	s_mov_b32 s27, exec_lo
	s_delay_alu instid0(VALU_DEP_1) | instskip(NEXT) | instid1(VALU_DEP_1)
	v_bfe_u32 v1, v1, 2, 5
	v_cmpx_eq_u32_e32 0, v1
	s_cbranch_execz .LBB6_8183
; %bb.8182:                             ;   in Loop: Header=BB6_8046 Depth=2
	v_clz_i32_u32_e32 v1, v3
	s_delay_alu instid0(VALU_DEP_1) | instskip(SKIP_1) | instid1(VALU_DEP_2)
	v_min_u32_e32 v1, 32, v1
	v_mov_b32_e32 v115, v5
	v_subrev_nc_u32_e32 v3, 29, v1
	v_sub_nc_u32_e32 v1, 30, v1
	s_delay_alu instid0(VALU_DEP_2) | instskip(NEXT) | instid1(VALU_DEP_1)
	v_lshlrev_b64_e32 v[16:17], v3, v[114:115]
	v_and_b32_e32 v3, 3, v16
.LBB6_8183:                             ;   in Loop: Header=BB6_8046 Depth=2
	s_or_b32 exec_lo, exec_lo, s27
	v_bfe_i32 v4, v114, 0, 16
                                        ; implicit-def: $vgpr114
	s_delay_alu instid0(VALU_DEP_1) | instskip(NEXT) | instid1(VALU_DEP_1)
	v_and_b32_e32 v4, 0x80000000, v4
	v_lshl_add_u32 v1, v1, 23, v4
	s_delay_alu instid0(VALU_DEP_1) | instskip(NEXT) | instid1(VALU_DEP_1)
	v_lshl_or_b32 v1, v3, 21, v1
                                        ; implicit-def: $vgpr3
	v_add_nc_u32_e32 v1, 0x38000000, v1
.LBB6_8184:                             ;   in Loop: Header=BB6_8046 Depth=2
	s_and_not1_saveexec_b32 s26, s26
; %bb.8185:                             ;   in Loop: Header=BB6_8046 Depth=2
	v_cmp_lt_i16_e32 vcc_lo, -1, v114
	v_cndmask_b32_e32 v1, 0xff800000, v105, vcc_lo
	v_cmp_eq_u32_e32 vcc_lo, 0, v3
	s_delay_alu instid0(VALU_DEP_2)
	v_cndmask_b32_e32 v1, 0x7f800001, v1, vcc_lo
; %bb.8186:                             ;   in Loop: Header=BB6_8046 Depth=2
	s_or_b32 exec_lo, exec_lo, s26
.LBB6_8187:                             ;   in Loop: Header=BB6_8046 Depth=2
	s_delay_alu instid0(SALU_CYCLE_1)
	s_or_b32 exec_lo, exec_lo, s25
.LBB6_8188:                             ;   in Loop: Header=BB6_8046 Depth=2
	s_delay_alu instid0(SALU_CYCLE_1) | instskip(NEXT) | instid1(SALU_CYCLE_1)
	s_or_b32 exec_lo, exec_lo, s7
	s_mov_b32 s7, exec_lo
	v_cmpx_ne_u16_e32 0, v64
	s_cbranch_execz .LBB6_8198
; %bb.8189:                             ;   in Loop: Header=BB6_8046 Depth=2
	v_bfrev_b32_e32 v0, 1
	s_mov_b32 s25, exec_lo
	v_cmpx_ne_u16_e32 0xff80, v64
	s_cbranch_execz .LBB6_8197
; %bb.8190:                             ;   in Loop: Header=BB6_8046 Depth=2
	v_and_b32_e32 v0, 0x7c, v64
	v_and_b32_e32 v3, 3, v64
	s_delay_alu instid0(VALU_DEP_2) | instskip(SKIP_1) | instid1(SALU_CYCLE_1)
	v_cmp_ne_u32_e32 vcc_lo, 0x7c, v0
                                        ; implicit-def: $vgpr0
	s_and_saveexec_b32 s26, vcc_lo
	s_xor_b32 s26, exec_lo, s26
	s_cbranch_execz .LBB6_8194
; %bb.8191:                             ;   in Loop: Header=BB6_8046 Depth=2
	v_and_b32_e32 v0, 0xff, v64
	s_mov_b32 s27, exec_lo
	s_delay_alu instid0(VALU_DEP_1) | instskip(NEXT) | instid1(VALU_DEP_1)
	v_bfe_u32 v0, v0, 2, 5
	v_cmpx_eq_u32_e32 0, v0
	s_cbranch_execz .LBB6_8193
; %bb.8192:                             ;   in Loop: Header=BB6_8046 Depth=2
	v_clz_i32_u32_e32 v0, v3
	s_delay_alu instid0(VALU_DEP_1) | instskip(SKIP_1) | instid1(VALU_DEP_2)
	v_min_u32_e32 v0, 32, v0
	v_mov_b32_e32 v65, v5
	v_subrev_nc_u32_e32 v3, 29, v0
	v_sub_nc_u32_e32 v0, 30, v0
	s_delay_alu instid0(VALU_DEP_2) | instskip(NEXT) | instid1(VALU_DEP_1)
	v_lshlrev_b64_e32 v[16:17], v3, v[64:65]
	v_and_b32_e32 v3, 3, v16
.LBB6_8193:                             ;   in Loop: Header=BB6_8046 Depth=2
	s_or_b32 exec_lo, exec_lo, s27
	v_bfe_i32 v4, v64, 0, 16
                                        ; implicit-def: $vgpr64
	s_delay_alu instid0(VALU_DEP_1) | instskip(NEXT) | instid1(VALU_DEP_1)
	v_and_b32_e32 v4, 0x80000000, v4
	v_lshl_add_u32 v0, v0, 23, v4
	s_delay_alu instid0(VALU_DEP_1) | instskip(NEXT) | instid1(VALU_DEP_1)
	v_lshl_or_b32 v0, v3, 21, v0
                                        ; implicit-def: $vgpr3
	v_add_nc_u32_e32 v0, 0x38000000, v0
.LBB6_8194:                             ;   in Loop: Header=BB6_8046 Depth=2
	s_and_not1_saveexec_b32 s26, s26
; %bb.8195:                             ;   in Loop: Header=BB6_8046 Depth=2
	v_cmp_lt_i16_e32 vcc_lo, -1, v64
	v_cndmask_b32_e32 v0, 0xff800000, v105, vcc_lo
	v_cmp_eq_u32_e32 vcc_lo, 0, v3
	s_delay_alu instid0(VALU_DEP_2)
	v_cndmask_b32_e32 v0, 0x7f800001, v0, vcc_lo
; %bb.8196:                             ;   in Loop: Header=BB6_8046 Depth=2
	s_or_b32 exec_lo, exec_lo, s26
.LBB6_8197:                             ;   in Loop: Header=BB6_8046 Depth=2
	s_delay_alu instid0(SALU_CYCLE_1)
	s_or_b32 exec_lo, exec_lo, s25
.LBB6_8198:                             ;   in Loop: Header=BB6_8046 Depth=2
	s_delay_alu instid0(SALU_CYCLE_1) | instskip(NEXT) | instid1(VALU_DEP_1)
	s_or_b32 exec_lo, exec_lo, s7
	v_mul_f32_e32 v0, v1, v0
	v_mov_b32_e32 v17, v5
	s_delay_alu instid0(VALU_DEP_2) | instskip(SKIP_1) | instid1(VALU_DEP_2)
	v_and_b32_e32 v16, 0x7f800000, v0
	v_and_b32_e32 v4, 0x7fffff, v0
	v_cmp_ne_u64_e32 vcc_lo, 0x7f800000, v[16:17]
                                        ; implicit-def: $vgpr16
	s_and_saveexec_b32 s7, vcc_lo
	s_delay_alu instid0(SALU_CYCLE_1)
	s_xor_b32 s25, exec_lo, s7
	s_cbranch_execz .LBB6_8216
; %bb.8199:                             ;   in Loop: Header=BB6_8046 Depth=2
	v_and_b32_e32 v16, 0x7fffffff, v0
	v_dual_mov_b32 v17, v5 :: v_dual_lshrrev_b32 v1, 24, v0
	s_delay_alu instid0(VALU_DEP_1) | instskip(NEXT) | instid1(VALU_DEP_2)
	v_cmp_gt_u64_e32 vcc_lo, 0x47600001, v[16:17]
	v_and_b32_e32 v3, 0x80, v1
                                        ; implicit-def: $vgpr16
	s_and_saveexec_b32 s7, vcc_lo
	s_delay_alu instid0(SALU_CYCLE_1)
	s_xor_b32 s26, exec_lo, s7
	s_cbranch_execz .LBB6_8213
; %bb.8200:                             ;   in Loop: Header=BB6_8046 Depth=2
	v_mov_b32_e32 v16, 0
	s_mov_b32 s27, exec_lo
	v_cmpx_ne_u32_e32 0, v0
	s_cbranch_execz .LBB6_8212
; %bb.8201:                             ;   in Loop: Header=BB6_8046 Depth=2
	v_bfe_u32 v7, v0, 23, 8
	v_or_b32_e32 v1, 0x800000, v4
	s_delay_alu instid0(VALU_DEP_2) | instskip(SKIP_2) | instid1(VALU_DEP_2)
	v_cmp_gt_u32_e64 s7, 0x72, v7
	v_sub_nc_u32_e32 v0, 0x71, v7
	v_cmp_eq_u32_e32 vcc_lo, 0, v7
	v_cndmask_b32_e64 v0, 0, v0, s7
	s_delay_alu instid0(VALU_DEP_1) | instskip(SKIP_1) | instid1(VALU_DEP_2)
	v_cndmask_b32_e64 v9, v0, 0x70, vcc_lo
	v_cndmask_b32_e32 v0, v1, v4, vcc_lo
	v_dual_mov_b32 v1, v5 :: v_dual_add_nc_u32 v4, 21, v9
	s_delay_alu instid0(VALU_DEP_1) | instskip(SKIP_1) | instid1(VALU_DEP_1)
	v_lshlrev_b64_e64 v[16:17], v4, -1
	v_add_nc_u32_e32 v4, 20, v9
	v_lshlrev_b64_e64 v[20:21], v4, 1
	s_delay_alu instid0(VALU_DEP_3) | instskip(SKIP_2) | instid1(VALU_DEP_1)
	v_bfi_b32 v16, v16, 0, v0
	v_lshrrev_b64 v[0:1], v9, v[0:1]
	v_bfi_b32 v17, v17, 0, 0
	v_cmp_eq_u64_e64 s7, v[16:17], v[20:21]
	s_delay_alu instid0(VALU_DEP_3)
	v_mov_b64_e32 v[16:17], v[0:1]
	s_and_saveexec_b32 s28, s7
; %bb.8202:                             ;   in Loop: Header=BB6_8046 Depth=2
	v_bfe_u32 v16, v0, 21, 1
	v_mov_b32_e32 v17, v5
	s_delay_alu instid0(VALU_DEP_1) | instskip(NEXT) | instid1(VALU_DEP_1)
	v_add_nc_u64_e32 v[16:17], v[0:1], v[16:17]
	v_add_nc_u64_e32 v[16:17], -1, v[16:17]
; %bb.8203:                             ;   in Loop: Header=BB6_8046 Depth=2
	s_or_b32 exec_lo, exec_lo, s28
	v_add_nc_u32_e32 v1, 0xffffff81, v7
	v_lshrrev_b32_e32 v4, 23, v0
	s_mov_b32 s7, exec_lo
                                        ; implicit-def: $vgpr7
	s_delay_alu instid0(VALU_DEP_2) | instskip(NEXT) | instid1(VALU_DEP_1)
	v_cndmask_b32_e64 v1, v1, 0xffffff82, vcc_lo
	v_add3_u32 v9, v9, v1, v4
	v_and_b32_e32 v1, 0x1fffff, v16
	s_delay_alu instid0(VALU_DEP_1) | instskip(NEXT) | instid1(VALU_DEP_1)
	v_dual_add_nc_u32 v16, 14, v9 :: v_dual_add_nc_u32 v4, v1, v0
                                        ; implicit-def: $vgpr0_vgpr1
	v_cmpx_ne_u32_e32 0, v16
	s_xor_b32 s7, exec_lo, s7
; %bb.8204:                             ;   in Loop: Header=BB6_8046 Depth=2
	s_delay_alu instid0(VALU_DEP_2) | instskip(SKIP_1) | instid1(VALU_DEP_1)
	v_cmp_lt_u64_e32 vcc_lo, 0xffffff, v[4:5]
	v_add_nc_u32_e32 v0, 15, v9
	v_cndmask_b32_e32 v7, v16, v0, vcc_lo
	v_cndmask_b32_e64 v0, 0, 1, vcc_lo
	s_delay_alu instid0(VALU_DEP_1)
	v_lshrrev_b64 v[0:1], v0, v[4:5]
; %bb.8205:                             ;   in Loop: Header=BB6_8046 Depth=2
	s_and_not1_saveexec_b32 s7, s7
; %bb.8206:                             ;   in Loop: Header=BB6_8046 Depth=2
	v_mov_b64_e32 v[0:1], v[4:5]
	v_bfe_u32 v7, v4, 23, 1
; %bb.8207:                             ;   in Loop: Header=BB6_8046 Depth=2
	s_or_b32 exec_lo, exec_lo, s7
	s_delay_alu instid0(VALU_DEP_2) | instskip(NEXT) | instid1(VALU_DEP_2)
	v_lshrrev_b64 v[0:1], 21, v[0:1]
	v_cmp_gt_i32_e32 vcc_lo, 32, v7
	v_cmp_ne_u32_e64 s7, 0, v7
                                        ; implicit-def: $vgpr16
	s_delay_alu instid0(VALU_DEP_3) | instskip(NEXT) | instid1(VALU_DEP_1)
	v_dual_cndmask_b32 v1, 0, v1 :: v_dual_cndmask_b32 v0, 3, v0
	v_cmp_ne_u64_e32 vcc_lo, 0, v[0:1]
	s_or_b32 s7, s7, vcc_lo
	s_delay_alu instid0(SALU_CYCLE_1) | instskip(NEXT) | instid1(SALU_CYCLE_1)
	s_and_saveexec_b32 s28, s7
	s_xor_b32 s7, exec_lo, s28
; %bb.8208:                             ;   in Loop: Header=BB6_8046 Depth=2
	v_min_i32_e32 v1, 31, v7
	s_delay_alu instid0(VALU_DEP_1) | instskip(NEXT) | instid1(VALU_DEP_1)
	v_lshl_or_b32 v1, v1, 2, v3
                                        ; implicit-def: $vgpr3
	v_and_or_b32 v16, v0, 3, v1
; %bb.8209:                             ;   in Loop: Header=BB6_8046 Depth=2
	s_and_not1_saveexec_b32 s7, s7
; %bb.8210:                             ;   in Loop: Header=BB6_8046 Depth=2
	v_mov_b32_e32 v16, v3
; %bb.8211:                             ;   in Loop: Header=BB6_8046 Depth=2
	s_or_b32 exec_lo, exec_lo, s7
.LBB6_8212:                             ;   in Loop: Header=BB6_8046 Depth=2
	s_delay_alu instid0(SALU_CYCLE_1)
	s_or_b32 exec_lo, exec_lo, s27
                                        ; implicit-def: $vgpr3
.LBB6_8213:                             ;   in Loop: Header=BB6_8046 Depth=2
	s_and_not1_saveexec_b32 s7, s26
; %bb.8214:                             ;   in Loop: Header=BB6_8046 Depth=2
	v_or_b32_e32 v16, 0x7b, v3
; %bb.8215:                             ;   in Loop: Header=BB6_8046 Depth=2
	s_or_b32 exec_lo, exec_lo, s7
                                        ; implicit-def: $vgpr0
.LBB6_8216:                             ;   in Loop: Header=BB6_8046 Depth=2
	s_and_not1_saveexec_b32 s7, s25
	s_cbranch_execz .LBB6_8222
; %bb.8217:                             ;   in Loop: Header=BB6_8046 Depth=2
	s_mov_b32 s25, exec_lo
                                        ; implicit-def: $vgpr16
	v_cmpx_ne_u64_e32 0, v[4:5]
	s_xor_b32 s25, exec_lo, s25
; %bb.8218:                             ;   in Loop: Header=BB6_8046 Depth=2
	v_lshrrev_b32_e32 v0, 24, v0
	s_delay_alu instid0(VALU_DEP_1)
	v_or_b32_e32 v16, 0x7f, v0
                                        ; implicit-def: $vgpr0
; %bb.8219:                             ;   in Loop: Header=BB6_8046 Depth=2
	s_and_not1_saveexec_b32 s25, s25
; %bb.8220:                             ;   in Loop: Header=BB6_8046 Depth=2
	v_cmp_lt_i32_e32 vcc_lo, -1, v0
	v_cndmask_b32_e64 v16, -4, 0x7c, vcc_lo
; %bb.8221:                             ;   in Loop: Header=BB6_8046 Depth=2
	s_or_b32 exec_lo, exec_lo, s25
.LBB6_8222:                             ;   in Loop: Header=BB6_8046 Depth=2
	s_delay_alu instid0(SALU_CYCLE_1)
	s_or_b32 exec_lo, exec_lo, s7
	v_dual_mov_b32 v0, 0 :: v_dual_mov_b32 v1, 0
	s_mov_b32 s7, exec_lo
	v_cmpx_ne_u16_e32 0, v8
	s_cbranch_execz .LBB6_8232
; %bb.8223:                             ;   in Loop: Header=BB6_8046 Depth=2
	v_bfrev_b32_e32 v1, 1
	s_mov_b32 s25, exec_lo
	v_cmpx_ne_u16_e32 0xff80, v8
	s_cbranch_execz .LBB6_8231
; %bb.8224:                             ;   in Loop: Header=BB6_8046 Depth=2
	v_and_b32_e32 v1, 0x7c, v8
	v_and_b32_e32 v3, 3, v8
	s_delay_alu instid0(VALU_DEP_2) | instskip(SKIP_1) | instid1(SALU_CYCLE_1)
	v_cmp_ne_u32_e32 vcc_lo, 0x7c, v1
                                        ; implicit-def: $vgpr1
	s_and_saveexec_b32 s26, vcc_lo
	s_xor_b32 s26, exec_lo, s26
	s_cbranch_execz .LBB6_8228
; %bb.8225:                             ;   in Loop: Header=BB6_8046 Depth=2
	v_and_b32_e32 v1, 0xff, v8
	s_mov_b32 s27, exec_lo
	s_delay_alu instid0(VALU_DEP_1) | instskip(NEXT) | instid1(VALU_DEP_1)
	v_bfe_u32 v1, v1, 2, 5
	v_cmpx_eq_u32_e32 0, v1
	s_cbranch_execz .LBB6_8227
; %bb.8226:                             ;   in Loop: Header=BB6_8046 Depth=2
	v_clz_i32_u32_e32 v1, v3
	s_delay_alu instid0(VALU_DEP_1) | instskip(SKIP_1) | instid1(VALU_DEP_2)
	v_min_u32_e32 v1, 32, v1
	v_mov_b32_e32 v9, v5
	v_subrev_nc_u32_e32 v3, 29, v1
	v_sub_nc_u32_e32 v1, 30, v1
	s_delay_alu instid0(VALU_DEP_2) | instskip(NEXT) | instid1(VALU_DEP_1)
	v_lshlrev_b64_e32 v[20:21], v3, v[8:9]
	v_and_b32_e32 v3, 3, v20
.LBB6_8227:                             ;   in Loop: Header=BB6_8046 Depth=2
	s_or_b32 exec_lo, exec_lo, s27
	v_bfe_i32 v4, v8, 0, 16
                                        ; implicit-def: $vgpr8
	s_delay_alu instid0(VALU_DEP_1) | instskip(NEXT) | instid1(VALU_DEP_1)
	v_and_b32_e32 v4, 0x80000000, v4
	v_lshl_add_u32 v1, v1, 23, v4
	s_delay_alu instid0(VALU_DEP_1) | instskip(NEXT) | instid1(VALU_DEP_1)
	v_lshl_or_b32 v1, v3, 21, v1
                                        ; implicit-def: $vgpr3
	v_add_nc_u32_e32 v1, 0x38000000, v1
.LBB6_8228:                             ;   in Loop: Header=BB6_8046 Depth=2
	s_and_not1_saveexec_b32 s26, s26
; %bb.8229:                             ;   in Loop: Header=BB6_8046 Depth=2
	v_cmp_lt_i16_e32 vcc_lo, -1, v8
	v_cndmask_b32_e32 v1, 0xff800000, v105, vcc_lo
	v_cmp_eq_u32_e32 vcc_lo, 0, v3
	s_delay_alu instid0(VALU_DEP_2)
	v_cndmask_b32_e32 v1, 0x7f800001, v1, vcc_lo
; %bb.8230:                             ;   in Loop: Header=BB6_8046 Depth=2
	s_or_b32 exec_lo, exec_lo, s26
.LBB6_8231:                             ;   in Loop: Header=BB6_8046 Depth=2
	s_delay_alu instid0(SALU_CYCLE_1)
	s_or_b32 exec_lo, exec_lo, s25
.LBB6_8232:                             ;   in Loop: Header=BB6_8046 Depth=2
	s_delay_alu instid0(SALU_CYCLE_1) | instskip(NEXT) | instid1(SALU_CYCLE_1)
	s_or_b32 exec_lo, exec_lo, s7
	s_mov_b32 s7, exec_lo
	v_cmpx_ne_u16_e32 0, v6
	s_cbranch_execz .LBB6_8242
; %bb.8233:                             ;   in Loop: Header=BB6_8046 Depth=2
	v_bfrev_b32_e32 v0, 1
	s_mov_b32 s25, exec_lo
	v_cmpx_ne_u16_e32 0xff80, v6
	s_cbranch_execz .LBB6_8241
; %bb.8234:                             ;   in Loop: Header=BB6_8046 Depth=2
	v_and_b32_e32 v0, 0x7c, v6
	v_and_b32_e32 v3, 3, v6
	s_delay_alu instid0(VALU_DEP_2) | instskip(SKIP_1) | instid1(SALU_CYCLE_1)
	v_cmp_ne_u32_e32 vcc_lo, 0x7c, v0
                                        ; implicit-def: $vgpr0
	s_and_saveexec_b32 s26, vcc_lo
	s_xor_b32 s26, exec_lo, s26
	s_cbranch_execz .LBB6_8238
; %bb.8235:                             ;   in Loop: Header=BB6_8046 Depth=2
	v_and_b32_e32 v0, 0xff, v6
	s_mov_b32 s27, exec_lo
	s_delay_alu instid0(VALU_DEP_1) | instskip(NEXT) | instid1(VALU_DEP_1)
	v_bfe_u32 v0, v0, 2, 5
	v_cmpx_eq_u32_e32 0, v0
	s_cbranch_execz .LBB6_8237
; %bb.8236:                             ;   in Loop: Header=BB6_8046 Depth=2
	v_clz_i32_u32_e32 v0, v3
	s_delay_alu instid0(VALU_DEP_1) | instskip(SKIP_1) | instid1(VALU_DEP_2)
	v_min_u32_e32 v0, 32, v0
	v_mov_b32_e32 v7, v5
	v_subrev_nc_u32_e32 v3, 29, v0
	v_sub_nc_u32_e32 v0, 30, v0
	s_delay_alu instid0(VALU_DEP_2) | instskip(NEXT) | instid1(VALU_DEP_1)
	v_lshlrev_b64_e32 v[8:9], v3, v[6:7]
	v_and_b32_e32 v3, 3, v8
.LBB6_8237:                             ;   in Loop: Header=BB6_8046 Depth=2
	s_or_b32 exec_lo, exec_lo, s27
	v_bfe_i32 v4, v6, 0, 16
                                        ; implicit-def: $vgpr6
	s_delay_alu instid0(VALU_DEP_1) | instskip(NEXT) | instid1(VALU_DEP_1)
	v_and_b32_e32 v4, 0x80000000, v4
	v_lshl_add_u32 v0, v0, 23, v4
	s_delay_alu instid0(VALU_DEP_1) | instskip(NEXT) | instid1(VALU_DEP_1)
	v_lshl_or_b32 v0, v3, 21, v0
                                        ; implicit-def: $vgpr3
	v_add_nc_u32_e32 v0, 0x38000000, v0
.LBB6_8238:                             ;   in Loop: Header=BB6_8046 Depth=2
	s_and_not1_saveexec_b32 s26, s26
; %bb.8239:                             ;   in Loop: Header=BB6_8046 Depth=2
	v_cmp_lt_i16_e32 vcc_lo, -1, v6
	v_cndmask_b32_e32 v0, 0xff800000, v105, vcc_lo
	v_cmp_eq_u32_e32 vcc_lo, 0, v3
	s_delay_alu instid0(VALU_DEP_2)
	v_cndmask_b32_e32 v0, 0x7f800001, v0, vcc_lo
; %bb.8240:                             ;   in Loop: Header=BB6_8046 Depth=2
	s_or_b32 exec_lo, exec_lo, s26
.LBB6_8241:                             ;   in Loop: Header=BB6_8046 Depth=2
	s_delay_alu instid0(SALU_CYCLE_1)
	s_or_b32 exec_lo, exec_lo, s25
.LBB6_8242:                             ;   in Loop: Header=BB6_8046 Depth=2
	s_delay_alu instid0(SALU_CYCLE_1) | instskip(NEXT) | instid1(VALU_DEP_1)
	s_or_b32 exec_lo, exec_lo, s7
	v_mul_f32_e32 v0, v1, v0
	v_mov_b32_e32 v7, v5
                                        ; implicit-def: $vgpr8
	s_mov_b32 s7, exec_lo
	s_delay_alu instid0(VALU_DEP_2) | instskip(SKIP_1) | instid1(VALU_DEP_2)
	v_and_b32_e32 v6, 0x7f800000, v0
	v_and_b32_e32 v4, 0x7fffff, v0
	v_cmpx_ne_u64_e32 0x7f800000, v[6:7]
	s_xor_b32 s25, exec_lo, s7
	s_cbranch_execz .LBB6_8260
; %bb.8243:                             ;   in Loop: Header=BB6_8046 Depth=2
	v_dual_mov_b32 v7, v5 :: v_dual_lshrrev_b32 v1, 24, v0
	v_and_b32_e32 v6, 0x7fffffff, v0
                                        ; implicit-def: $vgpr8
	s_mov_b32 s7, exec_lo
	s_delay_alu instid0(VALU_DEP_2) | instskip(NEXT) | instid1(VALU_DEP_2)
	v_and_b32_e32 v3, 0x80, v1
	v_cmpx_gt_u64_e32 0x47600001, v[6:7]
	s_xor_b32 s26, exec_lo, s7
	s_cbranch_execz .LBB6_8257
; %bb.8244:                             ;   in Loop: Header=BB6_8046 Depth=2
	v_mov_b32_e32 v8, 0
	s_mov_b32 s27, exec_lo
	v_cmpx_ne_u32_e32 0, v0
	s_cbranch_execz .LBB6_8256
; %bb.8245:                             ;   in Loop: Header=BB6_8046 Depth=2
	v_bfe_u32 v8, v0, 23, 8
	v_or_b32_e32 v1, 0x800000, v4
	s_delay_alu instid0(VALU_DEP_2) | instskip(SKIP_2) | instid1(VALU_DEP_2)
	v_cmp_gt_u32_e64 s7, 0x72, v8
	v_sub_nc_u32_e32 v0, 0x71, v8
	v_cmp_eq_u32_e32 vcc_lo, 0, v8
	v_cndmask_b32_e64 v0, 0, v0, s7
	s_delay_alu instid0(VALU_DEP_1) | instskip(SKIP_1) | instid1(VALU_DEP_2)
	v_cndmask_b32_e64 v9, v0, 0x70, vcc_lo
	v_cndmask_b32_e32 v0, v1, v4, vcc_lo
	v_dual_mov_b32 v1, v5 :: v_dual_add_nc_u32 v4, 21, v9
	s_delay_alu instid0(VALU_DEP_1) | instskip(SKIP_1) | instid1(VALU_DEP_1)
	v_lshlrev_b64_e64 v[6:7], v4, -1
	v_add_nc_u32_e32 v4, 20, v9
	v_lshlrev_b64_e64 v[20:21], v4, 1
	s_delay_alu instid0(VALU_DEP_3) | instskip(SKIP_2) | instid1(VALU_DEP_1)
	v_bfi_b32 v6, v6, 0, v0
	v_lshrrev_b64 v[0:1], v9, v[0:1]
	v_bfi_b32 v7, v7, 0, 0
	v_cmp_eq_u64_e64 s7, v[6:7], v[20:21]
	s_delay_alu instid0(VALU_DEP_3)
	v_mov_b64_e32 v[6:7], v[0:1]
	s_and_saveexec_b32 s28, s7
; %bb.8246:                             ;   in Loop: Header=BB6_8046 Depth=2
	v_bfe_u32 v6, v0, 21, 1
	v_mov_b32_e32 v7, v5
	s_delay_alu instid0(VALU_DEP_1) | instskip(NEXT) | instid1(VALU_DEP_1)
	v_add_nc_u64_e32 v[6:7], v[0:1], v[6:7]
	v_add_nc_u64_e32 v[6:7], -1, v[6:7]
; %bb.8247:                             ;   in Loop: Header=BB6_8046 Depth=2
	s_or_b32 exec_lo, exec_lo, s28
	v_add_nc_u32_e32 v1, 0xffffff81, v8
	v_lshrrev_b32_e32 v4, 23, v0
	s_mov_b32 s7, exec_lo
	s_delay_alu instid0(VALU_DEP_2) | instskip(NEXT) | instid1(VALU_DEP_1)
	v_cndmask_b32_e64 v1, v1, 0xffffff82, vcc_lo
	v_add3_u32 v7, v9, v1, v4
	v_and_b32_e32 v1, 0x1fffff, v6
                                        ; implicit-def: $vgpr6
	s_delay_alu instid0(VALU_DEP_1) | instskip(NEXT) | instid1(VALU_DEP_1)
	v_dual_add_nc_u32 v8, 14, v7 :: v_dual_add_nc_u32 v4, v1, v0
                                        ; implicit-def: $vgpr0_vgpr1
	v_cmpx_ne_u32_e32 0, v8
	s_xor_b32 s7, exec_lo, s7
; %bb.8248:                             ;   in Loop: Header=BB6_8046 Depth=2
	s_delay_alu instid0(VALU_DEP_2) | instskip(SKIP_1) | instid1(VALU_DEP_1)
	v_cmp_lt_u64_e32 vcc_lo, 0xffffff, v[4:5]
	v_add_nc_u32_e32 v0, 15, v7
	v_cndmask_b32_e32 v6, v8, v0, vcc_lo
	v_cndmask_b32_e64 v0, 0, 1, vcc_lo
	s_delay_alu instid0(VALU_DEP_1)
	v_lshrrev_b64 v[0:1], v0, v[4:5]
; %bb.8249:                             ;   in Loop: Header=BB6_8046 Depth=2
	s_and_not1_saveexec_b32 s7, s7
; %bb.8250:                             ;   in Loop: Header=BB6_8046 Depth=2
	v_mov_b64_e32 v[0:1], v[4:5]
	v_bfe_u32 v6, v4, 23, 1
; %bb.8251:                             ;   in Loop: Header=BB6_8046 Depth=2
	s_or_b32 exec_lo, exec_lo, s7
	s_delay_alu instid0(VALU_DEP_2) | instskip(NEXT) | instid1(VALU_DEP_2)
	v_lshrrev_b64 v[0:1], 21, v[0:1]
	v_cmp_gt_i32_e32 vcc_lo, 32, v6
	v_cmp_ne_u32_e64 s7, 0, v6
                                        ; implicit-def: $vgpr8
	s_delay_alu instid0(VALU_DEP_3) | instskip(NEXT) | instid1(VALU_DEP_1)
	v_dual_cndmask_b32 v1, 0, v1 :: v_dual_cndmask_b32 v0, 3, v0
	v_cmp_ne_u64_e32 vcc_lo, 0, v[0:1]
	s_or_b32 s7, s7, vcc_lo
	s_delay_alu instid0(SALU_CYCLE_1) | instskip(NEXT) | instid1(SALU_CYCLE_1)
	s_and_saveexec_b32 s28, s7
	s_xor_b32 s7, exec_lo, s28
; %bb.8252:                             ;   in Loop: Header=BB6_8046 Depth=2
	v_min_i32_e32 v1, 31, v6
	s_delay_alu instid0(VALU_DEP_1) | instskip(NEXT) | instid1(VALU_DEP_1)
	v_lshl_or_b32 v1, v1, 2, v3
                                        ; implicit-def: $vgpr3
	v_and_or_b32 v8, v0, 3, v1
; %bb.8253:                             ;   in Loop: Header=BB6_8046 Depth=2
	s_and_not1_saveexec_b32 s7, s7
; %bb.8254:                             ;   in Loop: Header=BB6_8046 Depth=2
	v_mov_b32_e32 v8, v3
; %bb.8255:                             ;   in Loop: Header=BB6_8046 Depth=2
	s_or_b32 exec_lo, exec_lo, s7
.LBB6_8256:                             ;   in Loop: Header=BB6_8046 Depth=2
	s_delay_alu instid0(SALU_CYCLE_1)
	s_or_b32 exec_lo, exec_lo, s27
                                        ; implicit-def: $vgpr3
.LBB6_8257:                             ;   in Loop: Header=BB6_8046 Depth=2
	s_and_not1_saveexec_b32 s7, s26
; %bb.8258:                             ;   in Loop: Header=BB6_8046 Depth=2
	v_or_b32_e32 v8, 0x7b, v3
; %bb.8259:                             ;   in Loop: Header=BB6_8046 Depth=2
	s_or_b32 exec_lo, exec_lo, s7
                                        ; implicit-def: $vgpr0
.LBB6_8260:                             ;   in Loop: Header=BB6_8046 Depth=2
	s_and_not1_saveexec_b32 s7, s25
	s_cbranch_execz .LBB6_8266
; %bb.8261:                             ;   in Loop: Header=BB6_8046 Depth=2
	s_mov_b32 s25, exec_lo
                                        ; implicit-def: $vgpr8
	v_cmpx_ne_u64_e32 0, v[4:5]
	s_xor_b32 s25, exec_lo, s25
; %bb.8262:                             ;   in Loop: Header=BB6_8046 Depth=2
	v_lshrrev_b32_e32 v0, 24, v0
	s_delay_alu instid0(VALU_DEP_1)
	v_or_b32_e32 v8, 0x7f, v0
                                        ; implicit-def: $vgpr0
; %bb.8263:                             ;   in Loop: Header=BB6_8046 Depth=2
	s_and_not1_saveexec_b32 s25, s25
; %bb.8264:                             ;   in Loop: Header=BB6_8046 Depth=2
	v_cmp_lt_i32_e32 vcc_lo, -1, v0
	v_cndmask_b32_e64 v8, -4, 0x7c, vcc_lo
; %bb.8265:                             ;   in Loop: Header=BB6_8046 Depth=2
	s_or_b32 exec_lo, exec_lo, s25
.LBB6_8266:                             ;   in Loop: Header=BB6_8046 Depth=2
	s_delay_alu instid0(SALU_CYCLE_1)
	s_or_b32 exec_lo, exec_lo, s7
	v_dual_mov_b32 v0, 0 :: v_dual_mov_b32 v1, 0
	s_mov_b32 s7, exec_lo
	v_cmpx_ne_u16_e32 0, v112
	s_cbranch_execz .LBB6_8276
; %bb.8267:                             ;   in Loop: Header=BB6_8046 Depth=2
	v_bfrev_b32_e32 v1, 1
	s_mov_b32 s25, exec_lo
	v_cmpx_ne_u16_e32 0xff80, v112
	s_cbranch_execz .LBB6_8275
; %bb.8268:                             ;   in Loop: Header=BB6_8046 Depth=2
	v_and_b32_e32 v1, 0x7c, v112
	v_and_b32_e32 v3, 3, v112
	s_delay_alu instid0(VALU_DEP_2) | instskip(SKIP_1) | instid1(SALU_CYCLE_1)
	v_cmp_ne_u32_e32 vcc_lo, 0x7c, v1
                                        ; implicit-def: $vgpr1
	s_and_saveexec_b32 s26, vcc_lo
	s_xor_b32 s26, exec_lo, s26
	s_cbranch_execz .LBB6_8272
; %bb.8269:                             ;   in Loop: Header=BB6_8046 Depth=2
	v_and_b32_e32 v1, 0xff, v112
	s_mov_b32 s27, exec_lo
	s_delay_alu instid0(VALU_DEP_1) | instskip(NEXT) | instid1(VALU_DEP_1)
	v_bfe_u32 v1, v1, 2, 5
	v_cmpx_eq_u32_e32 0, v1
	s_cbranch_execz .LBB6_8271
; %bb.8270:                             ;   in Loop: Header=BB6_8046 Depth=2
	v_clz_i32_u32_e32 v1, v3
	s_delay_alu instid0(VALU_DEP_1) | instskip(SKIP_1) | instid1(VALU_DEP_2)
	v_min_u32_e32 v1, 32, v1
	v_mov_b32_e32 v113, v5
	v_subrev_nc_u32_e32 v3, 29, v1
	v_sub_nc_u32_e32 v1, 30, v1
	s_delay_alu instid0(VALU_DEP_2) | instskip(NEXT) | instid1(VALU_DEP_1)
	v_lshlrev_b64_e32 v[6:7], v3, v[112:113]
	v_and_b32_e32 v3, 3, v6
.LBB6_8271:                             ;   in Loop: Header=BB6_8046 Depth=2
	s_or_b32 exec_lo, exec_lo, s27
	v_bfe_i32 v4, v112, 0, 16
                                        ; implicit-def: $vgpr112
	s_delay_alu instid0(VALU_DEP_1) | instskip(NEXT) | instid1(VALU_DEP_1)
	v_and_b32_e32 v4, 0x80000000, v4
	v_lshl_add_u32 v1, v1, 23, v4
	s_delay_alu instid0(VALU_DEP_1) | instskip(NEXT) | instid1(VALU_DEP_1)
	v_lshl_or_b32 v1, v3, 21, v1
                                        ; implicit-def: $vgpr3
	v_add_nc_u32_e32 v1, 0x38000000, v1
.LBB6_8272:                             ;   in Loop: Header=BB6_8046 Depth=2
	s_and_not1_saveexec_b32 s26, s26
; %bb.8273:                             ;   in Loop: Header=BB6_8046 Depth=2
	v_cmp_lt_i16_e32 vcc_lo, -1, v112
	v_cndmask_b32_e32 v1, 0xff800000, v105, vcc_lo
	v_cmp_eq_u32_e32 vcc_lo, 0, v3
	s_delay_alu instid0(VALU_DEP_2)
	v_cndmask_b32_e32 v1, 0x7f800001, v1, vcc_lo
; %bb.8274:                             ;   in Loop: Header=BB6_8046 Depth=2
	s_or_b32 exec_lo, exec_lo, s26
.LBB6_8275:                             ;   in Loop: Header=BB6_8046 Depth=2
	s_delay_alu instid0(SALU_CYCLE_1)
	s_or_b32 exec_lo, exec_lo, s25
.LBB6_8276:                             ;   in Loop: Header=BB6_8046 Depth=2
	s_delay_alu instid0(SALU_CYCLE_1) | instskip(NEXT) | instid1(SALU_CYCLE_1)
	s_or_b32 exec_lo, exec_lo, s7
	s_mov_b32 s7, exec_lo
	v_cmpx_ne_u16_e32 0, v80
	s_cbranch_execz .LBB6_8286
; %bb.8277:                             ;   in Loop: Header=BB6_8046 Depth=2
	v_bfrev_b32_e32 v0, 1
	s_mov_b32 s25, exec_lo
	v_cmpx_ne_u16_e32 0xff80, v80
	s_cbranch_execz .LBB6_8285
; %bb.8278:                             ;   in Loop: Header=BB6_8046 Depth=2
	v_and_b32_e32 v0, 0x7c, v80
	v_and_b32_e32 v3, 3, v80
	s_delay_alu instid0(VALU_DEP_2) | instskip(SKIP_1) | instid1(SALU_CYCLE_1)
	v_cmp_ne_u32_e32 vcc_lo, 0x7c, v0
                                        ; implicit-def: $vgpr0
	s_and_saveexec_b32 s26, vcc_lo
	s_xor_b32 s26, exec_lo, s26
	s_cbranch_execz .LBB6_8282
; %bb.8279:                             ;   in Loop: Header=BB6_8046 Depth=2
	v_and_b32_e32 v0, 0xff, v80
	s_mov_b32 s27, exec_lo
	s_delay_alu instid0(VALU_DEP_1) | instskip(NEXT) | instid1(VALU_DEP_1)
	v_bfe_u32 v0, v0, 2, 5
	v_cmpx_eq_u32_e32 0, v0
	s_cbranch_execz .LBB6_8281
; %bb.8280:                             ;   in Loop: Header=BB6_8046 Depth=2
	v_clz_i32_u32_e32 v0, v3
	s_delay_alu instid0(VALU_DEP_1) | instskip(SKIP_1) | instid1(VALU_DEP_2)
	v_min_u32_e32 v0, 32, v0
	v_mov_b32_e32 v81, v5
	v_subrev_nc_u32_e32 v3, 29, v0
	v_sub_nc_u32_e32 v0, 30, v0
	s_delay_alu instid0(VALU_DEP_2) | instskip(NEXT) | instid1(VALU_DEP_1)
	v_lshlrev_b64_e32 v[6:7], v3, v[80:81]
	v_and_b32_e32 v3, 3, v6
.LBB6_8281:                             ;   in Loop: Header=BB6_8046 Depth=2
	s_or_b32 exec_lo, exec_lo, s27
	v_bfe_i32 v4, v80, 0, 16
                                        ; implicit-def: $vgpr80
	s_delay_alu instid0(VALU_DEP_1) | instskip(NEXT) | instid1(VALU_DEP_1)
	v_and_b32_e32 v4, 0x80000000, v4
	v_lshl_add_u32 v0, v0, 23, v4
	s_delay_alu instid0(VALU_DEP_1) | instskip(NEXT) | instid1(VALU_DEP_1)
	v_lshl_or_b32 v0, v3, 21, v0
                                        ; implicit-def: $vgpr3
	v_add_nc_u32_e32 v0, 0x38000000, v0
.LBB6_8282:                             ;   in Loop: Header=BB6_8046 Depth=2
	s_and_not1_saveexec_b32 s26, s26
; %bb.8283:                             ;   in Loop: Header=BB6_8046 Depth=2
	v_cmp_lt_i16_e32 vcc_lo, -1, v80
	v_cndmask_b32_e32 v0, 0xff800000, v105, vcc_lo
	v_cmp_eq_u32_e32 vcc_lo, 0, v3
	s_delay_alu instid0(VALU_DEP_2)
	v_cndmask_b32_e32 v0, 0x7f800001, v0, vcc_lo
; %bb.8284:                             ;   in Loop: Header=BB6_8046 Depth=2
	s_or_b32 exec_lo, exec_lo, s26
.LBB6_8285:                             ;   in Loop: Header=BB6_8046 Depth=2
	s_delay_alu instid0(SALU_CYCLE_1)
	s_or_b32 exec_lo, exec_lo, s25
.LBB6_8286:                             ;   in Loop: Header=BB6_8046 Depth=2
	s_delay_alu instid0(SALU_CYCLE_1) | instskip(NEXT) | instid1(VALU_DEP_1)
	s_or_b32 exec_lo, exec_lo, s7
	v_mul_f32_e32 v0, v1, v0
	v_mov_b32_e32 v7, v5
                                        ; implicit-def: $vgpr9
	s_mov_b32 s7, exec_lo
	s_delay_alu instid0(VALU_DEP_2) | instskip(SKIP_1) | instid1(VALU_DEP_2)
	v_and_b32_e32 v6, 0x7f800000, v0
	v_and_b32_e32 v4, 0x7fffff, v0
	v_cmpx_ne_u64_e32 0x7f800000, v[6:7]
	s_xor_b32 s25, exec_lo, s7
	s_cbranch_execz .LBB6_8304
; %bb.8287:                             ;   in Loop: Header=BB6_8046 Depth=2
	v_dual_mov_b32 v7, v5 :: v_dual_lshrrev_b32 v1, 24, v0
	v_and_b32_e32 v6, 0x7fffffff, v0
                                        ; implicit-def: $vgpr9
	s_mov_b32 s7, exec_lo
	s_delay_alu instid0(VALU_DEP_2) | instskip(NEXT) | instid1(VALU_DEP_2)
	v_and_b32_e32 v3, 0x80, v1
	v_cmpx_gt_u64_e32 0x47600001, v[6:7]
	s_xor_b32 s26, exec_lo, s7
	s_cbranch_execz .LBB6_8301
; %bb.8288:                             ;   in Loop: Header=BB6_8046 Depth=2
	v_mov_b32_e32 v9, 0
	s_mov_b32 s27, exec_lo
	v_cmpx_ne_u32_e32 0, v0
	s_cbranch_execz .LBB6_8300
; %bb.8289:                             ;   in Loop: Header=BB6_8046 Depth=2
	v_bfe_u32 v9, v0, 23, 8
	v_or_b32_e32 v1, 0x800000, v4
	s_delay_alu instid0(VALU_DEP_2) | instskip(SKIP_2) | instid1(VALU_DEP_2)
	v_cmp_gt_u32_e64 s7, 0x72, v9
	v_sub_nc_u32_e32 v0, 0x71, v9
	v_cmp_eq_u32_e32 vcc_lo, 0, v9
	v_cndmask_b32_e64 v0, 0, v0, s7
	s_delay_alu instid0(VALU_DEP_1) | instskip(SKIP_1) | instid1(VALU_DEP_2)
	v_cndmask_b32_e64 v17, v0, 0x70, vcc_lo
	v_cndmask_b32_e32 v0, v1, v4, vcc_lo
	v_dual_mov_b32 v1, v5 :: v_dual_add_nc_u32 v4, 21, v17
	s_delay_alu instid0(VALU_DEP_1) | instskip(SKIP_1) | instid1(VALU_DEP_1)
	v_lshlrev_b64_e64 v[6:7], v4, -1
	v_add_nc_u32_e32 v4, 20, v17
	v_lshlrev_b64_e64 v[20:21], v4, 1
	s_delay_alu instid0(VALU_DEP_3) | instskip(SKIP_2) | instid1(VALU_DEP_1)
	v_bfi_b32 v6, v6, 0, v0
	v_lshrrev_b64 v[0:1], v17, v[0:1]
	v_bfi_b32 v7, v7, 0, 0
	v_cmp_eq_u64_e64 s7, v[6:7], v[20:21]
	s_delay_alu instid0(VALU_DEP_3)
	v_mov_b64_e32 v[6:7], v[0:1]
	s_and_saveexec_b32 s28, s7
; %bb.8290:                             ;   in Loop: Header=BB6_8046 Depth=2
	v_bfe_u32 v6, v0, 21, 1
	v_mov_b32_e32 v7, v5
	s_delay_alu instid0(VALU_DEP_1) | instskip(NEXT) | instid1(VALU_DEP_1)
	v_add_nc_u64_e32 v[6:7], v[0:1], v[6:7]
	v_add_nc_u64_e32 v[6:7], -1, v[6:7]
; %bb.8291:                             ;   in Loop: Header=BB6_8046 Depth=2
	s_or_b32 exec_lo, exec_lo, s28
	v_add_nc_u32_e32 v1, 0xffffff81, v9
	v_lshrrev_b32_e32 v4, 23, v0
	s_mov_b32 s7, exec_lo
	s_delay_alu instid0(VALU_DEP_2) | instskip(NEXT) | instid1(VALU_DEP_1)
	v_cndmask_b32_e64 v1, v1, 0xffffff82, vcc_lo
	v_add3_u32 v7, v17, v1, v4
	v_and_b32_e32 v1, 0x1fffff, v6
                                        ; implicit-def: $vgpr6
	s_delay_alu instid0(VALU_DEP_1) | instskip(NEXT) | instid1(VALU_DEP_1)
	v_dual_add_nc_u32 v9, 14, v7 :: v_dual_add_nc_u32 v4, v1, v0
                                        ; implicit-def: $vgpr0_vgpr1
	v_cmpx_ne_u32_e32 0, v9
	s_xor_b32 s7, exec_lo, s7
; %bb.8292:                             ;   in Loop: Header=BB6_8046 Depth=2
	s_delay_alu instid0(VALU_DEP_2) | instskip(SKIP_1) | instid1(VALU_DEP_1)
	v_cmp_lt_u64_e32 vcc_lo, 0xffffff, v[4:5]
	v_add_nc_u32_e32 v0, 15, v7
	v_cndmask_b32_e32 v6, v9, v0, vcc_lo
	v_cndmask_b32_e64 v0, 0, 1, vcc_lo
	s_delay_alu instid0(VALU_DEP_1)
	v_lshrrev_b64 v[0:1], v0, v[4:5]
; %bb.8293:                             ;   in Loop: Header=BB6_8046 Depth=2
	s_and_not1_saveexec_b32 s7, s7
; %bb.8294:                             ;   in Loop: Header=BB6_8046 Depth=2
	v_mov_b64_e32 v[0:1], v[4:5]
	v_bfe_u32 v6, v4, 23, 1
; %bb.8295:                             ;   in Loop: Header=BB6_8046 Depth=2
	s_or_b32 exec_lo, exec_lo, s7
	s_delay_alu instid0(VALU_DEP_2) | instskip(NEXT) | instid1(VALU_DEP_2)
	v_lshrrev_b64 v[0:1], 21, v[0:1]
	v_cmp_gt_i32_e32 vcc_lo, 32, v6
	v_cmp_ne_u32_e64 s7, 0, v6
                                        ; implicit-def: $vgpr9
	s_delay_alu instid0(VALU_DEP_3) | instskip(NEXT) | instid1(VALU_DEP_1)
	v_dual_cndmask_b32 v1, 0, v1 :: v_dual_cndmask_b32 v0, 3, v0
	v_cmp_ne_u64_e32 vcc_lo, 0, v[0:1]
	s_or_b32 s7, s7, vcc_lo
	s_delay_alu instid0(SALU_CYCLE_1) | instskip(NEXT) | instid1(SALU_CYCLE_1)
	s_and_saveexec_b32 s28, s7
	s_xor_b32 s7, exec_lo, s28
; %bb.8296:                             ;   in Loop: Header=BB6_8046 Depth=2
	v_min_i32_e32 v1, 31, v6
	s_delay_alu instid0(VALU_DEP_1) | instskip(NEXT) | instid1(VALU_DEP_1)
	v_lshl_or_b32 v1, v1, 2, v3
                                        ; implicit-def: $vgpr3
	v_and_or_b32 v9, v0, 3, v1
; %bb.8297:                             ;   in Loop: Header=BB6_8046 Depth=2
	s_and_not1_saveexec_b32 s7, s7
; %bb.8298:                             ;   in Loop: Header=BB6_8046 Depth=2
	v_mov_b32_e32 v9, v3
; %bb.8299:                             ;   in Loop: Header=BB6_8046 Depth=2
	s_or_b32 exec_lo, exec_lo, s7
.LBB6_8300:                             ;   in Loop: Header=BB6_8046 Depth=2
	s_delay_alu instid0(SALU_CYCLE_1)
	s_or_b32 exec_lo, exec_lo, s27
                                        ; implicit-def: $vgpr3
.LBB6_8301:                             ;   in Loop: Header=BB6_8046 Depth=2
	s_and_not1_saveexec_b32 s7, s26
; %bb.8302:                             ;   in Loop: Header=BB6_8046 Depth=2
	v_or_b32_e32 v9, 0x7b, v3
; %bb.8303:                             ;   in Loop: Header=BB6_8046 Depth=2
	s_or_b32 exec_lo, exec_lo, s7
                                        ; implicit-def: $vgpr0
.LBB6_8304:                             ;   in Loop: Header=BB6_8046 Depth=2
	s_and_not1_saveexec_b32 s7, s25
	s_cbranch_execz .LBB6_8310
; %bb.8305:                             ;   in Loop: Header=BB6_8046 Depth=2
	s_mov_b32 s25, exec_lo
                                        ; implicit-def: $vgpr9
	v_cmpx_ne_u64_e32 0, v[4:5]
	s_xor_b32 s25, exec_lo, s25
; %bb.8306:                             ;   in Loop: Header=BB6_8046 Depth=2
	v_lshrrev_b32_e32 v0, 24, v0
	s_delay_alu instid0(VALU_DEP_1)
	v_or_b32_e32 v9, 0x7f, v0
                                        ; implicit-def: $vgpr0
; %bb.8307:                             ;   in Loop: Header=BB6_8046 Depth=2
	s_and_not1_saveexec_b32 s25, s25
; %bb.8308:                             ;   in Loop: Header=BB6_8046 Depth=2
	v_cmp_lt_i32_e32 vcc_lo, -1, v0
	v_cndmask_b32_e64 v9, -4, 0x7c, vcc_lo
; %bb.8309:                             ;   in Loop: Header=BB6_8046 Depth=2
	s_or_b32 exec_lo, exec_lo, s25
.LBB6_8310:                             ;   in Loop: Header=BB6_8046 Depth=2
	s_delay_alu instid0(SALU_CYCLE_1)
	s_or_b32 exec_lo, exec_lo, s7
	v_dual_mov_b32 v0, 0 :: v_dual_mov_b32 v1, 0
	s_mov_b32 s7, exec_lo
	v_cmpx_ne_u16_e32 0, v82
	s_cbranch_execz .LBB6_8320
; %bb.8311:                             ;   in Loop: Header=BB6_8046 Depth=2
	v_bfrev_b32_e32 v1, 1
	s_mov_b32 s25, exec_lo
	v_cmpx_ne_u16_e32 0xff80, v82
	s_cbranch_execz .LBB6_8319
; %bb.8312:                             ;   in Loop: Header=BB6_8046 Depth=2
	v_and_b32_e32 v1, 0x7c, v82
	v_and_b32_e32 v3, 3, v82
	s_delay_alu instid0(VALU_DEP_2) | instskip(SKIP_1) | instid1(SALU_CYCLE_1)
	v_cmp_ne_u32_e32 vcc_lo, 0x7c, v1
                                        ; implicit-def: $vgpr1
	s_and_saveexec_b32 s26, vcc_lo
	s_xor_b32 s26, exec_lo, s26
	s_cbranch_execz .LBB6_8316
; %bb.8313:                             ;   in Loop: Header=BB6_8046 Depth=2
	v_and_b32_e32 v1, 0xff, v82
	s_mov_b32 s27, exec_lo
	s_delay_alu instid0(VALU_DEP_1) | instskip(NEXT) | instid1(VALU_DEP_1)
	v_bfe_u32 v1, v1, 2, 5
	v_cmpx_eq_u32_e32 0, v1
	s_cbranch_execz .LBB6_8315
; %bb.8314:                             ;   in Loop: Header=BB6_8046 Depth=2
	v_clz_i32_u32_e32 v1, v3
	s_delay_alu instid0(VALU_DEP_1) | instskip(SKIP_1) | instid1(VALU_DEP_2)
	v_min_u32_e32 v1, 32, v1
	v_mov_b32_e32 v83, v5
	v_subrev_nc_u32_e32 v3, 29, v1
	v_sub_nc_u32_e32 v1, 30, v1
	s_delay_alu instid0(VALU_DEP_2) | instskip(NEXT) | instid1(VALU_DEP_1)
	v_lshlrev_b64_e32 v[6:7], v3, v[82:83]
	v_and_b32_e32 v3, 3, v6
.LBB6_8315:                             ;   in Loop: Header=BB6_8046 Depth=2
	s_or_b32 exec_lo, exec_lo, s27
	v_bfe_i32 v4, v82, 0, 16
                                        ; implicit-def: $vgpr82
	s_delay_alu instid0(VALU_DEP_1) | instskip(NEXT) | instid1(VALU_DEP_1)
	v_and_b32_e32 v4, 0x80000000, v4
	v_lshl_add_u32 v1, v1, 23, v4
	s_delay_alu instid0(VALU_DEP_1) | instskip(NEXT) | instid1(VALU_DEP_1)
	v_lshl_or_b32 v1, v3, 21, v1
                                        ; implicit-def: $vgpr3
	v_add_nc_u32_e32 v1, 0x38000000, v1
.LBB6_8316:                             ;   in Loop: Header=BB6_8046 Depth=2
	s_and_not1_saveexec_b32 s26, s26
; %bb.8317:                             ;   in Loop: Header=BB6_8046 Depth=2
	v_cmp_lt_i16_e32 vcc_lo, -1, v82
	v_cndmask_b32_e32 v1, 0xff800000, v105, vcc_lo
	v_cmp_eq_u32_e32 vcc_lo, 0, v3
	s_delay_alu instid0(VALU_DEP_2)
	v_cndmask_b32_e32 v1, 0x7f800001, v1, vcc_lo
; %bb.8318:                             ;   in Loop: Header=BB6_8046 Depth=2
	s_or_b32 exec_lo, exec_lo, s26
.LBB6_8319:                             ;   in Loop: Header=BB6_8046 Depth=2
	s_delay_alu instid0(SALU_CYCLE_1)
	s_or_b32 exec_lo, exec_lo, s25
.LBB6_8320:                             ;   in Loop: Header=BB6_8046 Depth=2
	s_delay_alu instid0(SALU_CYCLE_1) | instskip(NEXT) | instid1(SALU_CYCLE_1)
	s_or_b32 exec_lo, exec_lo, s7
	s_mov_b32 s7, exec_lo
	v_cmpx_ne_u16_e32 0, v24
	s_cbranch_execz .LBB6_8330
; %bb.8321:                             ;   in Loop: Header=BB6_8046 Depth=2
	v_bfrev_b32_e32 v0, 1
	s_mov_b32 s25, exec_lo
	v_cmpx_ne_u16_e32 0xff80, v24
	s_cbranch_execz .LBB6_8329
; %bb.8322:                             ;   in Loop: Header=BB6_8046 Depth=2
	v_and_b32_e32 v0, 0x7c, v24
	v_and_b32_e32 v3, 3, v24
	s_delay_alu instid0(VALU_DEP_2) | instskip(SKIP_1) | instid1(SALU_CYCLE_1)
	v_cmp_ne_u32_e32 vcc_lo, 0x7c, v0
                                        ; implicit-def: $vgpr0
	s_and_saveexec_b32 s26, vcc_lo
	s_xor_b32 s26, exec_lo, s26
	s_cbranch_execz .LBB6_8326
; %bb.8323:                             ;   in Loop: Header=BB6_8046 Depth=2
	v_and_b32_e32 v0, 0xff, v24
	s_mov_b32 s27, exec_lo
	s_delay_alu instid0(VALU_DEP_1) | instskip(NEXT) | instid1(VALU_DEP_1)
	v_bfe_u32 v0, v0, 2, 5
	v_cmpx_eq_u32_e32 0, v0
	s_cbranch_execz .LBB6_8325
; %bb.8324:                             ;   in Loop: Header=BB6_8046 Depth=2
	v_clz_i32_u32_e32 v0, v3
	s_delay_alu instid0(VALU_DEP_1) | instskip(SKIP_1) | instid1(VALU_DEP_2)
	v_min_u32_e32 v0, 32, v0
	v_mov_b32_e32 v25, v5
	v_subrev_nc_u32_e32 v3, 29, v0
	v_sub_nc_u32_e32 v0, 30, v0
	s_delay_alu instid0(VALU_DEP_2) | instskip(NEXT) | instid1(VALU_DEP_1)
	v_lshlrev_b64_e32 v[6:7], v3, v[24:25]
	v_and_b32_e32 v3, 3, v6
.LBB6_8325:                             ;   in Loop: Header=BB6_8046 Depth=2
	s_or_b32 exec_lo, exec_lo, s27
	v_bfe_i32 v4, v24, 0, 16
                                        ; implicit-def: $vgpr24
	s_delay_alu instid0(VALU_DEP_1) | instskip(NEXT) | instid1(VALU_DEP_1)
	v_and_b32_e32 v4, 0x80000000, v4
	v_lshl_add_u32 v0, v0, 23, v4
	s_delay_alu instid0(VALU_DEP_1) | instskip(NEXT) | instid1(VALU_DEP_1)
	v_lshl_or_b32 v0, v3, 21, v0
                                        ; implicit-def: $vgpr3
	v_add_nc_u32_e32 v0, 0x38000000, v0
.LBB6_8326:                             ;   in Loop: Header=BB6_8046 Depth=2
	s_and_not1_saveexec_b32 s26, s26
; %bb.8327:                             ;   in Loop: Header=BB6_8046 Depth=2
	v_cmp_lt_i16_e32 vcc_lo, -1, v24
	v_cndmask_b32_e32 v0, 0xff800000, v105, vcc_lo
	v_cmp_eq_u32_e32 vcc_lo, 0, v3
	s_delay_alu instid0(VALU_DEP_2)
	v_cndmask_b32_e32 v0, 0x7f800001, v0, vcc_lo
; %bb.8328:                             ;   in Loop: Header=BB6_8046 Depth=2
	s_or_b32 exec_lo, exec_lo, s26
.LBB6_8329:                             ;   in Loop: Header=BB6_8046 Depth=2
	s_delay_alu instid0(SALU_CYCLE_1)
	s_or_b32 exec_lo, exec_lo, s25
.LBB6_8330:                             ;   in Loop: Header=BB6_8046 Depth=2
	s_delay_alu instid0(SALU_CYCLE_1) | instskip(NEXT) | instid1(VALU_DEP_1)
	s_or_b32 exec_lo, exec_lo, s7
	v_mul_f32_e32 v0, v1, v0
	v_mov_b32_e32 v7, v5
                                        ; implicit-def: $vgpr17
	s_mov_b32 s7, exec_lo
	s_delay_alu instid0(VALU_DEP_2) | instskip(SKIP_1) | instid1(VALU_DEP_2)
	v_and_b32_e32 v6, 0x7f800000, v0
	v_and_b32_e32 v4, 0x7fffff, v0
	v_cmpx_ne_u64_e32 0x7f800000, v[6:7]
	s_xor_b32 s25, exec_lo, s7
	s_cbranch_execz .LBB6_8348
; %bb.8331:                             ;   in Loop: Header=BB6_8046 Depth=2
	v_dual_mov_b32 v7, v5 :: v_dual_lshrrev_b32 v1, 24, v0
	v_and_b32_e32 v6, 0x7fffffff, v0
                                        ; implicit-def: $vgpr17
	s_mov_b32 s7, exec_lo
	s_delay_alu instid0(VALU_DEP_2) | instskip(NEXT) | instid1(VALU_DEP_2)
	v_and_b32_e32 v3, 0x80, v1
	v_cmpx_gt_u64_e32 0x47600001, v[6:7]
	s_xor_b32 s26, exec_lo, s7
	s_cbranch_execz .LBB6_8345
; %bb.8332:                             ;   in Loop: Header=BB6_8046 Depth=2
	v_mov_b32_e32 v17, 0
	s_mov_b32 s27, exec_lo
	v_cmpx_ne_u32_e32 0, v0
	s_cbranch_execz .LBB6_8344
; %bb.8333:                             ;   in Loop: Header=BB6_8046 Depth=2
	v_bfe_u32 v17, v0, 23, 8
	v_or_b32_e32 v1, 0x800000, v4
	s_delay_alu instid0(VALU_DEP_2) | instskip(SKIP_2) | instid1(VALU_DEP_2)
	v_cmp_gt_u32_e64 s7, 0x72, v17
	v_sub_nc_u32_e32 v0, 0x71, v17
	v_cmp_eq_u32_e32 vcc_lo, 0, v17
	v_cndmask_b32_e64 v0, 0, v0, s7
	s_delay_alu instid0(VALU_DEP_1) | instskip(SKIP_1) | instid1(VALU_DEP_2)
	v_cndmask_b32_e64 v20, v0, 0x70, vcc_lo
	v_cndmask_b32_e32 v0, v1, v4, vcc_lo
	v_dual_mov_b32 v1, v5 :: v_dual_add_nc_u32 v4, 21, v20
	s_delay_alu instid0(VALU_DEP_1) | instskip(SKIP_1) | instid1(VALU_DEP_1)
	v_lshlrev_b64_e64 v[6:7], v4, -1
	v_add_nc_u32_e32 v4, 20, v20
	v_lshlrev_b64_e64 v[24:25], v4, 1
	s_delay_alu instid0(VALU_DEP_3) | instskip(SKIP_2) | instid1(VALU_DEP_1)
	v_bfi_b32 v6, v6, 0, v0
	v_lshrrev_b64 v[0:1], v20, v[0:1]
	v_bfi_b32 v7, v7, 0, 0
	v_cmp_eq_u64_e64 s7, v[6:7], v[24:25]
	s_delay_alu instid0(VALU_DEP_3)
	v_mov_b64_e32 v[6:7], v[0:1]
	s_and_saveexec_b32 s28, s7
; %bb.8334:                             ;   in Loop: Header=BB6_8046 Depth=2
	v_bfe_u32 v6, v0, 21, 1
	v_mov_b32_e32 v7, v5
	s_delay_alu instid0(VALU_DEP_1) | instskip(NEXT) | instid1(VALU_DEP_1)
	v_add_nc_u64_e32 v[6:7], v[0:1], v[6:7]
	v_add_nc_u64_e32 v[6:7], -1, v[6:7]
; %bb.8335:                             ;   in Loop: Header=BB6_8046 Depth=2
	s_or_b32 exec_lo, exec_lo, s28
	v_add_nc_u32_e32 v1, 0xffffff81, v17
	v_lshrrev_b32_e32 v4, 23, v0
	s_mov_b32 s7, exec_lo
	s_delay_alu instid0(VALU_DEP_2) | instskip(NEXT) | instid1(VALU_DEP_1)
	v_cndmask_b32_e64 v1, v1, 0xffffff82, vcc_lo
	v_add3_u32 v7, v20, v1, v4
	v_and_b32_e32 v1, 0x1fffff, v6
                                        ; implicit-def: $vgpr6
	s_delay_alu instid0(VALU_DEP_1) | instskip(NEXT) | instid1(VALU_DEP_1)
	v_dual_add_nc_u32 v17, 14, v7 :: v_dual_add_nc_u32 v4, v1, v0
                                        ; implicit-def: $vgpr0_vgpr1
	v_cmpx_ne_u32_e32 0, v17
	s_xor_b32 s7, exec_lo, s7
; %bb.8336:                             ;   in Loop: Header=BB6_8046 Depth=2
	s_delay_alu instid0(VALU_DEP_2) | instskip(SKIP_1) | instid1(VALU_DEP_1)
	v_cmp_lt_u64_e32 vcc_lo, 0xffffff, v[4:5]
	v_add_nc_u32_e32 v0, 15, v7
	v_cndmask_b32_e32 v6, v17, v0, vcc_lo
	v_cndmask_b32_e64 v0, 0, 1, vcc_lo
	s_delay_alu instid0(VALU_DEP_1)
	v_lshrrev_b64 v[0:1], v0, v[4:5]
; %bb.8337:                             ;   in Loop: Header=BB6_8046 Depth=2
	s_and_not1_saveexec_b32 s7, s7
; %bb.8338:                             ;   in Loop: Header=BB6_8046 Depth=2
	v_mov_b64_e32 v[0:1], v[4:5]
	v_bfe_u32 v6, v4, 23, 1
; %bb.8339:                             ;   in Loop: Header=BB6_8046 Depth=2
	s_or_b32 exec_lo, exec_lo, s7
	s_delay_alu instid0(VALU_DEP_2) | instskip(NEXT) | instid1(VALU_DEP_2)
	v_lshrrev_b64 v[0:1], 21, v[0:1]
	v_cmp_gt_i32_e32 vcc_lo, 32, v6
	v_cmp_ne_u32_e64 s7, 0, v6
                                        ; implicit-def: $vgpr17
	s_delay_alu instid0(VALU_DEP_3) | instskip(NEXT) | instid1(VALU_DEP_1)
	v_dual_cndmask_b32 v1, 0, v1 :: v_dual_cndmask_b32 v0, 3, v0
	v_cmp_ne_u64_e32 vcc_lo, 0, v[0:1]
	s_or_b32 s7, s7, vcc_lo
	s_delay_alu instid0(SALU_CYCLE_1) | instskip(NEXT) | instid1(SALU_CYCLE_1)
	s_and_saveexec_b32 s28, s7
	s_xor_b32 s7, exec_lo, s28
; %bb.8340:                             ;   in Loop: Header=BB6_8046 Depth=2
	v_min_i32_e32 v1, 31, v6
	s_delay_alu instid0(VALU_DEP_1) | instskip(NEXT) | instid1(VALU_DEP_1)
	v_lshl_or_b32 v1, v1, 2, v3
                                        ; implicit-def: $vgpr3
	v_and_or_b32 v17, v0, 3, v1
; %bb.8341:                             ;   in Loop: Header=BB6_8046 Depth=2
	s_and_not1_saveexec_b32 s7, s7
; %bb.8342:                             ;   in Loop: Header=BB6_8046 Depth=2
	v_mov_b32_e32 v17, v3
; %bb.8343:                             ;   in Loop: Header=BB6_8046 Depth=2
	s_or_b32 exec_lo, exec_lo, s7
.LBB6_8344:                             ;   in Loop: Header=BB6_8046 Depth=2
	s_delay_alu instid0(SALU_CYCLE_1)
	s_or_b32 exec_lo, exec_lo, s27
                                        ; implicit-def: $vgpr3
.LBB6_8345:                             ;   in Loop: Header=BB6_8046 Depth=2
	s_and_not1_saveexec_b32 s7, s26
; %bb.8346:                             ;   in Loop: Header=BB6_8046 Depth=2
	v_or_b32_e32 v17, 0x7b, v3
; %bb.8347:                             ;   in Loop: Header=BB6_8046 Depth=2
	s_or_b32 exec_lo, exec_lo, s7
                                        ; implicit-def: $vgpr0
.LBB6_8348:                             ;   in Loop: Header=BB6_8046 Depth=2
	s_and_not1_saveexec_b32 s7, s25
	s_cbranch_execz .LBB6_8354
; %bb.8349:                             ;   in Loop: Header=BB6_8046 Depth=2
	s_mov_b32 s25, exec_lo
                                        ; implicit-def: $vgpr17
	v_cmpx_ne_u64_e32 0, v[4:5]
	s_xor_b32 s25, exec_lo, s25
; %bb.8350:                             ;   in Loop: Header=BB6_8046 Depth=2
	v_lshrrev_b32_e32 v0, 24, v0
	s_delay_alu instid0(VALU_DEP_1)
	v_or_b32_e32 v17, 0x7f, v0
                                        ; implicit-def: $vgpr0
; %bb.8351:                             ;   in Loop: Header=BB6_8046 Depth=2
	s_and_not1_saveexec_b32 s25, s25
; %bb.8352:                             ;   in Loop: Header=BB6_8046 Depth=2
	v_cmp_lt_i32_e32 vcc_lo, -1, v0
	v_cndmask_b32_e64 v17, -4, 0x7c, vcc_lo
; %bb.8353:                             ;   in Loop: Header=BB6_8046 Depth=2
	s_or_b32 exec_lo, exec_lo, s25
.LBB6_8354:                             ;   in Loop: Header=BB6_8046 Depth=2
	s_delay_alu instid0(SALU_CYCLE_1)
	s_or_b32 exec_lo, exec_lo, s7
	v_dual_mov_b32 v0, 0 :: v_dual_mov_b32 v1, 0
	s_mov_b32 s7, exec_lo
	v_cmpx_ne_u16_e32 0, v116
	s_cbranch_execz .LBB6_8364
; %bb.8355:                             ;   in Loop: Header=BB6_8046 Depth=2
	v_bfrev_b32_e32 v1, 1
	s_mov_b32 s25, exec_lo
	v_cmpx_ne_u16_e32 0xff80, v116
	s_cbranch_execz .LBB6_8363
; %bb.8356:                             ;   in Loop: Header=BB6_8046 Depth=2
	v_and_b32_e32 v1, 0x7c, v116
	v_and_b32_e32 v3, 3, v116
	s_delay_alu instid0(VALU_DEP_2) | instskip(SKIP_1) | instid1(SALU_CYCLE_1)
	v_cmp_ne_u32_e32 vcc_lo, 0x7c, v1
                                        ; implicit-def: $vgpr1
	s_and_saveexec_b32 s26, vcc_lo
	s_xor_b32 s26, exec_lo, s26
	s_cbranch_execz .LBB6_8360
; %bb.8357:                             ;   in Loop: Header=BB6_8046 Depth=2
	v_and_b32_e32 v1, 0xff, v116
	s_mov_b32 s27, exec_lo
	s_delay_alu instid0(VALU_DEP_1) | instskip(NEXT) | instid1(VALU_DEP_1)
	v_bfe_u32 v1, v1, 2, 5
	v_cmpx_eq_u32_e32 0, v1
	s_cbranch_execz .LBB6_8359
; %bb.8358:                             ;   in Loop: Header=BB6_8046 Depth=2
	v_clz_i32_u32_e32 v1, v3
	s_delay_alu instid0(VALU_DEP_1) | instskip(SKIP_1) | instid1(VALU_DEP_2)
	v_min_u32_e32 v1, 32, v1
	v_mov_b32_e32 v117, v5
	v_subrev_nc_u32_e32 v3, 29, v1
	v_sub_nc_u32_e32 v1, 30, v1
	s_delay_alu instid0(VALU_DEP_2) | instskip(NEXT) | instid1(VALU_DEP_1)
	v_lshlrev_b64_e32 v[6:7], v3, v[116:117]
	v_and_b32_e32 v3, 3, v6
.LBB6_8359:                             ;   in Loop: Header=BB6_8046 Depth=2
	s_or_b32 exec_lo, exec_lo, s27
	v_bfe_i32 v4, v116, 0, 16
                                        ; implicit-def: $vgpr116
	s_delay_alu instid0(VALU_DEP_1) | instskip(NEXT) | instid1(VALU_DEP_1)
	v_and_b32_e32 v4, 0x80000000, v4
	v_lshl_add_u32 v1, v1, 23, v4
	s_delay_alu instid0(VALU_DEP_1) | instskip(NEXT) | instid1(VALU_DEP_1)
	v_lshl_or_b32 v1, v3, 21, v1
                                        ; implicit-def: $vgpr3
	v_add_nc_u32_e32 v1, 0x38000000, v1
.LBB6_8360:                             ;   in Loop: Header=BB6_8046 Depth=2
	s_and_not1_saveexec_b32 s26, s26
; %bb.8361:                             ;   in Loop: Header=BB6_8046 Depth=2
	v_cmp_lt_i16_e32 vcc_lo, -1, v116
	v_cndmask_b32_e32 v1, 0xff800000, v105, vcc_lo
	v_cmp_eq_u32_e32 vcc_lo, 0, v3
	s_delay_alu instid0(VALU_DEP_2)
	v_cndmask_b32_e32 v1, 0x7f800001, v1, vcc_lo
; %bb.8362:                             ;   in Loop: Header=BB6_8046 Depth=2
	s_or_b32 exec_lo, exec_lo, s26
.LBB6_8363:                             ;   in Loop: Header=BB6_8046 Depth=2
	s_delay_alu instid0(SALU_CYCLE_1)
	s_or_b32 exec_lo, exec_lo, s25
.LBB6_8364:                             ;   in Loop: Header=BB6_8046 Depth=2
	s_delay_alu instid0(SALU_CYCLE_1) | instskip(NEXT) | instid1(SALU_CYCLE_1)
	s_or_b32 exec_lo, exec_lo, s7
	s_mov_b32 s7, exec_lo
	v_cmpx_ne_u16_e32 0, v84
	s_cbranch_execz .LBB6_8374
; %bb.8365:                             ;   in Loop: Header=BB6_8046 Depth=2
	v_bfrev_b32_e32 v0, 1
	s_mov_b32 s25, exec_lo
	v_cmpx_ne_u16_e32 0xff80, v84
	s_cbranch_execz .LBB6_8373
; %bb.8366:                             ;   in Loop: Header=BB6_8046 Depth=2
	v_and_b32_e32 v0, 0x7c, v84
	v_and_b32_e32 v3, 3, v84
	s_delay_alu instid0(VALU_DEP_2) | instskip(SKIP_1) | instid1(SALU_CYCLE_1)
	v_cmp_ne_u32_e32 vcc_lo, 0x7c, v0
                                        ; implicit-def: $vgpr0
	s_and_saveexec_b32 s26, vcc_lo
	s_xor_b32 s26, exec_lo, s26
	s_cbranch_execz .LBB6_8370
; %bb.8367:                             ;   in Loop: Header=BB6_8046 Depth=2
	v_and_b32_e32 v0, 0xff, v84
	s_mov_b32 s27, exec_lo
	s_delay_alu instid0(VALU_DEP_1) | instskip(NEXT) | instid1(VALU_DEP_1)
	v_bfe_u32 v0, v0, 2, 5
	v_cmpx_eq_u32_e32 0, v0
	s_cbranch_execz .LBB6_8369
; %bb.8368:                             ;   in Loop: Header=BB6_8046 Depth=2
	v_clz_i32_u32_e32 v0, v3
	s_delay_alu instid0(VALU_DEP_1) | instskip(SKIP_1) | instid1(VALU_DEP_2)
	v_min_u32_e32 v0, 32, v0
	v_mov_b32_e32 v85, v5
	v_subrev_nc_u32_e32 v3, 29, v0
	v_sub_nc_u32_e32 v0, 30, v0
	s_delay_alu instid0(VALU_DEP_2) | instskip(NEXT) | instid1(VALU_DEP_1)
	v_lshlrev_b64_e32 v[6:7], v3, v[84:85]
	v_and_b32_e32 v3, 3, v6
.LBB6_8369:                             ;   in Loop: Header=BB6_8046 Depth=2
	s_or_b32 exec_lo, exec_lo, s27
	v_bfe_i32 v4, v84, 0, 16
                                        ; implicit-def: $vgpr84
	s_delay_alu instid0(VALU_DEP_1) | instskip(NEXT) | instid1(VALU_DEP_1)
	v_and_b32_e32 v4, 0x80000000, v4
	v_lshl_add_u32 v0, v0, 23, v4
	s_delay_alu instid0(VALU_DEP_1) | instskip(NEXT) | instid1(VALU_DEP_1)
	v_lshl_or_b32 v0, v3, 21, v0
                                        ; implicit-def: $vgpr3
	v_add_nc_u32_e32 v0, 0x38000000, v0
.LBB6_8370:                             ;   in Loop: Header=BB6_8046 Depth=2
	s_and_not1_saveexec_b32 s26, s26
; %bb.8371:                             ;   in Loop: Header=BB6_8046 Depth=2
	v_cmp_lt_i16_e32 vcc_lo, -1, v84
	v_cndmask_b32_e32 v0, 0xff800000, v105, vcc_lo
	v_cmp_eq_u32_e32 vcc_lo, 0, v3
	s_delay_alu instid0(VALU_DEP_2)
	v_cndmask_b32_e32 v0, 0x7f800001, v0, vcc_lo
; %bb.8372:                             ;   in Loop: Header=BB6_8046 Depth=2
	s_or_b32 exec_lo, exec_lo, s26
.LBB6_8373:                             ;   in Loop: Header=BB6_8046 Depth=2
	s_delay_alu instid0(SALU_CYCLE_1)
	s_or_b32 exec_lo, exec_lo, s25
.LBB6_8374:                             ;   in Loop: Header=BB6_8046 Depth=2
	s_delay_alu instid0(SALU_CYCLE_1) | instskip(NEXT) | instid1(VALU_DEP_1)
	s_or_b32 exec_lo, exec_lo, s7
	v_mul_f32_e32 v0, v1, v0
	v_mov_b32_e32 v7, v5
                                        ; implicit-def: $vgpr20
	s_mov_b32 s7, exec_lo
	s_delay_alu instid0(VALU_DEP_2) | instskip(SKIP_1) | instid1(VALU_DEP_2)
	v_and_b32_e32 v6, 0x7f800000, v0
	v_and_b32_e32 v4, 0x7fffff, v0
	v_cmpx_ne_u64_e32 0x7f800000, v[6:7]
	s_xor_b32 s25, exec_lo, s7
	s_cbranch_execz .LBB6_8392
; %bb.8375:                             ;   in Loop: Header=BB6_8046 Depth=2
	v_dual_mov_b32 v7, v5 :: v_dual_lshrrev_b32 v1, 24, v0
	v_and_b32_e32 v6, 0x7fffffff, v0
                                        ; implicit-def: $vgpr20
	s_mov_b32 s7, exec_lo
	s_delay_alu instid0(VALU_DEP_2) | instskip(NEXT) | instid1(VALU_DEP_2)
	v_and_b32_e32 v3, 0x80, v1
	v_cmpx_gt_u64_e32 0x47600001, v[6:7]
	s_xor_b32 s26, exec_lo, s7
	s_cbranch_execz .LBB6_8389
; %bb.8376:                             ;   in Loop: Header=BB6_8046 Depth=2
	v_mov_b32_e32 v20, 0
	s_mov_b32 s27, exec_lo
	v_cmpx_ne_u32_e32 0, v0
	s_cbranch_execz .LBB6_8388
; %bb.8377:                             ;   in Loop: Header=BB6_8046 Depth=2
	v_bfe_u32 v20, v0, 23, 8
	v_or_b32_e32 v1, 0x800000, v4
	s_delay_alu instid0(VALU_DEP_2) | instskip(SKIP_2) | instid1(VALU_DEP_2)
	v_cmp_gt_u32_e64 s7, 0x72, v20
	v_sub_nc_u32_e32 v0, 0x71, v20
	v_cmp_eq_u32_e32 vcc_lo, 0, v20
	v_cndmask_b32_e64 v0, 0, v0, s7
	s_delay_alu instid0(VALU_DEP_1) | instskip(SKIP_1) | instid1(VALU_DEP_2)
	v_cndmask_b32_e64 v21, v0, 0x70, vcc_lo
	v_cndmask_b32_e32 v0, v1, v4, vcc_lo
	v_dual_mov_b32 v1, v5 :: v_dual_add_nc_u32 v4, 21, v21
	s_delay_alu instid0(VALU_DEP_1) | instskip(SKIP_1) | instid1(VALU_DEP_1)
	v_lshlrev_b64_e64 v[6:7], v4, -1
	v_add_nc_u32_e32 v4, 20, v21
	v_lshlrev_b64_e64 v[24:25], v4, 1
	s_delay_alu instid0(VALU_DEP_3) | instskip(SKIP_2) | instid1(VALU_DEP_1)
	v_bfi_b32 v6, v6, 0, v0
	v_lshrrev_b64 v[0:1], v21, v[0:1]
	v_bfi_b32 v7, v7, 0, 0
	v_cmp_eq_u64_e64 s7, v[6:7], v[24:25]
	s_delay_alu instid0(VALU_DEP_3)
	v_mov_b64_e32 v[6:7], v[0:1]
	s_and_saveexec_b32 s28, s7
; %bb.8378:                             ;   in Loop: Header=BB6_8046 Depth=2
	v_bfe_u32 v6, v0, 21, 1
	v_mov_b32_e32 v7, v5
	s_delay_alu instid0(VALU_DEP_1) | instskip(NEXT) | instid1(VALU_DEP_1)
	v_add_nc_u64_e32 v[6:7], v[0:1], v[6:7]
	v_add_nc_u64_e32 v[6:7], -1, v[6:7]
; %bb.8379:                             ;   in Loop: Header=BB6_8046 Depth=2
	s_or_b32 exec_lo, exec_lo, s28
	v_add_nc_u32_e32 v1, 0xffffff81, v20
	v_lshrrev_b32_e32 v4, 23, v0
	s_mov_b32 s7, exec_lo
	s_delay_alu instid0(VALU_DEP_2) | instskip(NEXT) | instid1(VALU_DEP_1)
	v_cndmask_b32_e64 v1, v1, 0xffffff82, vcc_lo
	v_add3_u32 v7, v21, v1, v4
	v_and_b32_e32 v1, 0x1fffff, v6
                                        ; implicit-def: $vgpr6
	s_delay_alu instid0(VALU_DEP_1) | instskip(NEXT) | instid1(VALU_DEP_1)
	v_dual_add_nc_u32 v20, 14, v7 :: v_dual_add_nc_u32 v4, v1, v0
                                        ; implicit-def: $vgpr0_vgpr1
	v_cmpx_ne_u32_e32 0, v20
	s_xor_b32 s7, exec_lo, s7
; %bb.8380:                             ;   in Loop: Header=BB6_8046 Depth=2
	s_delay_alu instid0(VALU_DEP_2) | instskip(SKIP_1) | instid1(VALU_DEP_1)
	v_cmp_lt_u64_e32 vcc_lo, 0xffffff, v[4:5]
	v_add_nc_u32_e32 v0, 15, v7
	v_cndmask_b32_e32 v6, v20, v0, vcc_lo
	v_cndmask_b32_e64 v0, 0, 1, vcc_lo
	s_delay_alu instid0(VALU_DEP_1)
	v_lshrrev_b64 v[0:1], v0, v[4:5]
; %bb.8381:                             ;   in Loop: Header=BB6_8046 Depth=2
	s_and_not1_saveexec_b32 s7, s7
; %bb.8382:                             ;   in Loop: Header=BB6_8046 Depth=2
	v_mov_b64_e32 v[0:1], v[4:5]
	v_bfe_u32 v6, v4, 23, 1
; %bb.8383:                             ;   in Loop: Header=BB6_8046 Depth=2
	s_or_b32 exec_lo, exec_lo, s7
	s_delay_alu instid0(VALU_DEP_2) | instskip(NEXT) | instid1(VALU_DEP_2)
	v_lshrrev_b64 v[0:1], 21, v[0:1]
	v_cmp_gt_i32_e32 vcc_lo, 32, v6
	v_cmp_ne_u32_e64 s7, 0, v6
                                        ; implicit-def: $vgpr20
	s_delay_alu instid0(VALU_DEP_3) | instskip(NEXT) | instid1(VALU_DEP_1)
	v_dual_cndmask_b32 v1, 0, v1 :: v_dual_cndmask_b32 v0, 3, v0
	v_cmp_ne_u64_e32 vcc_lo, 0, v[0:1]
	s_or_b32 s7, s7, vcc_lo
	s_delay_alu instid0(SALU_CYCLE_1) | instskip(NEXT) | instid1(SALU_CYCLE_1)
	s_and_saveexec_b32 s28, s7
	s_xor_b32 s7, exec_lo, s28
; %bb.8384:                             ;   in Loop: Header=BB6_8046 Depth=2
	v_min_i32_e32 v1, 31, v6
	s_delay_alu instid0(VALU_DEP_1) | instskip(NEXT) | instid1(VALU_DEP_1)
	v_lshl_or_b32 v1, v1, 2, v3
                                        ; implicit-def: $vgpr3
	v_and_or_b32 v20, v0, 3, v1
; %bb.8385:                             ;   in Loop: Header=BB6_8046 Depth=2
	s_and_not1_saveexec_b32 s7, s7
; %bb.8386:                             ;   in Loop: Header=BB6_8046 Depth=2
	v_mov_b32_e32 v20, v3
; %bb.8387:                             ;   in Loop: Header=BB6_8046 Depth=2
	s_or_b32 exec_lo, exec_lo, s7
.LBB6_8388:                             ;   in Loop: Header=BB6_8046 Depth=2
	s_delay_alu instid0(SALU_CYCLE_1)
	s_or_b32 exec_lo, exec_lo, s27
                                        ; implicit-def: $vgpr3
.LBB6_8389:                             ;   in Loop: Header=BB6_8046 Depth=2
	s_and_not1_saveexec_b32 s7, s26
; %bb.8390:                             ;   in Loop: Header=BB6_8046 Depth=2
	v_or_b32_e32 v20, 0x7b, v3
; %bb.8391:                             ;   in Loop: Header=BB6_8046 Depth=2
	s_or_b32 exec_lo, exec_lo, s7
                                        ; implicit-def: $vgpr0
.LBB6_8392:                             ;   in Loop: Header=BB6_8046 Depth=2
	s_and_not1_saveexec_b32 s7, s25
	s_cbranch_execz .LBB6_8398
; %bb.8393:                             ;   in Loop: Header=BB6_8046 Depth=2
	s_mov_b32 s25, exec_lo
                                        ; implicit-def: $vgpr20
	v_cmpx_ne_u64_e32 0, v[4:5]
	s_xor_b32 s25, exec_lo, s25
; %bb.8394:                             ;   in Loop: Header=BB6_8046 Depth=2
	v_lshrrev_b32_e32 v0, 24, v0
	s_delay_alu instid0(VALU_DEP_1)
	v_or_b32_e32 v20, 0x7f, v0
                                        ; implicit-def: $vgpr0
; %bb.8395:                             ;   in Loop: Header=BB6_8046 Depth=2
	s_and_not1_saveexec_b32 s25, s25
; %bb.8396:                             ;   in Loop: Header=BB6_8046 Depth=2
	v_cmp_lt_i32_e32 vcc_lo, -1, v0
	v_cndmask_b32_e64 v20, -4, 0x7c, vcc_lo
; %bb.8397:                             ;   in Loop: Header=BB6_8046 Depth=2
	s_or_b32 exec_lo, exec_lo, s25
.LBB6_8398:                             ;   in Loop: Header=BB6_8046 Depth=2
	s_delay_alu instid0(SALU_CYCLE_1)
	s_or_b32 exec_lo, exec_lo, s7
	v_dual_mov_b32 v0, 0 :: v_dual_mov_b32 v1, 0
	s_mov_b32 s7, exec_lo
	v_cmpx_ne_u16_e32 0, v98
	s_cbranch_execz .LBB6_8408
; %bb.8399:                             ;   in Loop: Header=BB6_8046 Depth=2
	v_bfrev_b32_e32 v1, 1
	s_mov_b32 s25, exec_lo
	v_cmpx_ne_u16_e32 0xff80, v98
	s_cbranch_execz .LBB6_8407
; %bb.8400:                             ;   in Loop: Header=BB6_8046 Depth=2
	v_and_b32_e32 v1, 0x7c, v98
	v_and_b32_e32 v3, 3, v98
	s_delay_alu instid0(VALU_DEP_2) | instskip(SKIP_1) | instid1(SALU_CYCLE_1)
	v_cmp_ne_u32_e32 vcc_lo, 0x7c, v1
                                        ; implicit-def: $vgpr1
	s_and_saveexec_b32 s26, vcc_lo
	s_xor_b32 s26, exec_lo, s26
	s_cbranch_execz .LBB6_8404
; %bb.8401:                             ;   in Loop: Header=BB6_8046 Depth=2
	v_and_b32_e32 v1, 0xff, v98
	s_mov_b32 s27, exec_lo
	s_delay_alu instid0(VALU_DEP_1) | instskip(NEXT) | instid1(VALU_DEP_1)
	v_bfe_u32 v1, v1, 2, 5
	v_cmpx_eq_u32_e32 0, v1
	s_cbranch_execz .LBB6_8403
; %bb.8402:                             ;   in Loop: Header=BB6_8046 Depth=2
	v_clz_i32_u32_e32 v1, v3
	s_delay_alu instid0(VALU_DEP_1) | instskip(SKIP_1) | instid1(VALU_DEP_2)
	v_min_u32_e32 v1, 32, v1
	v_mov_b32_e32 v99, v5
	v_subrev_nc_u32_e32 v3, 29, v1
	v_sub_nc_u32_e32 v1, 30, v1
	s_delay_alu instid0(VALU_DEP_2) | instskip(NEXT) | instid1(VALU_DEP_1)
	v_lshlrev_b64_e32 v[6:7], v3, v[98:99]
	v_and_b32_e32 v3, 3, v6
.LBB6_8403:                             ;   in Loop: Header=BB6_8046 Depth=2
	s_or_b32 exec_lo, exec_lo, s27
	v_bfe_i32 v4, v98, 0, 16
                                        ; implicit-def: $vgpr98
	s_delay_alu instid0(VALU_DEP_1) | instskip(NEXT) | instid1(VALU_DEP_1)
	v_and_b32_e32 v4, 0x80000000, v4
	v_lshl_add_u32 v1, v1, 23, v4
	s_delay_alu instid0(VALU_DEP_1) | instskip(NEXT) | instid1(VALU_DEP_1)
	v_lshl_or_b32 v1, v3, 21, v1
                                        ; implicit-def: $vgpr3
	v_add_nc_u32_e32 v1, 0x38000000, v1
.LBB6_8404:                             ;   in Loop: Header=BB6_8046 Depth=2
	s_and_not1_saveexec_b32 s26, s26
; %bb.8405:                             ;   in Loop: Header=BB6_8046 Depth=2
	v_cmp_lt_i16_e32 vcc_lo, -1, v98
	v_cndmask_b32_e32 v1, 0xff800000, v105, vcc_lo
	v_cmp_eq_u32_e32 vcc_lo, 0, v3
	s_delay_alu instid0(VALU_DEP_2)
	v_cndmask_b32_e32 v1, 0x7f800001, v1, vcc_lo
; %bb.8406:                             ;   in Loop: Header=BB6_8046 Depth=2
	s_or_b32 exec_lo, exec_lo, s26
.LBB6_8407:                             ;   in Loop: Header=BB6_8046 Depth=2
	s_delay_alu instid0(SALU_CYCLE_1)
	s_or_b32 exec_lo, exec_lo, s25
.LBB6_8408:                             ;   in Loop: Header=BB6_8046 Depth=2
	s_delay_alu instid0(SALU_CYCLE_1) | instskip(NEXT) | instid1(SALU_CYCLE_1)
	s_or_b32 exec_lo, exec_lo, s7
	s_mov_b32 s7, exec_lo
	v_cmpx_ne_u16_e32 0, v96
	s_cbranch_execz .LBB6_8418
; %bb.8409:                             ;   in Loop: Header=BB6_8046 Depth=2
	v_bfrev_b32_e32 v0, 1
	s_mov_b32 s25, exec_lo
	v_cmpx_ne_u16_e32 0xff80, v96
	s_cbranch_execz .LBB6_8417
; %bb.8410:                             ;   in Loop: Header=BB6_8046 Depth=2
	v_and_b32_e32 v0, 0x7c, v96
	v_and_b32_e32 v3, 3, v96
	s_delay_alu instid0(VALU_DEP_2) | instskip(SKIP_1) | instid1(SALU_CYCLE_1)
	v_cmp_ne_u32_e32 vcc_lo, 0x7c, v0
                                        ; implicit-def: $vgpr0
	s_and_saveexec_b32 s26, vcc_lo
	s_xor_b32 s26, exec_lo, s26
	s_cbranch_execz .LBB6_8414
; %bb.8411:                             ;   in Loop: Header=BB6_8046 Depth=2
	v_and_b32_e32 v0, 0xff, v96
	s_mov_b32 s27, exec_lo
	s_delay_alu instid0(VALU_DEP_1) | instskip(NEXT) | instid1(VALU_DEP_1)
	v_bfe_u32 v0, v0, 2, 5
	v_cmpx_eq_u32_e32 0, v0
	s_cbranch_execz .LBB6_8413
; %bb.8412:                             ;   in Loop: Header=BB6_8046 Depth=2
	v_clz_i32_u32_e32 v0, v3
	s_delay_alu instid0(VALU_DEP_1) | instskip(SKIP_1) | instid1(VALU_DEP_2)
	v_min_u32_e32 v0, 32, v0
	v_mov_b32_e32 v97, v5
	v_subrev_nc_u32_e32 v3, 29, v0
	v_sub_nc_u32_e32 v0, 30, v0
	s_delay_alu instid0(VALU_DEP_2) | instskip(NEXT) | instid1(VALU_DEP_1)
	v_lshlrev_b64_e32 v[6:7], v3, v[96:97]
	v_and_b32_e32 v3, 3, v6
.LBB6_8413:                             ;   in Loop: Header=BB6_8046 Depth=2
	s_or_b32 exec_lo, exec_lo, s27
	v_bfe_i32 v4, v96, 0, 16
                                        ; implicit-def: $vgpr96
	s_delay_alu instid0(VALU_DEP_1) | instskip(NEXT) | instid1(VALU_DEP_1)
	v_and_b32_e32 v4, 0x80000000, v4
	v_lshl_add_u32 v0, v0, 23, v4
	s_delay_alu instid0(VALU_DEP_1) | instskip(NEXT) | instid1(VALU_DEP_1)
	v_lshl_or_b32 v0, v3, 21, v0
                                        ; implicit-def: $vgpr3
	v_add_nc_u32_e32 v0, 0x38000000, v0
.LBB6_8414:                             ;   in Loop: Header=BB6_8046 Depth=2
	s_and_not1_saveexec_b32 s26, s26
; %bb.8415:                             ;   in Loop: Header=BB6_8046 Depth=2
	v_cmp_lt_i16_e32 vcc_lo, -1, v96
	v_cndmask_b32_e32 v0, 0xff800000, v105, vcc_lo
	v_cmp_eq_u32_e32 vcc_lo, 0, v3
	s_delay_alu instid0(VALU_DEP_2)
	v_cndmask_b32_e32 v0, 0x7f800001, v0, vcc_lo
; %bb.8416:                             ;   in Loop: Header=BB6_8046 Depth=2
	s_or_b32 exec_lo, exec_lo, s26
.LBB6_8417:                             ;   in Loop: Header=BB6_8046 Depth=2
	s_delay_alu instid0(SALU_CYCLE_1)
	s_or_b32 exec_lo, exec_lo, s25
.LBB6_8418:                             ;   in Loop: Header=BB6_8046 Depth=2
	s_delay_alu instid0(SALU_CYCLE_1) | instskip(NEXT) | instid1(VALU_DEP_1)
	s_or_b32 exec_lo, exec_lo, s7
	v_mul_f32_e32 v0, v1, v0
	v_mov_b32_e32 v7, v5
                                        ; implicit-def: $vgpr21
	s_mov_b32 s7, exec_lo
	s_delay_alu instid0(VALU_DEP_2) | instskip(SKIP_1) | instid1(VALU_DEP_2)
	v_and_b32_e32 v6, 0x7f800000, v0
	v_and_b32_e32 v4, 0x7fffff, v0
	v_cmpx_ne_u64_e32 0x7f800000, v[6:7]
	s_xor_b32 s25, exec_lo, s7
	s_cbranch_execz .LBB6_8436
; %bb.8419:                             ;   in Loop: Header=BB6_8046 Depth=2
	v_dual_mov_b32 v7, v5 :: v_dual_lshrrev_b32 v1, 24, v0
	v_and_b32_e32 v6, 0x7fffffff, v0
                                        ; implicit-def: $vgpr21
	s_mov_b32 s7, exec_lo
	s_delay_alu instid0(VALU_DEP_2) | instskip(NEXT) | instid1(VALU_DEP_2)
	v_and_b32_e32 v3, 0x80, v1
	v_cmpx_gt_u64_e32 0x47600001, v[6:7]
	s_xor_b32 s26, exec_lo, s7
	s_cbranch_execz .LBB6_8433
; %bb.8420:                             ;   in Loop: Header=BB6_8046 Depth=2
	v_mov_b32_e32 v21, 0
	s_mov_b32 s27, exec_lo
	v_cmpx_ne_u32_e32 0, v0
	s_cbranch_execz .LBB6_8432
; %bb.8421:                             ;   in Loop: Header=BB6_8046 Depth=2
	v_bfe_u32 v21, v0, 23, 8
	v_or_b32_e32 v6, 0x800000, v4
	s_mov_b32 s28, exec_lo
	s_delay_alu instid0(VALU_DEP_2) | instskip(SKIP_1) | instid1(VALU_DEP_2)
	v_dual_mov_b32 v7, v5 :: v_dual_sub_nc_u32 v0, 0x71, v21
	v_cmp_gt_u32_e32 vcc_lo, 0x72, v21
	v_cndmask_b32_e32 v0, 0, v0, vcc_lo
	v_cmp_eq_u32_e32 vcc_lo, 0, v21
	s_delay_alu instid0(VALU_DEP_2) | instskip(NEXT) | instid1(VALU_DEP_1)
	v_cndmask_b32_e64 v23, v0, 0x70, vcc_lo
	v_dual_cndmask_b32 v6, v6, v4, vcc_lo :: v_dual_add_nc_u32 v0, 21, v23
	v_add_nc_u32_e32 v24, 20, v23
	s_delay_alu instid0(VALU_DEP_2) | instskip(NEXT) | instid1(VALU_DEP_2)
	v_lshlrev_b64_e64 v[0:1], v0, -1
	v_lshlrev_b64_e64 v[24:25], v24, 1
	s_delay_alu instid0(VALU_DEP_2) | instskip(NEXT) | instid1(VALU_DEP_3)
	v_bfi_b32 v27, v1, 0, 0
	v_bfi_b32 v26, v0, 0, v6
	v_lshrrev_b64 v[0:1], v23, v[6:7]
	s_delay_alu instid0(VALU_DEP_1) | instskip(NEXT) | instid1(VALU_DEP_3)
	v_mov_b64_e32 v[6:7], v[0:1]
	v_cmpx_eq_u64_e64 v[26:27], v[24:25]
; %bb.8422:                             ;   in Loop: Header=BB6_8046 Depth=2
	v_bfe_u32 v6, v0, 21, 1
	v_mov_b32_e32 v7, v5
	s_delay_alu instid0(VALU_DEP_1) | instskip(NEXT) | instid1(VALU_DEP_1)
	v_add_nc_u64_e32 v[6:7], v[0:1], v[6:7]
	v_add_nc_u64_e32 v[6:7], -1, v[6:7]
; %bb.8423:                             ;   in Loop: Header=BB6_8046 Depth=2
	s_or_b32 exec_lo, exec_lo, s28
	v_add_nc_u32_e32 v1, 0xffffff81, v21
	v_lshrrev_b32_e32 v4, 23, v0
	s_delay_alu instid0(VALU_DEP_3) | instskip(SKIP_1) | instid1(VALU_DEP_3)
	v_and_b32_e32 v6, 0x1fffff, v6
	s_mov_b32 s7, exec_lo
	v_cndmask_b32_e64 v1, v1, 0xffffff82, vcc_lo
	s_delay_alu instid0(VALU_DEP_1) | instskip(NEXT) | instid1(VALU_DEP_3)
	v_add3_u32 v7, v23, v1, v4
	v_add_nc_u32_e32 v4, v6, v0
                                        ; implicit-def: $vgpr0_vgpr1
                                        ; implicit-def: $vgpr6
	s_delay_alu instid0(VALU_DEP_2) | instskip(NEXT) | instid1(VALU_DEP_1)
	v_add_nc_u32_e32 v21, 14, v7
	v_cmpx_ne_u32_e32 0, v21
	s_xor_b32 s7, exec_lo, s7
; %bb.8424:                             ;   in Loop: Header=BB6_8046 Depth=2
	s_delay_alu instid0(VALU_DEP_3) | instskip(SKIP_1) | instid1(VALU_DEP_1)
	v_cmp_lt_u64_e32 vcc_lo, 0xffffff, v[4:5]
	v_add_nc_u32_e32 v0, 15, v7
	v_cndmask_b32_e32 v6, v21, v0, vcc_lo
	v_cndmask_b32_e64 v0, 0, 1, vcc_lo
	s_delay_alu instid0(VALU_DEP_1)
	v_lshrrev_b64 v[0:1], v0, v[4:5]
; %bb.8425:                             ;   in Loop: Header=BB6_8046 Depth=2
	s_and_not1_saveexec_b32 s7, s7
; %bb.8426:                             ;   in Loop: Header=BB6_8046 Depth=2
	v_mov_b64_e32 v[0:1], v[4:5]
	v_bfe_u32 v6, v4, 23, 1
; %bb.8427:                             ;   in Loop: Header=BB6_8046 Depth=2
	s_or_b32 exec_lo, exec_lo, s7
	s_delay_alu instid0(VALU_DEP_2) | instskip(NEXT) | instid1(VALU_DEP_2)
	v_lshrrev_b64 v[0:1], 21, v[0:1]
	v_cmp_gt_i32_e32 vcc_lo, 32, v6
	v_cmp_ne_u32_e64 s7, 0, v6
                                        ; implicit-def: $vgpr21
	s_delay_alu instid0(VALU_DEP_3) | instskip(NEXT) | instid1(VALU_DEP_1)
	v_dual_cndmask_b32 v1, 0, v1 :: v_dual_cndmask_b32 v0, 3, v0
	v_cmp_ne_u64_e32 vcc_lo, 0, v[0:1]
	s_or_b32 s7, s7, vcc_lo
	s_delay_alu instid0(SALU_CYCLE_1) | instskip(NEXT) | instid1(SALU_CYCLE_1)
	s_and_saveexec_b32 s28, s7
	s_xor_b32 s7, exec_lo, s28
; %bb.8428:                             ;   in Loop: Header=BB6_8046 Depth=2
	v_min_i32_e32 v1, 31, v6
	s_delay_alu instid0(VALU_DEP_1) | instskip(NEXT) | instid1(VALU_DEP_1)
	v_lshl_or_b32 v1, v1, 2, v3
                                        ; implicit-def: $vgpr3
	v_and_or_b32 v21, v0, 3, v1
; %bb.8429:                             ;   in Loop: Header=BB6_8046 Depth=2
	s_and_not1_saveexec_b32 s7, s7
; %bb.8430:                             ;   in Loop: Header=BB6_8046 Depth=2
	v_mov_b32_e32 v21, v3
; %bb.8431:                             ;   in Loop: Header=BB6_8046 Depth=2
	s_or_b32 exec_lo, exec_lo, s7
.LBB6_8432:                             ;   in Loop: Header=BB6_8046 Depth=2
	s_delay_alu instid0(SALU_CYCLE_1)
	s_or_b32 exec_lo, exec_lo, s27
                                        ; implicit-def: $vgpr3
.LBB6_8433:                             ;   in Loop: Header=BB6_8046 Depth=2
	s_and_not1_saveexec_b32 s7, s26
; %bb.8434:                             ;   in Loop: Header=BB6_8046 Depth=2
	v_or_b32_e32 v21, 0x7b, v3
; %bb.8435:                             ;   in Loop: Header=BB6_8046 Depth=2
	s_or_b32 exec_lo, exec_lo, s7
                                        ; implicit-def: $vgpr0
.LBB6_8436:                             ;   in Loop: Header=BB6_8046 Depth=2
	s_and_not1_saveexec_b32 s7, s25
	s_cbranch_execz .LBB6_8442
; %bb.8437:                             ;   in Loop: Header=BB6_8046 Depth=2
	s_mov_b32 s25, exec_lo
                                        ; implicit-def: $vgpr21
	v_cmpx_ne_u64_e32 0, v[4:5]
	s_xor_b32 s25, exec_lo, s25
; %bb.8438:                             ;   in Loop: Header=BB6_8046 Depth=2
	v_lshrrev_b32_e32 v0, 24, v0
	s_delay_alu instid0(VALU_DEP_1)
	v_or_b32_e32 v21, 0x7f, v0
                                        ; implicit-def: $vgpr0
; %bb.8439:                             ;   in Loop: Header=BB6_8046 Depth=2
	s_and_not1_saveexec_b32 s25, s25
; %bb.8440:                             ;   in Loop: Header=BB6_8046 Depth=2
	v_cmp_lt_i32_e32 vcc_lo, -1, v0
	v_cndmask_b32_e64 v21, -4, 0x7c, vcc_lo
; %bb.8441:                             ;   in Loop: Header=BB6_8046 Depth=2
	s_or_b32 exec_lo, exec_lo, s25
.LBB6_8442:                             ;   in Loop: Header=BB6_8046 Depth=2
	s_delay_alu instid0(SALU_CYCLE_1)
	s_or_b32 exec_lo, exec_lo, s7
	v_dual_mov_b32 v0, 0 :: v_dual_mov_b32 v1, 0
	s_mov_b32 s7, exec_lo
	v_cmpx_ne_u16_e32 0, v100
	s_cbranch_execz .LBB6_8452
; %bb.8443:                             ;   in Loop: Header=BB6_8046 Depth=2
	v_bfrev_b32_e32 v1, 1
	s_mov_b32 s25, exec_lo
	v_cmpx_ne_u16_e32 0xff80, v100
	s_cbranch_execz .LBB6_8451
; %bb.8444:                             ;   in Loop: Header=BB6_8046 Depth=2
	v_and_b32_e32 v1, 0x7c, v100
	v_and_b32_e32 v3, 3, v100
	s_delay_alu instid0(VALU_DEP_2) | instskip(SKIP_1) | instid1(SALU_CYCLE_1)
	v_cmp_ne_u32_e32 vcc_lo, 0x7c, v1
                                        ; implicit-def: $vgpr1
	s_and_saveexec_b32 s26, vcc_lo
	s_xor_b32 s26, exec_lo, s26
	s_cbranch_execz .LBB6_8448
; %bb.8445:                             ;   in Loop: Header=BB6_8046 Depth=2
	v_and_b32_e32 v1, 0xff, v100
	s_mov_b32 s27, exec_lo
	s_delay_alu instid0(VALU_DEP_1) | instskip(NEXT) | instid1(VALU_DEP_1)
	v_bfe_u32 v1, v1, 2, 5
	v_cmpx_eq_u32_e32 0, v1
	s_cbranch_execz .LBB6_8447
; %bb.8446:                             ;   in Loop: Header=BB6_8046 Depth=2
	v_clz_i32_u32_e32 v1, v3
	s_delay_alu instid0(VALU_DEP_1) | instskip(SKIP_1) | instid1(VALU_DEP_2)
	v_min_u32_e32 v1, 32, v1
	v_mov_b32_e32 v101, v5
	v_subrev_nc_u32_e32 v3, 29, v1
	v_sub_nc_u32_e32 v1, 30, v1
	s_delay_alu instid0(VALU_DEP_2) | instskip(NEXT) | instid1(VALU_DEP_1)
	v_lshlrev_b64_e32 v[6:7], v3, v[100:101]
	v_and_b32_e32 v3, 3, v6
.LBB6_8447:                             ;   in Loop: Header=BB6_8046 Depth=2
	s_or_b32 exec_lo, exec_lo, s27
	v_bfe_i32 v4, v100, 0, 16
                                        ; implicit-def: $vgpr100
	s_delay_alu instid0(VALU_DEP_1) | instskip(NEXT) | instid1(VALU_DEP_1)
	v_and_b32_e32 v4, 0x80000000, v4
	v_lshl_add_u32 v1, v1, 23, v4
	s_delay_alu instid0(VALU_DEP_1) | instskip(NEXT) | instid1(VALU_DEP_1)
	v_lshl_or_b32 v1, v3, 21, v1
                                        ; implicit-def: $vgpr3
	v_add_nc_u32_e32 v1, 0x38000000, v1
.LBB6_8448:                             ;   in Loop: Header=BB6_8046 Depth=2
	s_and_not1_saveexec_b32 s26, s26
; %bb.8449:                             ;   in Loop: Header=BB6_8046 Depth=2
	v_cmp_lt_i16_e32 vcc_lo, -1, v100
	v_cndmask_b32_e32 v1, 0xff800000, v105, vcc_lo
	v_cmp_eq_u32_e32 vcc_lo, 0, v3
	s_delay_alu instid0(VALU_DEP_2)
	v_cndmask_b32_e32 v1, 0x7f800001, v1, vcc_lo
; %bb.8450:                             ;   in Loop: Header=BB6_8046 Depth=2
	s_or_b32 exec_lo, exec_lo, s26
.LBB6_8451:                             ;   in Loop: Header=BB6_8046 Depth=2
	s_delay_alu instid0(SALU_CYCLE_1)
	s_or_b32 exec_lo, exec_lo, s25
.LBB6_8452:                             ;   in Loop: Header=BB6_8046 Depth=2
	s_delay_alu instid0(SALU_CYCLE_1) | instskip(NEXT) | instid1(SALU_CYCLE_1)
	s_or_b32 exec_lo, exec_lo, s7
	s_mov_b32 s7, exec_lo
	v_cmpx_ne_u16_e32 0, v102
	s_cbranch_execz .LBB6_8462
; %bb.8453:                             ;   in Loop: Header=BB6_8046 Depth=2
	v_bfrev_b32_e32 v0, 1
	s_mov_b32 s25, exec_lo
	v_cmpx_ne_u16_e32 0xff80, v102
	s_cbranch_execz .LBB6_8461
; %bb.8454:                             ;   in Loop: Header=BB6_8046 Depth=2
	v_and_b32_e32 v0, 0x7c, v102
	v_and_b32_e32 v3, 3, v102
	s_delay_alu instid0(VALU_DEP_2) | instskip(SKIP_1) | instid1(SALU_CYCLE_1)
	v_cmp_ne_u32_e32 vcc_lo, 0x7c, v0
                                        ; implicit-def: $vgpr0
	s_and_saveexec_b32 s26, vcc_lo
	s_xor_b32 s26, exec_lo, s26
	s_cbranch_execz .LBB6_8458
; %bb.8455:                             ;   in Loop: Header=BB6_8046 Depth=2
	v_and_b32_e32 v0, 0xff, v102
	s_mov_b32 s27, exec_lo
	s_delay_alu instid0(VALU_DEP_1) | instskip(NEXT) | instid1(VALU_DEP_1)
	v_bfe_u32 v0, v0, 2, 5
	v_cmpx_eq_u32_e32 0, v0
	s_cbranch_execz .LBB6_8457
; %bb.8456:                             ;   in Loop: Header=BB6_8046 Depth=2
	v_clz_i32_u32_e32 v0, v3
	s_delay_alu instid0(VALU_DEP_1) | instskip(SKIP_1) | instid1(VALU_DEP_2)
	v_min_u32_e32 v0, 32, v0
	v_mov_b32_e32 v103, v5
	v_subrev_nc_u32_e32 v3, 29, v0
	v_sub_nc_u32_e32 v0, 30, v0
	s_delay_alu instid0(VALU_DEP_2) | instskip(NEXT) | instid1(VALU_DEP_1)
	v_lshlrev_b64_e32 v[6:7], v3, v[102:103]
	v_and_b32_e32 v3, 3, v6
.LBB6_8457:                             ;   in Loop: Header=BB6_8046 Depth=2
	s_or_b32 exec_lo, exec_lo, s27
	v_bfe_i32 v4, v102, 0, 16
                                        ; implicit-def: $vgpr102
	s_delay_alu instid0(VALU_DEP_1) | instskip(NEXT) | instid1(VALU_DEP_1)
	v_and_b32_e32 v4, 0x80000000, v4
	v_lshl_add_u32 v0, v0, 23, v4
	s_delay_alu instid0(VALU_DEP_1) | instskip(NEXT) | instid1(VALU_DEP_1)
	v_lshl_or_b32 v0, v3, 21, v0
                                        ; implicit-def: $vgpr3
	v_add_nc_u32_e32 v0, 0x38000000, v0
.LBB6_8458:                             ;   in Loop: Header=BB6_8046 Depth=2
	s_and_not1_saveexec_b32 s26, s26
; %bb.8459:                             ;   in Loop: Header=BB6_8046 Depth=2
	v_cmp_lt_i16_e32 vcc_lo, -1, v102
	v_cndmask_b32_e32 v0, 0xff800000, v105, vcc_lo
	v_cmp_eq_u32_e32 vcc_lo, 0, v3
	s_delay_alu instid0(VALU_DEP_2)
	v_cndmask_b32_e32 v0, 0x7f800001, v0, vcc_lo
; %bb.8460:                             ;   in Loop: Header=BB6_8046 Depth=2
	s_or_b32 exec_lo, exec_lo, s26
.LBB6_8461:                             ;   in Loop: Header=BB6_8046 Depth=2
	s_delay_alu instid0(SALU_CYCLE_1)
	s_or_b32 exec_lo, exec_lo, s25
.LBB6_8462:                             ;   in Loop: Header=BB6_8046 Depth=2
	s_delay_alu instid0(SALU_CYCLE_1) | instskip(NEXT) | instid1(VALU_DEP_1)
	s_or_b32 exec_lo, exec_lo, s7
	v_mul_f32_e32 v0, v1, v0
	v_mov_b32_e32 v7, v5
                                        ; implicit-def: $vgpr24
	s_mov_b32 s7, exec_lo
	s_delay_alu instid0(VALU_DEP_2) | instskip(SKIP_1) | instid1(VALU_DEP_2)
	v_and_b32_e32 v6, 0x7f800000, v0
	v_and_b32_e32 v4, 0x7fffff, v0
	v_cmpx_ne_u64_e32 0x7f800000, v[6:7]
	s_xor_b32 s25, exec_lo, s7
	s_cbranch_execz .LBB6_8480
; %bb.8463:                             ;   in Loop: Header=BB6_8046 Depth=2
	v_dual_mov_b32 v7, v5 :: v_dual_lshrrev_b32 v1, 24, v0
	v_and_b32_e32 v6, 0x7fffffff, v0
                                        ; implicit-def: $vgpr24
	s_mov_b32 s7, exec_lo
	s_delay_alu instid0(VALU_DEP_2) | instskip(NEXT) | instid1(VALU_DEP_2)
	v_and_b32_e32 v3, 0x80, v1
	v_cmpx_gt_u64_e32 0x47600001, v[6:7]
	s_xor_b32 s26, exec_lo, s7
	s_cbranch_execz .LBB6_8477
; %bb.8464:                             ;   in Loop: Header=BB6_8046 Depth=2
	v_mov_b32_e32 v24, 0
	s_mov_b32 s27, exec_lo
	v_cmpx_ne_u32_e32 0, v0
	s_cbranch_execz .LBB6_8476
; %bb.8465:                             ;   in Loop: Header=BB6_8046 Depth=2
	v_bfe_u32 v23, v0, 23, 8
	v_or_b32_e32 v6, 0x800000, v4
	s_mov_b32 s28, exec_lo
	s_delay_alu instid0(VALU_DEP_2) | instskip(SKIP_1) | instid1(VALU_DEP_2)
	v_dual_mov_b32 v7, v5 :: v_dual_sub_nc_u32 v0, 0x71, v23
	v_cmp_gt_u32_e32 vcc_lo, 0x72, v23
	v_cndmask_b32_e32 v0, 0, v0, vcc_lo
	v_cmp_eq_u32_e32 vcc_lo, 0, v23
	s_delay_alu instid0(VALU_DEP_2) | instskip(SKIP_1) | instid1(VALU_DEP_2)
	v_cndmask_b32_e64 v24, v0, 0x70, vcc_lo
	v_cndmask_b32_e32 v6, v6, v4, vcc_lo
	v_dual_add_nc_u32 v0, 21, v24 :: v_dual_add_nc_u32 v25, 20, v24
	s_delay_alu instid0(VALU_DEP_1) | instskip(NEXT) | instid1(VALU_DEP_2)
	v_lshlrev_b64_e64 v[0:1], v0, -1
	v_lshlrev_b64_e64 v[26:27], v25, 1
	s_delay_alu instid0(VALU_DEP_2) | instskip(NEXT) | instid1(VALU_DEP_3)
	v_bfi_b32 v65, v1, 0, 0
	v_bfi_b32 v64, v0, 0, v6
	v_lshrrev_b64 v[0:1], v24, v[6:7]
	s_delay_alu instid0(VALU_DEP_1) | instskip(NEXT) | instid1(VALU_DEP_3)
	v_mov_b64_e32 v[6:7], v[0:1]
	v_cmpx_eq_u64_e64 v[64:65], v[26:27]
; %bb.8466:                             ;   in Loop: Header=BB6_8046 Depth=2
	v_bfe_u32 v6, v0, 21, 1
	v_mov_b32_e32 v7, v5
	s_delay_alu instid0(VALU_DEP_1) | instskip(NEXT) | instid1(VALU_DEP_1)
	v_add_nc_u64_e32 v[6:7], v[0:1], v[6:7]
	v_add_nc_u64_e32 v[6:7], -1, v[6:7]
; %bb.8467:                             ;   in Loop: Header=BB6_8046 Depth=2
	s_or_b32 exec_lo, exec_lo, s28
	v_add_nc_u32_e32 v1, 0xffffff81, v23
	v_lshrrev_b32_e32 v4, 23, v0
	s_delay_alu instid0(VALU_DEP_3) | instskip(SKIP_1) | instid1(VALU_DEP_3)
	v_and_b32_e32 v6, 0x1fffff, v6
	s_mov_b32 s7, exec_lo
	v_cndmask_b32_e64 v1, v1, 0xffffff82, vcc_lo
	s_delay_alu instid0(VALU_DEP_1) | instskip(NEXT) | instid1(VALU_DEP_3)
	v_add3_u32 v7, v24, v1, v4
	v_add_nc_u32_e32 v4, v6, v0
                                        ; implicit-def: $vgpr0_vgpr1
                                        ; implicit-def: $vgpr6
	s_delay_alu instid0(VALU_DEP_2) | instskip(NEXT) | instid1(VALU_DEP_1)
	v_add_nc_u32_e32 v23, 14, v7
	v_cmpx_ne_u32_e32 0, v23
	s_xor_b32 s7, exec_lo, s7
; %bb.8468:                             ;   in Loop: Header=BB6_8046 Depth=2
	s_delay_alu instid0(VALU_DEP_3) | instskip(SKIP_1) | instid1(VALU_DEP_1)
	v_cmp_lt_u64_e32 vcc_lo, 0xffffff, v[4:5]
	v_add_nc_u32_e32 v0, 15, v7
	v_cndmask_b32_e32 v6, v23, v0, vcc_lo
	v_cndmask_b32_e64 v0, 0, 1, vcc_lo
	s_delay_alu instid0(VALU_DEP_1)
	v_lshrrev_b64 v[0:1], v0, v[4:5]
; %bb.8469:                             ;   in Loop: Header=BB6_8046 Depth=2
	s_and_not1_saveexec_b32 s7, s7
; %bb.8470:                             ;   in Loop: Header=BB6_8046 Depth=2
	v_mov_b64_e32 v[0:1], v[4:5]
	v_bfe_u32 v6, v4, 23, 1
; %bb.8471:                             ;   in Loop: Header=BB6_8046 Depth=2
	s_or_b32 exec_lo, exec_lo, s7
	s_delay_alu instid0(VALU_DEP_2) | instskip(NEXT) | instid1(VALU_DEP_2)
	v_lshrrev_b64 v[0:1], 21, v[0:1]
	v_cmp_gt_i32_e32 vcc_lo, 32, v6
	v_cmp_ne_u32_e64 s7, 0, v6
                                        ; implicit-def: $vgpr24
	s_delay_alu instid0(VALU_DEP_3) | instskip(NEXT) | instid1(VALU_DEP_1)
	v_dual_cndmask_b32 v1, 0, v1 :: v_dual_cndmask_b32 v0, 3, v0
	v_cmp_ne_u64_e32 vcc_lo, 0, v[0:1]
	s_or_b32 s7, s7, vcc_lo
	s_delay_alu instid0(SALU_CYCLE_1) | instskip(NEXT) | instid1(SALU_CYCLE_1)
	s_and_saveexec_b32 s28, s7
	s_xor_b32 s7, exec_lo, s28
; %bb.8472:                             ;   in Loop: Header=BB6_8046 Depth=2
	v_min_i32_e32 v1, 31, v6
	s_delay_alu instid0(VALU_DEP_1) | instskip(NEXT) | instid1(VALU_DEP_1)
	v_lshl_or_b32 v1, v1, 2, v3
                                        ; implicit-def: $vgpr3
	v_and_or_b32 v24, v0, 3, v1
; %bb.8473:                             ;   in Loop: Header=BB6_8046 Depth=2
	s_and_not1_saveexec_b32 s7, s7
; %bb.8474:                             ;   in Loop: Header=BB6_8046 Depth=2
	v_mov_b32_e32 v24, v3
; %bb.8475:                             ;   in Loop: Header=BB6_8046 Depth=2
	s_or_b32 exec_lo, exec_lo, s7
.LBB6_8476:                             ;   in Loop: Header=BB6_8046 Depth=2
	s_delay_alu instid0(SALU_CYCLE_1)
	s_or_b32 exec_lo, exec_lo, s27
                                        ; implicit-def: $vgpr3
.LBB6_8477:                             ;   in Loop: Header=BB6_8046 Depth=2
	s_and_not1_saveexec_b32 s7, s26
; %bb.8478:                             ;   in Loop: Header=BB6_8046 Depth=2
	v_or_b32_e32 v24, 0x7b, v3
; %bb.8479:                             ;   in Loop: Header=BB6_8046 Depth=2
	s_or_b32 exec_lo, exec_lo, s7
                                        ; implicit-def: $vgpr0
.LBB6_8480:                             ;   in Loop: Header=BB6_8046 Depth=2
	s_and_not1_saveexec_b32 s7, s25
	s_cbranch_execz .LBB6_8486
; %bb.8481:                             ;   in Loop: Header=BB6_8046 Depth=2
	s_mov_b32 s25, exec_lo
                                        ; implicit-def: $vgpr24
	v_cmpx_ne_u64_e32 0, v[4:5]
	s_xor_b32 s25, exec_lo, s25
; %bb.8482:                             ;   in Loop: Header=BB6_8046 Depth=2
	v_lshrrev_b32_e32 v0, 24, v0
	s_delay_alu instid0(VALU_DEP_1)
	v_or_b32_e32 v24, 0x7f, v0
                                        ; implicit-def: $vgpr0
; %bb.8483:                             ;   in Loop: Header=BB6_8046 Depth=2
	s_and_not1_saveexec_b32 s25, s25
; %bb.8484:                             ;   in Loop: Header=BB6_8046 Depth=2
	v_cmp_lt_i32_e32 vcc_lo, -1, v0
	v_cndmask_b32_e64 v24, -4, 0x7c, vcc_lo
; %bb.8485:                             ;   in Loop: Header=BB6_8046 Depth=2
	s_or_b32 exec_lo, exec_lo, s25
.LBB6_8486:                             ;   in Loop: Header=BB6_8046 Depth=2
	s_delay_alu instid0(SALU_CYCLE_1)
	s_or_b32 exec_lo, exec_lo, s7
	v_dual_mov_b32 v0, 0 :: v_dual_mov_b32 v1, 0
	s_mov_b32 s7, exec_lo
	v_cmpx_ne_u16_e32 0, v52
	s_cbranch_execz .LBB6_8496
; %bb.8487:                             ;   in Loop: Header=BB6_8046 Depth=2
	v_bfrev_b32_e32 v1, 1
	s_mov_b32 s25, exec_lo
	v_cmpx_ne_u16_e32 0xff80, v52
	s_cbranch_execz .LBB6_8495
; %bb.8488:                             ;   in Loop: Header=BB6_8046 Depth=2
	v_and_b32_e32 v1, 0x7c, v52
	v_and_b32_e32 v3, 3, v52
	s_delay_alu instid0(VALU_DEP_2) | instskip(SKIP_1) | instid1(SALU_CYCLE_1)
	v_cmp_ne_u32_e32 vcc_lo, 0x7c, v1
                                        ; implicit-def: $vgpr1
	s_and_saveexec_b32 s26, vcc_lo
	s_xor_b32 s26, exec_lo, s26
	s_cbranch_execz .LBB6_8492
; %bb.8489:                             ;   in Loop: Header=BB6_8046 Depth=2
	v_and_b32_e32 v1, 0xff, v52
	s_mov_b32 s27, exec_lo
	s_delay_alu instid0(VALU_DEP_1) | instskip(NEXT) | instid1(VALU_DEP_1)
	v_bfe_u32 v1, v1, 2, 5
	v_cmpx_eq_u32_e32 0, v1
	s_cbranch_execz .LBB6_8491
; %bb.8490:                             ;   in Loop: Header=BB6_8046 Depth=2
	v_clz_i32_u32_e32 v1, v3
	s_delay_alu instid0(VALU_DEP_1) | instskip(SKIP_1) | instid1(VALU_DEP_2)
	v_min_u32_e32 v1, 32, v1
	v_mov_b32_e32 v53, v5
	v_subrev_nc_u32_e32 v3, 29, v1
	v_sub_nc_u32_e32 v1, 30, v1
	s_delay_alu instid0(VALU_DEP_2) | instskip(NEXT) | instid1(VALU_DEP_1)
	v_lshlrev_b64_e32 v[6:7], v3, v[52:53]
	v_and_b32_e32 v3, 3, v6
.LBB6_8491:                             ;   in Loop: Header=BB6_8046 Depth=2
	s_or_b32 exec_lo, exec_lo, s27
	v_bfe_i32 v4, v52, 0, 16
                                        ; implicit-def: $vgpr52
	s_delay_alu instid0(VALU_DEP_1) | instskip(NEXT) | instid1(VALU_DEP_1)
	v_and_b32_e32 v4, 0x80000000, v4
	v_lshl_add_u32 v1, v1, 23, v4
	s_delay_alu instid0(VALU_DEP_1) | instskip(NEXT) | instid1(VALU_DEP_1)
	v_lshl_or_b32 v1, v3, 21, v1
                                        ; implicit-def: $vgpr3
	v_add_nc_u32_e32 v1, 0x38000000, v1
.LBB6_8492:                             ;   in Loop: Header=BB6_8046 Depth=2
	s_and_not1_saveexec_b32 s26, s26
; %bb.8493:                             ;   in Loop: Header=BB6_8046 Depth=2
	v_cmp_lt_i16_e32 vcc_lo, -1, v52
	v_cndmask_b32_e32 v1, 0xff800000, v105, vcc_lo
	v_cmp_eq_u32_e32 vcc_lo, 0, v3
	s_delay_alu instid0(VALU_DEP_2)
	v_cndmask_b32_e32 v1, 0x7f800001, v1, vcc_lo
; %bb.8494:                             ;   in Loop: Header=BB6_8046 Depth=2
	s_or_b32 exec_lo, exec_lo, s26
.LBB6_8495:                             ;   in Loop: Header=BB6_8046 Depth=2
	s_delay_alu instid0(SALU_CYCLE_1)
	s_or_b32 exec_lo, exec_lo, s25
.LBB6_8496:                             ;   in Loop: Header=BB6_8046 Depth=2
	s_delay_alu instid0(SALU_CYCLE_1) | instskip(NEXT) | instid1(SALU_CYCLE_1)
	s_or_b32 exec_lo, exec_lo, s7
	s_mov_b32 s7, exec_lo
	v_cmpx_ne_u16_e32 0, v22
	s_cbranch_execz .LBB6_8506
; %bb.8497:                             ;   in Loop: Header=BB6_8046 Depth=2
	v_bfrev_b32_e32 v0, 1
	s_mov_b32 s25, exec_lo
	v_cmpx_ne_u16_e32 0xff80, v22
	s_cbranch_execz .LBB6_8505
; %bb.8498:                             ;   in Loop: Header=BB6_8046 Depth=2
	v_and_b32_e32 v0, 0x7c, v22
	v_and_b32_e32 v3, 3, v22
	s_delay_alu instid0(VALU_DEP_2) | instskip(SKIP_1) | instid1(SALU_CYCLE_1)
	v_cmp_ne_u32_e32 vcc_lo, 0x7c, v0
                                        ; implicit-def: $vgpr0
	s_and_saveexec_b32 s26, vcc_lo
	s_xor_b32 s26, exec_lo, s26
	s_cbranch_execz .LBB6_8502
; %bb.8499:                             ;   in Loop: Header=BB6_8046 Depth=2
	v_and_b32_e32 v0, 0xff, v22
	s_mov_b32 s27, exec_lo
	s_delay_alu instid0(VALU_DEP_1) | instskip(NEXT) | instid1(VALU_DEP_1)
	v_bfe_u32 v0, v0, 2, 5
	v_cmpx_eq_u32_e32 0, v0
	s_cbranch_execz .LBB6_8501
; %bb.8500:                             ;   in Loop: Header=BB6_8046 Depth=2
	v_clz_i32_u32_e32 v0, v3
	s_delay_alu instid0(VALU_DEP_1) | instskip(SKIP_1) | instid1(VALU_DEP_2)
	v_min_u32_e32 v0, 32, v0
	v_mov_b32_e32 v23, v5
	v_subrev_nc_u32_e32 v3, 29, v0
	v_sub_nc_u32_e32 v0, 30, v0
	s_delay_alu instid0(VALU_DEP_2) | instskip(NEXT) | instid1(VALU_DEP_1)
	v_lshlrev_b64_e32 v[6:7], v3, v[22:23]
	v_and_b32_e32 v3, 3, v6
.LBB6_8501:                             ;   in Loop: Header=BB6_8046 Depth=2
	s_or_b32 exec_lo, exec_lo, s27
	v_bfe_i32 v4, v22, 0, 16
                                        ; implicit-def: $vgpr22
	s_delay_alu instid0(VALU_DEP_1) | instskip(NEXT) | instid1(VALU_DEP_1)
	v_and_b32_e32 v4, 0x80000000, v4
	v_lshl_add_u32 v0, v0, 23, v4
	s_delay_alu instid0(VALU_DEP_1) | instskip(NEXT) | instid1(VALU_DEP_1)
	v_lshl_or_b32 v0, v3, 21, v0
                                        ; implicit-def: $vgpr3
	v_add_nc_u32_e32 v0, 0x38000000, v0
.LBB6_8502:                             ;   in Loop: Header=BB6_8046 Depth=2
	s_and_not1_saveexec_b32 s26, s26
; %bb.8503:                             ;   in Loop: Header=BB6_8046 Depth=2
	v_cmp_lt_i16_e32 vcc_lo, -1, v22
	v_cndmask_b32_e32 v0, 0xff800000, v105, vcc_lo
	v_cmp_eq_u32_e32 vcc_lo, 0, v3
	s_delay_alu instid0(VALU_DEP_2)
	v_cndmask_b32_e32 v0, 0x7f800001, v0, vcc_lo
; %bb.8504:                             ;   in Loop: Header=BB6_8046 Depth=2
	s_or_b32 exec_lo, exec_lo, s26
.LBB6_8505:                             ;   in Loop: Header=BB6_8046 Depth=2
	s_delay_alu instid0(SALU_CYCLE_1)
	s_or_b32 exec_lo, exec_lo, s25
.LBB6_8506:                             ;   in Loop: Header=BB6_8046 Depth=2
	s_delay_alu instid0(SALU_CYCLE_1) | instskip(NEXT) | instid1(VALU_DEP_1)
	s_or_b32 exec_lo, exec_lo, s7
	v_mul_f32_e32 v0, v1, v0
	v_mov_b32_e32 v7, v5
                                        ; implicit-def: $vgpr22
	s_mov_b32 s7, exec_lo
	s_delay_alu instid0(VALU_DEP_2) | instskip(SKIP_1) | instid1(VALU_DEP_2)
	v_and_b32_e32 v6, 0x7f800000, v0
	v_and_b32_e32 v4, 0x7fffff, v0
	v_cmpx_ne_u64_e32 0x7f800000, v[6:7]
	s_xor_b32 s25, exec_lo, s7
	s_cbranch_execz .LBB6_8524
; %bb.8507:                             ;   in Loop: Header=BB6_8046 Depth=2
	v_dual_mov_b32 v7, v5 :: v_dual_lshrrev_b32 v1, 24, v0
	v_and_b32_e32 v6, 0x7fffffff, v0
                                        ; implicit-def: $vgpr22
	s_mov_b32 s7, exec_lo
	s_delay_alu instid0(VALU_DEP_2) | instskip(NEXT) | instid1(VALU_DEP_2)
	v_and_b32_e32 v3, 0x80, v1
	v_cmpx_gt_u64_e32 0x47600001, v[6:7]
	s_xor_b32 s26, exec_lo, s7
	s_cbranch_execz .LBB6_8521
; %bb.8508:                             ;   in Loop: Header=BB6_8046 Depth=2
	v_mov_b32_e32 v22, 0
	s_mov_b32 s27, exec_lo
	v_cmpx_ne_u32_e32 0, v0
	s_cbranch_execz .LBB6_8520
; %bb.8509:                             ;   in Loop: Header=BB6_8046 Depth=2
	v_bfe_u32 v22, v0, 23, 8
	v_or_b32_e32 v6, 0x800000, v4
	s_mov_b32 s28, exec_lo
	s_delay_alu instid0(VALU_DEP_2) | instskip(SKIP_1) | instid1(VALU_DEP_2)
	v_dual_mov_b32 v7, v5 :: v_dual_sub_nc_u32 v0, 0x71, v22
	v_cmp_gt_u32_e32 vcc_lo, 0x72, v22
	v_cndmask_b32_e32 v0, 0, v0, vcc_lo
	v_cmp_eq_u32_e32 vcc_lo, 0, v22
	s_delay_alu instid0(VALU_DEP_2) | instskip(NEXT) | instid1(VALU_DEP_1)
	v_cndmask_b32_e64 v23, v0, 0x70, vcc_lo
	v_dual_cndmask_b32 v6, v6, v4, vcc_lo :: v_dual_add_nc_u32 v0, 21, v23
	v_add_nc_u32_e32 v25, 20, v23
	s_delay_alu instid0(VALU_DEP_2) | instskip(NEXT) | instid1(VALU_DEP_2)
	v_lshlrev_b64_e64 v[0:1], v0, -1
	v_lshlrev_b64_e64 v[26:27], v25, 1
	s_delay_alu instid0(VALU_DEP_2) | instskip(NEXT) | instid1(VALU_DEP_3)
	v_bfi_b32 v53, v1, 0, 0
	v_bfi_b32 v52, v0, 0, v6
	v_lshrrev_b64 v[0:1], v23, v[6:7]
	s_delay_alu instid0(VALU_DEP_1) | instskip(NEXT) | instid1(VALU_DEP_3)
	v_mov_b64_e32 v[6:7], v[0:1]
	v_cmpx_eq_u64_e64 v[52:53], v[26:27]
; %bb.8510:                             ;   in Loop: Header=BB6_8046 Depth=2
	v_bfe_u32 v6, v0, 21, 1
	v_mov_b32_e32 v7, v5
	s_delay_alu instid0(VALU_DEP_1) | instskip(NEXT) | instid1(VALU_DEP_1)
	v_add_nc_u64_e32 v[6:7], v[0:1], v[6:7]
	v_add_nc_u64_e32 v[6:7], -1, v[6:7]
; %bb.8511:                             ;   in Loop: Header=BB6_8046 Depth=2
	s_or_b32 exec_lo, exec_lo, s28
	v_add_nc_u32_e32 v1, 0xffffff81, v22
	v_lshrrev_b32_e32 v4, 23, v0
	s_delay_alu instid0(VALU_DEP_3) | instskip(SKIP_1) | instid1(VALU_DEP_3)
	v_and_b32_e32 v6, 0x1fffff, v6
	s_mov_b32 s7, exec_lo
	v_cndmask_b32_e64 v1, v1, 0xffffff82, vcc_lo
	s_delay_alu instid0(VALU_DEP_1) | instskip(NEXT) | instid1(VALU_DEP_3)
	v_add3_u32 v7, v23, v1, v4
	v_add_nc_u32_e32 v4, v6, v0
                                        ; implicit-def: $vgpr0_vgpr1
                                        ; implicit-def: $vgpr6
	s_delay_alu instid0(VALU_DEP_2) | instskip(NEXT) | instid1(VALU_DEP_1)
	v_add_nc_u32_e32 v22, 14, v7
	v_cmpx_ne_u32_e32 0, v22
	s_xor_b32 s7, exec_lo, s7
; %bb.8512:                             ;   in Loop: Header=BB6_8046 Depth=2
	s_delay_alu instid0(VALU_DEP_3) | instskip(SKIP_1) | instid1(VALU_DEP_1)
	v_cmp_lt_u64_e32 vcc_lo, 0xffffff, v[4:5]
	v_add_nc_u32_e32 v0, 15, v7
	v_cndmask_b32_e32 v6, v22, v0, vcc_lo
	v_cndmask_b32_e64 v0, 0, 1, vcc_lo
	s_delay_alu instid0(VALU_DEP_1)
	v_lshrrev_b64 v[0:1], v0, v[4:5]
; %bb.8513:                             ;   in Loop: Header=BB6_8046 Depth=2
	s_and_not1_saveexec_b32 s7, s7
; %bb.8514:                             ;   in Loop: Header=BB6_8046 Depth=2
	v_mov_b64_e32 v[0:1], v[4:5]
	v_bfe_u32 v6, v4, 23, 1
; %bb.8515:                             ;   in Loop: Header=BB6_8046 Depth=2
	s_or_b32 exec_lo, exec_lo, s7
	s_delay_alu instid0(VALU_DEP_2) | instskip(NEXT) | instid1(VALU_DEP_2)
	v_lshrrev_b64 v[0:1], 21, v[0:1]
	v_cmp_gt_i32_e32 vcc_lo, 32, v6
	v_cmp_ne_u32_e64 s7, 0, v6
                                        ; implicit-def: $vgpr22
	s_delay_alu instid0(VALU_DEP_3) | instskip(NEXT) | instid1(VALU_DEP_1)
	v_dual_cndmask_b32 v1, 0, v1 :: v_dual_cndmask_b32 v0, 3, v0
	v_cmp_ne_u64_e32 vcc_lo, 0, v[0:1]
	s_or_b32 s7, s7, vcc_lo
	s_delay_alu instid0(SALU_CYCLE_1) | instskip(NEXT) | instid1(SALU_CYCLE_1)
	s_and_saveexec_b32 s28, s7
	s_xor_b32 s7, exec_lo, s28
; %bb.8516:                             ;   in Loop: Header=BB6_8046 Depth=2
	v_min_i32_e32 v1, 31, v6
	s_delay_alu instid0(VALU_DEP_1) | instskip(NEXT) | instid1(VALU_DEP_1)
	v_lshl_or_b32 v1, v1, 2, v3
                                        ; implicit-def: $vgpr3
	v_and_or_b32 v22, v0, 3, v1
; %bb.8517:                             ;   in Loop: Header=BB6_8046 Depth=2
	s_and_not1_saveexec_b32 s7, s7
; %bb.8518:                             ;   in Loop: Header=BB6_8046 Depth=2
	v_mov_b32_e32 v22, v3
; %bb.8519:                             ;   in Loop: Header=BB6_8046 Depth=2
	s_or_b32 exec_lo, exec_lo, s7
.LBB6_8520:                             ;   in Loop: Header=BB6_8046 Depth=2
	s_delay_alu instid0(SALU_CYCLE_1)
	s_or_b32 exec_lo, exec_lo, s27
                                        ; implicit-def: $vgpr3
.LBB6_8521:                             ;   in Loop: Header=BB6_8046 Depth=2
	s_and_not1_saveexec_b32 s7, s26
; %bb.8522:                             ;   in Loop: Header=BB6_8046 Depth=2
	v_or_b32_e32 v22, 0x7b, v3
; %bb.8523:                             ;   in Loop: Header=BB6_8046 Depth=2
	s_or_b32 exec_lo, exec_lo, s7
                                        ; implicit-def: $vgpr0
.LBB6_8524:                             ;   in Loop: Header=BB6_8046 Depth=2
	s_and_not1_saveexec_b32 s7, s25
	s_cbranch_execz .LBB6_8530
; %bb.8525:                             ;   in Loop: Header=BB6_8046 Depth=2
	s_mov_b32 s25, exec_lo
                                        ; implicit-def: $vgpr22
	v_cmpx_ne_u64_e32 0, v[4:5]
	s_xor_b32 s25, exec_lo, s25
; %bb.8526:                             ;   in Loop: Header=BB6_8046 Depth=2
	v_lshrrev_b32_e32 v0, 24, v0
	s_delay_alu instid0(VALU_DEP_1)
	v_or_b32_e32 v22, 0x7f, v0
                                        ; implicit-def: $vgpr0
; %bb.8527:                             ;   in Loop: Header=BB6_8046 Depth=2
	s_and_not1_saveexec_b32 s25, s25
; %bb.8528:                             ;   in Loop: Header=BB6_8046 Depth=2
	v_cmp_lt_i32_e32 vcc_lo, -1, v0
	v_cndmask_b32_e64 v22, -4, 0x7c, vcc_lo
; %bb.8529:                             ;   in Loop: Header=BB6_8046 Depth=2
	s_or_b32 exec_lo, exec_lo, s25
.LBB6_8530:                             ;   in Loop: Header=BB6_8046 Depth=2
	s_delay_alu instid0(SALU_CYCLE_1)
	s_or_b32 exec_lo, exec_lo, s7
	v_dual_mov_b32 v0, 0 :: v_dual_mov_b32 v1, 0
	s_mov_b32 s7, exec_lo
	v_cmpx_ne_u16_e32 0, v124
	s_cbranch_execz .LBB6_8540
; %bb.8531:                             ;   in Loop: Header=BB6_8046 Depth=2
	v_bfrev_b32_e32 v1, 1
	s_mov_b32 s25, exec_lo
	v_cmpx_ne_u16_e32 0xff80, v124
	s_cbranch_execz .LBB6_8539
; %bb.8532:                             ;   in Loop: Header=BB6_8046 Depth=2
	v_and_b32_e32 v1, 0x7c, v124
	v_and_b32_e32 v3, 3, v124
	s_delay_alu instid0(VALU_DEP_2) | instskip(SKIP_1) | instid1(SALU_CYCLE_1)
	v_cmp_ne_u32_e32 vcc_lo, 0x7c, v1
                                        ; implicit-def: $vgpr1
	s_and_saveexec_b32 s26, vcc_lo
	s_xor_b32 s26, exec_lo, s26
	s_cbranch_execz .LBB6_8536
; %bb.8533:                             ;   in Loop: Header=BB6_8046 Depth=2
	v_and_b32_e32 v1, 0xff, v124
	s_mov_b32 s27, exec_lo
	s_delay_alu instid0(VALU_DEP_1) | instskip(NEXT) | instid1(VALU_DEP_1)
	v_bfe_u32 v1, v1, 2, 5
	v_cmpx_eq_u32_e32 0, v1
	s_cbranch_execz .LBB6_8535
; %bb.8534:                             ;   in Loop: Header=BB6_8046 Depth=2
	v_clz_i32_u32_e32 v1, v3
	s_delay_alu instid0(VALU_DEP_1) | instskip(SKIP_1) | instid1(VALU_DEP_2)
	v_min_u32_e32 v1, 32, v1
	v_mov_b32_e32 v125, v5
	v_subrev_nc_u32_e32 v3, 29, v1
	v_sub_nc_u32_e32 v1, 30, v1
	s_delay_alu instid0(VALU_DEP_2) | instskip(NEXT) | instid1(VALU_DEP_1)
	v_lshlrev_b64_e32 v[6:7], v3, v[124:125]
	v_and_b32_e32 v3, 3, v6
.LBB6_8535:                             ;   in Loop: Header=BB6_8046 Depth=2
	s_or_b32 exec_lo, exec_lo, s27
	v_bfe_i32 v4, v124, 0, 16
                                        ; implicit-def: $vgpr124
	s_delay_alu instid0(VALU_DEP_1) | instskip(NEXT) | instid1(VALU_DEP_1)
	v_and_b32_e32 v4, 0x80000000, v4
	v_lshl_add_u32 v1, v1, 23, v4
	s_delay_alu instid0(VALU_DEP_1) | instskip(NEXT) | instid1(VALU_DEP_1)
	v_lshl_or_b32 v1, v3, 21, v1
                                        ; implicit-def: $vgpr3
	v_add_nc_u32_e32 v1, 0x38000000, v1
.LBB6_8536:                             ;   in Loop: Header=BB6_8046 Depth=2
	s_and_not1_saveexec_b32 s26, s26
; %bb.8537:                             ;   in Loop: Header=BB6_8046 Depth=2
	v_cmp_lt_i16_e32 vcc_lo, -1, v124
	v_cndmask_b32_e32 v1, 0xff800000, v105, vcc_lo
	v_cmp_eq_u32_e32 vcc_lo, 0, v3
	s_delay_alu instid0(VALU_DEP_2)
	v_cndmask_b32_e32 v1, 0x7f800001, v1, vcc_lo
; %bb.8538:                             ;   in Loop: Header=BB6_8046 Depth=2
	s_or_b32 exec_lo, exec_lo, s26
.LBB6_8539:                             ;   in Loop: Header=BB6_8046 Depth=2
	s_delay_alu instid0(SALU_CYCLE_1)
	s_or_b32 exec_lo, exec_lo, s25
.LBB6_8540:                             ;   in Loop: Header=BB6_8046 Depth=2
	s_delay_alu instid0(SALU_CYCLE_1) | instskip(NEXT) | instid1(SALU_CYCLE_1)
	s_or_b32 exec_lo, exec_lo, s7
	s_mov_b32 s7, exec_lo
	v_cmpx_ne_u16_e32 0, v68
	s_cbranch_execz .LBB6_8550
; %bb.8541:                             ;   in Loop: Header=BB6_8046 Depth=2
	v_bfrev_b32_e32 v0, 1
	s_mov_b32 s25, exec_lo
	v_cmpx_ne_u16_e32 0xff80, v68
	s_cbranch_execz .LBB6_8549
; %bb.8542:                             ;   in Loop: Header=BB6_8046 Depth=2
	v_and_b32_e32 v0, 0x7c, v68
	v_and_b32_e32 v3, 3, v68
	s_delay_alu instid0(VALU_DEP_2) | instskip(SKIP_1) | instid1(SALU_CYCLE_1)
	v_cmp_ne_u32_e32 vcc_lo, 0x7c, v0
                                        ; implicit-def: $vgpr0
	s_and_saveexec_b32 s26, vcc_lo
	s_xor_b32 s26, exec_lo, s26
	s_cbranch_execz .LBB6_8546
; %bb.8543:                             ;   in Loop: Header=BB6_8046 Depth=2
	v_and_b32_e32 v0, 0xff, v68
	s_mov_b32 s27, exec_lo
	s_delay_alu instid0(VALU_DEP_1) | instskip(NEXT) | instid1(VALU_DEP_1)
	v_bfe_u32 v0, v0, 2, 5
	v_cmpx_eq_u32_e32 0, v0
	s_cbranch_execz .LBB6_8545
; %bb.8544:                             ;   in Loop: Header=BB6_8046 Depth=2
	v_clz_i32_u32_e32 v0, v3
	s_delay_alu instid0(VALU_DEP_1) | instskip(SKIP_1) | instid1(VALU_DEP_2)
	v_min_u32_e32 v0, 32, v0
	v_mov_b32_e32 v69, v5
	v_subrev_nc_u32_e32 v3, 29, v0
	v_sub_nc_u32_e32 v0, 30, v0
	s_delay_alu instid0(VALU_DEP_2) | instskip(NEXT) | instid1(VALU_DEP_1)
	v_lshlrev_b64_e32 v[6:7], v3, v[68:69]
	v_and_b32_e32 v3, 3, v6
.LBB6_8545:                             ;   in Loop: Header=BB6_8046 Depth=2
	s_or_b32 exec_lo, exec_lo, s27
	v_bfe_i32 v4, v68, 0, 16
                                        ; implicit-def: $vgpr68
	s_delay_alu instid0(VALU_DEP_1) | instskip(NEXT) | instid1(VALU_DEP_1)
	v_and_b32_e32 v4, 0x80000000, v4
	v_lshl_add_u32 v0, v0, 23, v4
	s_delay_alu instid0(VALU_DEP_1) | instskip(NEXT) | instid1(VALU_DEP_1)
	v_lshl_or_b32 v0, v3, 21, v0
                                        ; implicit-def: $vgpr3
	v_add_nc_u32_e32 v0, 0x38000000, v0
.LBB6_8546:                             ;   in Loop: Header=BB6_8046 Depth=2
	s_and_not1_saveexec_b32 s26, s26
; %bb.8547:                             ;   in Loop: Header=BB6_8046 Depth=2
	v_cmp_lt_i16_e32 vcc_lo, -1, v68
	v_cndmask_b32_e32 v0, 0xff800000, v105, vcc_lo
	v_cmp_eq_u32_e32 vcc_lo, 0, v3
	s_delay_alu instid0(VALU_DEP_2)
	v_cndmask_b32_e32 v0, 0x7f800001, v0, vcc_lo
; %bb.8548:                             ;   in Loop: Header=BB6_8046 Depth=2
	s_or_b32 exec_lo, exec_lo, s26
.LBB6_8549:                             ;   in Loop: Header=BB6_8046 Depth=2
	s_delay_alu instid0(SALU_CYCLE_1)
	s_or_b32 exec_lo, exec_lo, s25
.LBB6_8550:                             ;   in Loop: Header=BB6_8046 Depth=2
	s_delay_alu instid0(SALU_CYCLE_1) | instskip(NEXT) | instid1(VALU_DEP_1)
	s_or_b32 exec_lo, exec_lo, s7
	v_mul_f32_e32 v0, v1, v0
	v_mov_b32_e32 v7, v5
                                        ; implicit-def: $vgpr23
	s_mov_b32 s7, exec_lo
	s_delay_alu instid0(VALU_DEP_2) | instskip(SKIP_1) | instid1(VALU_DEP_2)
	v_and_b32_e32 v6, 0x7f800000, v0
	v_and_b32_e32 v4, 0x7fffff, v0
	v_cmpx_ne_u64_e32 0x7f800000, v[6:7]
	s_xor_b32 s25, exec_lo, s7
	s_cbranch_execz .LBB6_8568
; %bb.8551:                             ;   in Loop: Header=BB6_8046 Depth=2
	v_dual_mov_b32 v7, v5 :: v_dual_lshrrev_b32 v1, 24, v0
	v_and_b32_e32 v6, 0x7fffffff, v0
                                        ; implicit-def: $vgpr23
	s_mov_b32 s7, exec_lo
	s_delay_alu instid0(VALU_DEP_2) | instskip(NEXT) | instid1(VALU_DEP_2)
	v_and_b32_e32 v3, 0x80, v1
	v_cmpx_gt_u64_e32 0x47600001, v[6:7]
	s_xor_b32 s26, exec_lo, s7
	s_cbranch_execz .LBB6_8565
; %bb.8552:                             ;   in Loop: Header=BB6_8046 Depth=2
	v_mov_b32_e32 v23, 0
	s_mov_b32 s27, exec_lo
	v_cmpx_ne_u32_e32 0, v0
	s_cbranch_execz .LBB6_8564
; %bb.8553:                             ;   in Loop: Header=BB6_8046 Depth=2
	v_bfe_u32 v23, v0, 23, 8
	v_or_b32_e32 v6, 0x800000, v4
	s_mov_b32 s28, exec_lo
	s_delay_alu instid0(VALU_DEP_2) | instskip(SKIP_1) | instid1(VALU_DEP_2)
	v_dual_mov_b32 v7, v5 :: v_dual_sub_nc_u32 v0, 0x71, v23
	v_cmp_gt_u32_e32 vcc_lo, 0x72, v23
	v_cndmask_b32_e32 v0, 0, v0, vcc_lo
	v_cmp_eq_u32_e32 vcc_lo, 0, v23
	s_delay_alu instid0(VALU_DEP_2) | instskip(NEXT) | instid1(VALU_DEP_1)
	v_cndmask_b32_e64 v25, v0, 0x70, vcc_lo
	v_dual_cndmask_b32 v6, v6, v4, vcc_lo :: v_dual_add_nc_u32 v0, 21, v25
	v_add_nc_u32_e32 v26, 20, v25
	s_delay_alu instid0(VALU_DEP_2) | instskip(NEXT) | instid1(VALU_DEP_2)
	v_lshlrev_b64_e64 v[0:1], v0, -1
	v_lshlrev_b64_e64 v[26:27], v26, 1
	s_delay_alu instid0(VALU_DEP_2) | instskip(NEXT) | instid1(VALU_DEP_3)
	v_bfi_b32 v53, v1, 0, 0
	v_bfi_b32 v52, v0, 0, v6
	v_lshrrev_b64 v[0:1], v25, v[6:7]
	s_delay_alu instid0(VALU_DEP_1) | instskip(NEXT) | instid1(VALU_DEP_3)
	v_mov_b64_e32 v[6:7], v[0:1]
	v_cmpx_eq_u64_e64 v[52:53], v[26:27]
; %bb.8554:                             ;   in Loop: Header=BB6_8046 Depth=2
	v_bfe_u32 v6, v0, 21, 1
	v_mov_b32_e32 v7, v5
	s_delay_alu instid0(VALU_DEP_1) | instskip(NEXT) | instid1(VALU_DEP_1)
	v_add_nc_u64_e32 v[6:7], v[0:1], v[6:7]
	v_add_nc_u64_e32 v[6:7], -1, v[6:7]
; %bb.8555:                             ;   in Loop: Header=BB6_8046 Depth=2
	s_or_b32 exec_lo, exec_lo, s28
	v_add_nc_u32_e32 v1, 0xffffff81, v23
	v_lshrrev_b32_e32 v4, 23, v0
	s_delay_alu instid0(VALU_DEP_3) | instskip(SKIP_1) | instid1(VALU_DEP_3)
	v_and_b32_e32 v6, 0x1fffff, v6
	s_mov_b32 s7, exec_lo
	v_cndmask_b32_e64 v1, v1, 0xffffff82, vcc_lo
	s_delay_alu instid0(VALU_DEP_1) | instskip(NEXT) | instid1(VALU_DEP_3)
	v_add3_u32 v7, v25, v1, v4
	v_add_nc_u32_e32 v4, v6, v0
                                        ; implicit-def: $vgpr0_vgpr1
                                        ; implicit-def: $vgpr6
	s_delay_alu instid0(VALU_DEP_2) | instskip(NEXT) | instid1(VALU_DEP_1)
	v_add_nc_u32_e32 v23, 14, v7
	v_cmpx_ne_u32_e32 0, v23
	s_xor_b32 s7, exec_lo, s7
; %bb.8556:                             ;   in Loop: Header=BB6_8046 Depth=2
	s_delay_alu instid0(VALU_DEP_3) | instskip(SKIP_1) | instid1(VALU_DEP_1)
	v_cmp_lt_u64_e32 vcc_lo, 0xffffff, v[4:5]
	v_add_nc_u32_e32 v0, 15, v7
	v_cndmask_b32_e32 v6, v23, v0, vcc_lo
	v_cndmask_b32_e64 v0, 0, 1, vcc_lo
	s_delay_alu instid0(VALU_DEP_1)
	v_lshrrev_b64 v[0:1], v0, v[4:5]
; %bb.8557:                             ;   in Loop: Header=BB6_8046 Depth=2
	s_and_not1_saveexec_b32 s7, s7
; %bb.8558:                             ;   in Loop: Header=BB6_8046 Depth=2
	v_mov_b64_e32 v[0:1], v[4:5]
	v_bfe_u32 v6, v4, 23, 1
; %bb.8559:                             ;   in Loop: Header=BB6_8046 Depth=2
	s_or_b32 exec_lo, exec_lo, s7
	s_delay_alu instid0(VALU_DEP_2) | instskip(NEXT) | instid1(VALU_DEP_2)
	v_lshrrev_b64 v[0:1], 21, v[0:1]
	v_cmp_gt_i32_e32 vcc_lo, 32, v6
	v_cmp_ne_u32_e64 s7, 0, v6
                                        ; implicit-def: $vgpr23
	s_delay_alu instid0(VALU_DEP_3) | instskip(NEXT) | instid1(VALU_DEP_1)
	v_dual_cndmask_b32 v1, 0, v1 :: v_dual_cndmask_b32 v0, 3, v0
	v_cmp_ne_u64_e32 vcc_lo, 0, v[0:1]
	s_or_b32 s7, s7, vcc_lo
	s_delay_alu instid0(SALU_CYCLE_1) | instskip(NEXT) | instid1(SALU_CYCLE_1)
	s_and_saveexec_b32 s28, s7
	s_xor_b32 s7, exec_lo, s28
; %bb.8560:                             ;   in Loop: Header=BB6_8046 Depth=2
	v_min_i32_e32 v1, 31, v6
	s_delay_alu instid0(VALU_DEP_1) | instskip(NEXT) | instid1(VALU_DEP_1)
	v_lshl_or_b32 v1, v1, 2, v3
                                        ; implicit-def: $vgpr3
	v_and_or_b32 v23, v0, 3, v1
; %bb.8561:                             ;   in Loop: Header=BB6_8046 Depth=2
	s_and_not1_saveexec_b32 s7, s7
; %bb.8562:                             ;   in Loop: Header=BB6_8046 Depth=2
	v_mov_b32_e32 v23, v3
; %bb.8563:                             ;   in Loop: Header=BB6_8046 Depth=2
	s_or_b32 exec_lo, exec_lo, s7
.LBB6_8564:                             ;   in Loop: Header=BB6_8046 Depth=2
	s_delay_alu instid0(SALU_CYCLE_1)
	s_or_b32 exec_lo, exec_lo, s27
                                        ; implicit-def: $vgpr3
.LBB6_8565:                             ;   in Loop: Header=BB6_8046 Depth=2
	s_and_not1_saveexec_b32 s7, s26
; %bb.8566:                             ;   in Loop: Header=BB6_8046 Depth=2
	v_or_b32_e32 v23, 0x7b, v3
; %bb.8567:                             ;   in Loop: Header=BB6_8046 Depth=2
	s_or_b32 exec_lo, exec_lo, s7
                                        ; implicit-def: $vgpr0
.LBB6_8568:                             ;   in Loop: Header=BB6_8046 Depth=2
	s_and_not1_saveexec_b32 s7, s25
	s_cbranch_execz .LBB6_8574
; %bb.8569:                             ;   in Loop: Header=BB6_8046 Depth=2
	s_mov_b32 s25, exec_lo
                                        ; implicit-def: $vgpr23
	v_cmpx_ne_u64_e32 0, v[4:5]
	s_xor_b32 s25, exec_lo, s25
; %bb.8570:                             ;   in Loop: Header=BB6_8046 Depth=2
	v_lshrrev_b32_e32 v0, 24, v0
	s_delay_alu instid0(VALU_DEP_1)
	v_or_b32_e32 v23, 0x7f, v0
                                        ; implicit-def: $vgpr0
; %bb.8571:                             ;   in Loop: Header=BB6_8046 Depth=2
	s_and_not1_saveexec_b32 s25, s25
; %bb.8572:                             ;   in Loop: Header=BB6_8046 Depth=2
	v_cmp_lt_i32_e32 vcc_lo, -1, v0
	v_cndmask_b32_e64 v23, -4, 0x7c, vcc_lo
; %bb.8573:                             ;   in Loop: Header=BB6_8046 Depth=2
	s_or_b32 exec_lo, exec_lo, s25
.LBB6_8574:                             ;   in Loop: Header=BB6_8046 Depth=2
	s_delay_alu instid0(SALU_CYCLE_1)
	s_or_b32 exec_lo, exec_lo, s7
	v_dual_mov_b32 v0, 0 :: v_dual_mov_b32 v1, 0
	s_mov_b32 s7, exec_lo
	v_cmpx_ne_u16_e32 0, v122
	s_cbranch_execz .LBB6_8584
; %bb.8575:                             ;   in Loop: Header=BB6_8046 Depth=2
	v_bfrev_b32_e32 v1, 1
	s_mov_b32 s25, exec_lo
	v_cmpx_ne_u16_e32 0xff80, v122
	s_cbranch_execz .LBB6_8583
; %bb.8576:                             ;   in Loop: Header=BB6_8046 Depth=2
	v_and_b32_e32 v1, 0x7c, v122
	v_and_b32_e32 v3, 3, v122
	s_delay_alu instid0(VALU_DEP_2) | instskip(SKIP_1) | instid1(SALU_CYCLE_1)
	v_cmp_ne_u32_e32 vcc_lo, 0x7c, v1
                                        ; implicit-def: $vgpr1
	s_and_saveexec_b32 s26, vcc_lo
	s_xor_b32 s26, exec_lo, s26
	s_cbranch_execz .LBB6_8580
; %bb.8577:                             ;   in Loop: Header=BB6_8046 Depth=2
	v_and_b32_e32 v1, 0xff, v122
	s_mov_b32 s27, exec_lo
	s_delay_alu instid0(VALU_DEP_1) | instskip(NEXT) | instid1(VALU_DEP_1)
	v_bfe_u32 v1, v1, 2, 5
	v_cmpx_eq_u32_e32 0, v1
	s_cbranch_execz .LBB6_8579
; %bb.8578:                             ;   in Loop: Header=BB6_8046 Depth=2
	v_clz_i32_u32_e32 v1, v3
	s_delay_alu instid0(VALU_DEP_1) | instskip(SKIP_1) | instid1(VALU_DEP_2)
	v_min_u32_e32 v1, 32, v1
	v_mov_b32_e32 v123, v5
	v_subrev_nc_u32_e32 v3, 29, v1
	v_sub_nc_u32_e32 v1, 30, v1
	s_delay_alu instid0(VALU_DEP_2) | instskip(NEXT) | instid1(VALU_DEP_1)
	v_lshlrev_b64_e32 v[6:7], v3, v[122:123]
	v_and_b32_e32 v3, 3, v6
.LBB6_8579:                             ;   in Loop: Header=BB6_8046 Depth=2
	s_or_b32 exec_lo, exec_lo, s27
	v_bfe_i32 v4, v122, 0, 16
                                        ; implicit-def: $vgpr122
	s_delay_alu instid0(VALU_DEP_1) | instskip(NEXT) | instid1(VALU_DEP_1)
	v_and_b32_e32 v4, 0x80000000, v4
	v_lshl_add_u32 v1, v1, 23, v4
	s_delay_alu instid0(VALU_DEP_1) | instskip(NEXT) | instid1(VALU_DEP_1)
	v_lshl_or_b32 v1, v3, 21, v1
                                        ; implicit-def: $vgpr3
	v_add_nc_u32_e32 v1, 0x38000000, v1
.LBB6_8580:                             ;   in Loop: Header=BB6_8046 Depth=2
	s_and_not1_saveexec_b32 s26, s26
; %bb.8581:                             ;   in Loop: Header=BB6_8046 Depth=2
	v_cmp_lt_i16_e32 vcc_lo, -1, v122
	v_cndmask_b32_e32 v1, 0xff800000, v105, vcc_lo
	v_cmp_eq_u32_e32 vcc_lo, 0, v3
	s_delay_alu instid0(VALU_DEP_2)
	v_cndmask_b32_e32 v1, 0x7f800001, v1, vcc_lo
; %bb.8582:                             ;   in Loop: Header=BB6_8046 Depth=2
	s_or_b32 exec_lo, exec_lo, s26
.LBB6_8583:                             ;   in Loop: Header=BB6_8046 Depth=2
	s_delay_alu instid0(SALU_CYCLE_1)
	s_or_b32 exec_lo, exec_lo, s25
.LBB6_8584:                             ;   in Loop: Header=BB6_8046 Depth=2
	s_delay_alu instid0(SALU_CYCLE_1) | instskip(NEXT) | instid1(SALU_CYCLE_1)
	s_or_b32 exec_lo, exec_lo, s7
	s_mov_b32 s7, exec_lo
	v_cmpx_ne_u16_e32 0, v66
	s_cbranch_execz .LBB6_8594
; %bb.8585:                             ;   in Loop: Header=BB6_8046 Depth=2
	v_bfrev_b32_e32 v0, 1
	s_mov_b32 s25, exec_lo
	v_cmpx_ne_u16_e32 0xff80, v66
	s_cbranch_execz .LBB6_8593
; %bb.8586:                             ;   in Loop: Header=BB6_8046 Depth=2
	v_and_b32_e32 v0, 0x7c, v66
	v_and_b32_e32 v3, 3, v66
	s_delay_alu instid0(VALU_DEP_2) | instskip(SKIP_1) | instid1(SALU_CYCLE_1)
	v_cmp_ne_u32_e32 vcc_lo, 0x7c, v0
                                        ; implicit-def: $vgpr0
	s_and_saveexec_b32 s26, vcc_lo
	s_xor_b32 s26, exec_lo, s26
	s_cbranch_execz .LBB6_8590
; %bb.8587:                             ;   in Loop: Header=BB6_8046 Depth=2
	v_and_b32_e32 v0, 0xff, v66
	s_mov_b32 s27, exec_lo
	s_delay_alu instid0(VALU_DEP_1) | instskip(NEXT) | instid1(VALU_DEP_1)
	v_bfe_u32 v0, v0, 2, 5
	v_cmpx_eq_u32_e32 0, v0
	s_cbranch_execz .LBB6_8589
; %bb.8588:                             ;   in Loop: Header=BB6_8046 Depth=2
	v_clz_i32_u32_e32 v0, v3
	s_delay_alu instid0(VALU_DEP_1) | instskip(SKIP_1) | instid1(VALU_DEP_2)
	v_min_u32_e32 v0, 32, v0
	v_mov_b32_e32 v67, v5
	v_subrev_nc_u32_e32 v3, 29, v0
	v_sub_nc_u32_e32 v0, 30, v0
	s_delay_alu instid0(VALU_DEP_2) | instskip(NEXT) | instid1(VALU_DEP_1)
	v_lshlrev_b64_e32 v[6:7], v3, v[66:67]
	v_and_b32_e32 v3, 3, v6
.LBB6_8589:                             ;   in Loop: Header=BB6_8046 Depth=2
	s_or_b32 exec_lo, exec_lo, s27
	v_bfe_i32 v4, v66, 0, 16
                                        ; implicit-def: $vgpr66
	s_delay_alu instid0(VALU_DEP_1) | instskip(NEXT) | instid1(VALU_DEP_1)
	v_and_b32_e32 v4, 0x80000000, v4
	v_lshl_add_u32 v0, v0, 23, v4
	s_delay_alu instid0(VALU_DEP_1) | instskip(NEXT) | instid1(VALU_DEP_1)
	v_lshl_or_b32 v0, v3, 21, v0
                                        ; implicit-def: $vgpr3
	v_add_nc_u32_e32 v0, 0x38000000, v0
.LBB6_8590:                             ;   in Loop: Header=BB6_8046 Depth=2
	s_and_not1_saveexec_b32 s26, s26
; %bb.8591:                             ;   in Loop: Header=BB6_8046 Depth=2
	v_cmp_lt_i16_e32 vcc_lo, -1, v66
	v_cndmask_b32_e32 v0, 0xff800000, v105, vcc_lo
	v_cmp_eq_u32_e32 vcc_lo, 0, v3
	s_delay_alu instid0(VALU_DEP_2)
	v_cndmask_b32_e32 v0, 0x7f800001, v0, vcc_lo
; %bb.8592:                             ;   in Loop: Header=BB6_8046 Depth=2
	s_or_b32 exec_lo, exec_lo, s26
.LBB6_8593:                             ;   in Loop: Header=BB6_8046 Depth=2
	s_delay_alu instid0(SALU_CYCLE_1)
	s_or_b32 exec_lo, exec_lo, s25
.LBB6_8594:                             ;   in Loop: Header=BB6_8046 Depth=2
	s_delay_alu instid0(SALU_CYCLE_1) | instskip(NEXT) | instid1(VALU_DEP_1)
	s_or_b32 exec_lo, exec_lo, s7
	v_mul_f32_e32 v0, v1, v0
	v_mov_b32_e32 v7, v5
                                        ; implicit-def: $vgpr25
	s_mov_b32 s7, exec_lo
	s_delay_alu instid0(VALU_DEP_2) | instskip(SKIP_1) | instid1(VALU_DEP_2)
	v_and_b32_e32 v6, 0x7f800000, v0
	v_and_b32_e32 v4, 0x7fffff, v0
	v_cmpx_ne_u64_e32 0x7f800000, v[6:7]
	s_xor_b32 s25, exec_lo, s7
	s_cbranch_execz .LBB6_8612
; %bb.8595:                             ;   in Loop: Header=BB6_8046 Depth=2
	v_dual_mov_b32 v7, v5 :: v_dual_lshrrev_b32 v1, 24, v0
	v_and_b32_e32 v6, 0x7fffffff, v0
                                        ; implicit-def: $vgpr25
	s_mov_b32 s7, exec_lo
	s_delay_alu instid0(VALU_DEP_2) | instskip(NEXT) | instid1(VALU_DEP_2)
	v_and_b32_e32 v3, 0x80, v1
	v_cmpx_gt_u64_e32 0x47600001, v[6:7]
	s_xor_b32 s26, exec_lo, s7
	s_cbranch_execz .LBB6_8609
; %bb.8596:                             ;   in Loop: Header=BB6_8046 Depth=2
	v_mov_b32_e32 v25, 0
	s_mov_b32 s27, exec_lo
	v_cmpx_ne_u32_e32 0, v0
	s_cbranch_execz .LBB6_8608
; %bb.8597:                             ;   in Loop: Header=BB6_8046 Depth=2
	v_bfe_u32 v25, v0, 23, 8
	v_or_b32_e32 v6, 0x800000, v4
	s_mov_b32 s28, exec_lo
	s_delay_alu instid0(VALU_DEP_2) | instskip(SKIP_1) | instid1(VALU_DEP_2)
	v_dual_mov_b32 v7, v5 :: v_dual_sub_nc_u32 v0, 0x71, v25
	v_cmp_gt_u32_e32 vcc_lo, 0x72, v25
	v_cndmask_b32_e32 v0, 0, v0, vcc_lo
	v_cmp_eq_u32_e32 vcc_lo, 0, v25
	s_delay_alu instid0(VALU_DEP_2) | instskip(NEXT) | instid1(VALU_DEP_1)
	v_cndmask_b32_e64 v27, v0, 0x70, vcc_lo
	v_dual_cndmask_b32 v6, v6, v4, vcc_lo :: v_dual_add_nc_u32 v0, 21, v27
	v_add_nc_u32_e32 v26, 20, v27
	s_delay_alu instid0(VALU_DEP_2) | instskip(NEXT) | instid1(VALU_DEP_2)
	v_lshlrev_b64_e64 v[0:1], v0, -1
	v_lshlrev_b64_e64 v[52:53], v26, 1
	s_delay_alu instid0(VALU_DEP_2) | instskip(NEXT) | instid1(VALU_DEP_3)
	v_bfi_b32 v65, v1, 0, 0
	v_bfi_b32 v64, v0, 0, v6
	v_lshrrev_b64 v[0:1], v27, v[6:7]
	s_delay_alu instid0(VALU_DEP_1) | instskip(NEXT) | instid1(VALU_DEP_3)
	v_mov_b64_e32 v[6:7], v[0:1]
	v_cmpx_eq_u64_e64 v[64:65], v[52:53]
; %bb.8598:                             ;   in Loop: Header=BB6_8046 Depth=2
	v_bfe_u32 v6, v0, 21, 1
	v_mov_b32_e32 v7, v5
	s_delay_alu instid0(VALU_DEP_1) | instskip(NEXT) | instid1(VALU_DEP_1)
	v_add_nc_u64_e32 v[6:7], v[0:1], v[6:7]
	v_add_nc_u64_e32 v[6:7], -1, v[6:7]
; %bb.8599:                             ;   in Loop: Header=BB6_8046 Depth=2
	s_or_b32 exec_lo, exec_lo, s28
	v_add_nc_u32_e32 v1, 0xffffff81, v25
	v_lshrrev_b32_e32 v4, 23, v0
	s_delay_alu instid0(VALU_DEP_3) | instskip(SKIP_1) | instid1(VALU_DEP_3)
	v_and_b32_e32 v6, 0x1fffff, v6
	s_mov_b32 s7, exec_lo
	v_cndmask_b32_e64 v1, v1, 0xffffff82, vcc_lo
	s_delay_alu instid0(VALU_DEP_1) | instskip(NEXT) | instid1(VALU_DEP_3)
	v_add3_u32 v7, v27, v1, v4
	v_add_nc_u32_e32 v4, v6, v0
                                        ; implicit-def: $vgpr0_vgpr1
                                        ; implicit-def: $vgpr6
	s_delay_alu instid0(VALU_DEP_2) | instskip(NEXT) | instid1(VALU_DEP_1)
	v_add_nc_u32_e32 v25, 14, v7
	v_cmpx_ne_u32_e32 0, v25
	s_xor_b32 s7, exec_lo, s7
; %bb.8600:                             ;   in Loop: Header=BB6_8046 Depth=2
	s_delay_alu instid0(VALU_DEP_3) | instskip(SKIP_1) | instid1(VALU_DEP_1)
	v_cmp_lt_u64_e32 vcc_lo, 0xffffff, v[4:5]
	v_add_nc_u32_e32 v0, 15, v7
	v_cndmask_b32_e32 v6, v25, v0, vcc_lo
	v_cndmask_b32_e64 v0, 0, 1, vcc_lo
	s_delay_alu instid0(VALU_DEP_1)
	v_lshrrev_b64 v[0:1], v0, v[4:5]
; %bb.8601:                             ;   in Loop: Header=BB6_8046 Depth=2
	s_and_not1_saveexec_b32 s7, s7
; %bb.8602:                             ;   in Loop: Header=BB6_8046 Depth=2
	v_mov_b64_e32 v[0:1], v[4:5]
	v_bfe_u32 v6, v4, 23, 1
; %bb.8603:                             ;   in Loop: Header=BB6_8046 Depth=2
	s_or_b32 exec_lo, exec_lo, s7
	s_delay_alu instid0(VALU_DEP_2) | instskip(NEXT) | instid1(VALU_DEP_2)
	v_lshrrev_b64 v[0:1], 21, v[0:1]
	v_cmp_gt_i32_e32 vcc_lo, 32, v6
	v_cmp_ne_u32_e64 s7, 0, v6
                                        ; implicit-def: $vgpr25
	s_delay_alu instid0(VALU_DEP_3) | instskip(NEXT) | instid1(VALU_DEP_1)
	v_dual_cndmask_b32 v1, 0, v1 :: v_dual_cndmask_b32 v0, 3, v0
	v_cmp_ne_u64_e32 vcc_lo, 0, v[0:1]
	s_or_b32 s7, s7, vcc_lo
	s_delay_alu instid0(SALU_CYCLE_1) | instskip(NEXT) | instid1(SALU_CYCLE_1)
	s_and_saveexec_b32 s28, s7
	s_xor_b32 s7, exec_lo, s28
; %bb.8604:                             ;   in Loop: Header=BB6_8046 Depth=2
	v_min_i32_e32 v1, 31, v6
	s_delay_alu instid0(VALU_DEP_1) | instskip(NEXT) | instid1(VALU_DEP_1)
	v_lshl_or_b32 v1, v1, 2, v3
                                        ; implicit-def: $vgpr3
	v_and_or_b32 v25, v0, 3, v1
; %bb.8605:                             ;   in Loop: Header=BB6_8046 Depth=2
	s_and_not1_saveexec_b32 s7, s7
; %bb.8606:                             ;   in Loop: Header=BB6_8046 Depth=2
	v_mov_b32_e32 v25, v3
; %bb.8607:                             ;   in Loop: Header=BB6_8046 Depth=2
	s_or_b32 exec_lo, exec_lo, s7
.LBB6_8608:                             ;   in Loop: Header=BB6_8046 Depth=2
	s_delay_alu instid0(SALU_CYCLE_1)
	s_or_b32 exec_lo, exec_lo, s27
                                        ; implicit-def: $vgpr3
.LBB6_8609:                             ;   in Loop: Header=BB6_8046 Depth=2
	s_and_not1_saveexec_b32 s7, s26
; %bb.8610:                             ;   in Loop: Header=BB6_8046 Depth=2
	v_or_b32_e32 v25, 0x7b, v3
; %bb.8611:                             ;   in Loop: Header=BB6_8046 Depth=2
	s_or_b32 exec_lo, exec_lo, s7
                                        ; implicit-def: $vgpr0
.LBB6_8612:                             ;   in Loop: Header=BB6_8046 Depth=2
	s_and_not1_saveexec_b32 s7, s25
	s_cbranch_execz .LBB6_8618
; %bb.8613:                             ;   in Loop: Header=BB6_8046 Depth=2
	s_mov_b32 s25, exec_lo
                                        ; implicit-def: $vgpr25
	v_cmpx_ne_u64_e32 0, v[4:5]
	s_xor_b32 s25, exec_lo, s25
; %bb.8614:                             ;   in Loop: Header=BB6_8046 Depth=2
	v_lshrrev_b32_e32 v0, 24, v0
	s_delay_alu instid0(VALU_DEP_1)
	v_or_b32_e32 v25, 0x7f, v0
                                        ; implicit-def: $vgpr0
; %bb.8615:                             ;   in Loop: Header=BB6_8046 Depth=2
	s_and_not1_saveexec_b32 s25, s25
; %bb.8616:                             ;   in Loop: Header=BB6_8046 Depth=2
	v_cmp_lt_i32_e32 vcc_lo, -1, v0
	v_cndmask_b32_e64 v25, -4, 0x7c, vcc_lo
; %bb.8617:                             ;   in Loop: Header=BB6_8046 Depth=2
	s_or_b32 exec_lo, exec_lo, s25
.LBB6_8618:                             ;   in Loop: Header=BB6_8046 Depth=2
	s_delay_alu instid0(SALU_CYCLE_1)
	s_or_b32 exec_lo, exec_lo, s7
	v_dual_mov_b32 v0, 0 :: v_dual_mov_b32 v1, 0
	s_mov_b32 s7, exec_lo
	v_cmpx_ne_u16_e32 0, v30
	s_cbranch_execz .LBB6_8628
; %bb.8619:                             ;   in Loop: Header=BB6_8046 Depth=2
	v_bfrev_b32_e32 v1, 1
	s_mov_b32 s25, exec_lo
	v_cmpx_ne_u16_e32 0xff80, v30
	s_cbranch_execz .LBB6_8627
; %bb.8620:                             ;   in Loop: Header=BB6_8046 Depth=2
	v_and_b32_e32 v1, 0x7c, v30
	v_and_b32_e32 v3, 3, v30
	s_delay_alu instid0(VALU_DEP_2) | instskip(SKIP_1) | instid1(SALU_CYCLE_1)
	v_cmp_ne_u32_e32 vcc_lo, 0x7c, v1
                                        ; implicit-def: $vgpr1
	s_and_saveexec_b32 s26, vcc_lo
	s_xor_b32 s26, exec_lo, s26
	s_cbranch_execz .LBB6_8624
; %bb.8621:                             ;   in Loop: Header=BB6_8046 Depth=2
	v_and_b32_e32 v1, 0xff, v30
	s_mov_b32 s27, exec_lo
	s_delay_alu instid0(VALU_DEP_1) | instskip(NEXT) | instid1(VALU_DEP_1)
	v_bfe_u32 v1, v1, 2, 5
	v_cmpx_eq_u32_e32 0, v1
	s_cbranch_execz .LBB6_8623
; %bb.8622:                             ;   in Loop: Header=BB6_8046 Depth=2
	v_clz_i32_u32_e32 v1, v3
	s_delay_alu instid0(VALU_DEP_1) | instskip(SKIP_1) | instid1(VALU_DEP_2)
	v_min_u32_e32 v1, 32, v1
	v_mov_b32_e32 v31, v5
	v_subrev_nc_u32_e32 v3, 29, v1
	v_sub_nc_u32_e32 v1, 30, v1
	s_delay_alu instid0(VALU_DEP_2) | instskip(NEXT) | instid1(VALU_DEP_1)
	v_lshlrev_b64_e32 v[6:7], v3, v[30:31]
	v_and_b32_e32 v3, 3, v6
.LBB6_8623:                             ;   in Loop: Header=BB6_8046 Depth=2
	s_or_b32 exec_lo, exec_lo, s27
	v_bfe_i32 v4, v30, 0, 16
                                        ; implicit-def: $vgpr30
	s_delay_alu instid0(VALU_DEP_1) | instskip(NEXT) | instid1(VALU_DEP_1)
	v_and_b32_e32 v4, 0x80000000, v4
	v_lshl_add_u32 v1, v1, 23, v4
	s_delay_alu instid0(VALU_DEP_1) | instskip(NEXT) | instid1(VALU_DEP_1)
	v_lshl_or_b32 v1, v3, 21, v1
                                        ; implicit-def: $vgpr3
	v_add_nc_u32_e32 v1, 0x38000000, v1
.LBB6_8624:                             ;   in Loop: Header=BB6_8046 Depth=2
	s_and_not1_saveexec_b32 s26, s26
; %bb.8625:                             ;   in Loop: Header=BB6_8046 Depth=2
	v_cmp_lt_i16_e32 vcc_lo, -1, v30
	v_cndmask_b32_e32 v1, 0xff800000, v105, vcc_lo
	v_cmp_eq_u32_e32 vcc_lo, 0, v3
	s_delay_alu instid0(VALU_DEP_2)
	v_cndmask_b32_e32 v1, 0x7f800001, v1, vcc_lo
; %bb.8626:                             ;   in Loop: Header=BB6_8046 Depth=2
	s_or_b32 exec_lo, exec_lo, s26
.LBB6_8627:                             ;   in Loop: Header=BB6_8046 Depth=2
	s_delay_alu instid0(SALU_CYCLE_1)
	s_or_b32 exec_lo, exec_lo, s25
.LBB6_8628:                             ;   in Loop: Header=BB6_8046 Depth=2
	s_delay_alu instid0(SALU_CYCLE_1) | instskip(NEXT) | instid1(SALU_CYCLE_1)
	s_or_b32 exec_lo, exec_lo, s7
	s_mov_b32 s7, exec_lo
	v_cmpx_ne_u16_e32 0, v120
	s_cbranch_execz .LBB6_8638
; %bb.8629:                             ;   in Loop: Header=BB6_8046 Depth=2
	v_bfrev_b32_e32 v0, 1
	s_mov_b32 s25, exec_lo
	v_cmpx_ne_u16_e32 0xff80, v120
	s_cbranch_execz .LBB6_8637
; %bb.8630:                             ;   in Loop: Header=BB6_8046 Depth=2
	v_and_b32_e32 v0, 0x7c, v120
	v_and_b32_e32 v3, 3, v120
	s_delay_alu instid0(VALU_DEP_2) | instskip(SKIP_1) | instid1(SALU_CYCLE_1)
	v_cmp_ne_u32_e32 vcc_lo, 0x7c, v0
                                        ; implicit-def: $vgpr0
	s_and_saveexec_b32 s26, vcc_lo
	s_xor_b32 s26, exec_lo, s26
	s_cbranch_execz .LBB6_8634
; %bb.8631:                             ;   in Loop: Header=BB6_8046 Depth=2
	v_and_b32_e32 v0, 0xff, v120
	s_mov_b32 s27, exec_lo
	s_delay_alu instid0(VALU_DEP_1) | instskip(NEXT) | instid1(VALU_DEP_1)
	v_bfe_u32 v0, v0, 2, 5
	v_cmpx_eq_u32_e32 0, v0
	s_cbranch_execz .LBB6_8633
; %bb.8632:                             ;   in Loop: Header=BB6_8046 Depth=2
	v_clz_i32_u32_e32 v0, v3
	s_delay_alu instid0(VALU_DEP_1) | instskip(SKIP_1) | instid1(VALU_DEP_2)
	v_min_u32_e32 v0, 32, v0
	v_mov_b32_e32 v121, v5
	v_subrev_nc_u32_e32 v3, 29, v0
	v_sub_nc_u32_e32 v0, 30, v0
	s_delay_alu instid0(VALU_DEP_2) | instskip(NEXT) | instid1(VALU_DEP_1)
	v_lshlrev_b64_e32 v[6:7], v3, v[120:121]
	v_and_b32_e32 v3, 3, v6
.LBB6_8633:                             ;   in Loop: Header=BB6_8046 Depth=2
	s_or_b32 exec_lo, exec_lo, s27
	v_bfe_i32 v4, v120, 0, 16
                                        ; implicit-def: $vgpr120
	s_delay_alu instid0(VALU_DEP_1) | instskip(NEXT) | instid1(VALU_DEP_1)
	v_and_b32_e32 v4, 0x80000000, v4
	v_lshl_add_u32 v0, v0, 23, v4
	s_delay_alu instid0(VALU_DEP_1) | instskip(NEXT) | instid1(VALU_DEP_1)
	v_lshl_or_b32 v0, v3, 21, v0
                                        ; implicit-def: $vgpr3
	v_add_nc_u32_e32 v0, 0x38000000, v0
.LBB6_8634:                             ;   in Loop: Header=BB6_8046 Depth=2
	s_and_not1_saveexec_b32 s26, s26
; %bb.8635:                             ;   in Loop: Header=BB6_8046 Depth=2
	v_cmp_lt_i16_e32 vcc_lo, -1, v120
	v_cndmask_b32_e32 v0, 0xff800000, v105, vcc_lo
	v_cmp_eq_u32_e32 vcc_lo, 0, v3
	s_delay_alu instid0(VALU_DEP_2)
	v_cndmask_b32_e32 v0, 0x7f800001, v0, vcc_lo
; %bb.8636:                             ;   in Loop: Header=BB6_8046 Depth=2
	s_or_b32 exec_lo, exec_lo, s26
.LBB6_8637:                             ;   in Loop: Header=BB6_8046 Depth=2
	s_delay_alu instid0(SALU_CYCLE_1)
	s_or_b32 exec_lo, exec_lo, s25
.LBB6_8638:                             ;   in Loop: Header=BB6_8046 Depth=2
	s_delay_alu instid0(SALU_CYCLE_1) | instskip(NEXT) | instid1(VALU_DEP_1)
	s_or_b32 exec_lo, exec_lo, s7
	v_mul_f32_e32 v0, v1, v0
	v_mov_b32_e32 v7, v5
                                        ; implicit-def: $vgpr30
	s_mov_b32 s7, exec_lo
	s_delay_alu instid0(VALU_DEP_2) | instskip(SKIP_1) | instid1(VALU_DEP_2)
	v_and_b32_e32 v6, 0x7f800000, v0
	v_and_b32_e32 v4, 0x7fffff, v0
	v_cmpx_ne_u64_e32 0x7f800000, v[6:7]
	s_xor_b32 s25, exec_lo, s7
	s_cbranch_execz .LBB6_8656
; %bb.8639:                             ;   in Loop: Header=BB6_8046 Depth=2
	v_dual_mov_b32 v7, v5 :: v_dual_lshrrev_b32 v1, 24, v0
	v_and_b32_e32 v6, 0x7fffffff, v0
                                        ; implicit-def: $vgpr30
	s_mov_b32 s7, exec_lo
	s_delay_alu instid0(VALU_DEP_2) | instskip(NEXT) | instid1(VALU_DEP_2)
	v_and_b32_e32 v3, 0x80, v1
	v_cmpx_gt_u64_e32 0x47600001, v[6:7]
	s_xor_b32 s26, exec_lo, s7
	s_cbranch_execz .LBB6_8653
; %bb.8640:                             ;   in Loop: Header=BB6_8046 Depth=2
	v_mov_b32_e32 v30, 0
	s_mov_b32 s27, exec_lo
	v_cmpx_ne_u32_e32 0, v0
	s_cbranch_execz .LBB6_8652
; %bb.8641:                             ;   in Loop: Header=BB6_8046 Depth=2
	v_bfe_u32 v27, v0, 23, 8
	v_or_b32_e32 v6, 0x800000, v4
	s_mov_b32 s28, exec_lo
	s_delay_alu instid0(VALU_DEP_2) | instskip(SKIP_1) | instid1(VALU_DEP_2)
	v_dual_mov_b32 v7, v5 :: v_dual_sub_nc_u32 v0, 0x71, v27
	v_cmp_gt_u32_e32 vcc_lo, 0x72, v27
	v_cndmask_b32_e32 v0, 0, v0, vcc_lo
	v_cmp_eq_u32_e32 vcc_lo, 0, v27
	s_delay_alu instid0(VALU_DEP_2) | instskip(NEXT) | instid1(VALU_DEP_1)
	v_cndmask_b32_e64 v29, v0, 0x70, vcc_lo
	v_dual_cndmask_b32 v6, v6, v4, vcc_lo :: v_dual_add_nc_u32 v0, 21, v29
	v_add_nc_u32_e32 v26, 20, v29
	s_delay_alu instid0(VALU_DEP_2) | instskip(NEXT) | instid1(VALU_DEP_2)
	v_lshlrev_b64_e64 v[0:1], v0, -1
	v_lshlrev_b64_e64 v[30:31], v26, 1
	s_delay_alu instid0(VALU_DEP_2) | instskip(NEXT) | instid1(VALU_DEP_3)
	v_bfi_b32 v53, v1, 0, 0
	v_bfi_b32 v52, v0, 0, v6
	v_lshrrev_b64 v[0:1], v29, v[6:7]
	s_delay_alu instid0(VALU_DEP_1) | instskip(NEXT) | instid1(VALU_DEP_3)
	v_mov_b64_e32 v[6:7], v[0:1]
	v_cmpx_eq_u64_e64 v[52:53], v[30:31]
; %bb.8642:                             ;   in Loop: Header=BB6_8046 Depth=2
	v_bfe_u32 v6, v0, 21, 1
	v_mov_b32_e32 v7, v5
	s_delay_alu instid0(VALU_DEP_1) | instskip(NEXT) | instid1(VALU_DEP_1)
	v_add_nc_u64_e32 v[6:7], v[0:1], v[6:7]
	v_add_nc_u64_e32 v[6:7], -1, v[6:7]
; %bb.8643:                             ;   in Loop: Header=BB6_8046 Depth=2
	s_or_b32 exec_lo, exec_lo, s28
	v_add_nc_u32_e32 v1, 0xffffff81, v27
	v_lshrrev_b32_e32 v4, 23, v0
	s_delay_alu instid0(VALU_DEP_3) | instskip(SKIP_1) | instid1(VALU_DEP_3)
	v_and_b32_e32 v6, 0x1fffff, v6
	s_mov_b32 s7, exec_lo
	v_cndmask_b32_e64 v1, v1, 0xffffff82, vcc_lo
	s_delay_alu instid0(VALU_DEP_1) | instskip(NEXT) | instid1(VALU_DEP_3)
	v_add3_u32 v7, v29, v1, v4
	v_add_nc_u32_e32 v4, v6, v0
                                        ; implicit-def: $vgpr0_vgpr1
                                        ; implicit-def: $vgpr6
	s_delay_alu instid0(VALU_DEP_2) | instskip(NEXT) | instid1(VALU_DEP_1)
	v_add_nc_u32_e32 v27, 14, v7
	v_cmpx_ne_u32_e32 0, v27
	s_xor_b32 s7, exec_lo, s7
; %bb.8644:                             ;   in Loop: Header=BB6_8046 Depth=2
	s_delay_alu instid0(VALU_DEP_3) | instskip(SKIP_1) | instid1(VALU_DEP_1)
	v_cmp_lt_u64_e32 vcc_lo, 0xffffff, v[4:5]
	v_add_nc_u32_e32 v0, 15, v7
	v_cndmask_b32_e32 v6, v27, v0, vcc_lo
	v_cndmask_b32_e64 v0, 0, 1, vcc_lo
	s_delay_alu instid0(VALU_DEP_1)
	v_lshrrev_b64 v[0:1], v0, v[4:5]
; %bb.8645:                             ;   in Loop: Header=BB6_8046 Depth=2
	s_and_not1_saveexec_b32 s7, s7
; %bb.8646:                             ;   in Loop: Header=BB6_8046 Depth=2
	v_mov_b64_e32 v[0:1], v[4:5]
	v_bfe_u32 v6, v4, 23, 1
; %bb.8647:                             ;   in Loop: Header=BB6_8046 Depth=2
	s_or_b32 exec_lo, exec_lo, s7
	s_delay_alu instid0(VALU_DEP_2) | instskip(NEXT) | instid1(VALU_DEP_2)
	v_lshrrev_b64 v[0:1], 21, v[0:1]
	v_cmp_gt_i32_e32 vcc_lo, 32, v6
	v_cmp_ne_u32_e64 s7, 0, v6
                                        ; implicit-def: $vgpr30
	s_delay_alu instid0(VALU_DEP_3) | instskip(NEXT) | instid1(VALU_DEP_1)
	v_dual_cndmask_b32 v1, 0, v1 :: v_dual_cndmask_b32 v0, 3, v0
	v_cmp_ne_u64_e32 vcc_lo, 0, v[0:1]
	s_or_b32 s7, s7, vcc_lo
	s_delay_alu instid0(SALU_CYCLE_1) | instskip(NEXT) | instid1(SALU_CYCLE_1)
	s_and_saveexec_b32 s28, s7
	s_xor_b32 s7, exec_lo, s28
; %bb.8648:                             ;   in Loop: Header=BB6_8046 Depth=2
	v_min_i32_e32 v1, 31, v6
	s_delay_alu instid0(VALU_DEP_1) | instskip(NEXT) | instid1(VALU_DEP_1)
	v_lshl_or_b32 v1, v1, 2, v3
                                        ; implicit-def: $vgpr3
	v_and_or_b32 v30, v0, 3, v1
; %bb.8649:                             ;   in Loop: Header=BB6_8046 Depth=2
	s_and_not1_saveexec_b32 s7, s7
; %bb.8650:                             ;   in Loop: Header=BB6_8046 Depth=2
	v_mov_b32_e32 v30, v3
; %bb.8651:                             ;   in Loop: Header=BB6_8046 Depth=2
	s_or_b32 exec_lo, exec_lo, s7
.LBB6_8652:                             ;   in Loop: Header=BB6_8046 Depth=2
	s_delay_alu instid0(SALU_CYCLE_1)
	s_or_b32 exec_lo, exec_lo, s27
                                        ; implicit-def: $vgpr3
.LBB6_8653:                             ;   in Loop: Header=BB6_8046 Depth=2
	s_and_not1_saveexec_b32 s7, s26
; %bb.8654:                             ;   in Loop: Header=BB6_8046 Depth=2
	v_or_b32_e32 v30, 0x7b, v3
; %bb.8655:                             ;   in Loop: Header=BB6_8046 Depth=2
	s_or_b32 exec_lo, exec_lo, s7
                                        ; implicit-def: $vgpr0
.LBB6_8656:                             ;   in Loop: Header=BB6_8046 Depth=2
	s_and_not1_saveexec_b32 s7, s25
	s_cbranch_execz .LBB6_8662
; %bb.8657:                             ;   in Loop: Header=BB6_8046 Depth=2
	s_mov_b32 s25, exec_lo
                                        ; implicit-def: $vgpr30
	v_cmpx_ne_u64_e32 0, v[4:5]
	s_xor_b32 s25, exec_lo, s25
; %bb.8658:                             ;   in Loop: Header=BB6_8046 Depth=2
	v_lshrrev_b32_e32 v0, 24, v0
	s_delay_alu instid0(VALU_DEP_1)
	v_or_b32_e32 v30, 0x7f, v0
                                        ; implicit-def: $vgpr0
; %bb.8659:                             ;   in Loop: Header=BB6_8046 Depth=2
	s_and_not1_saveexec_b32 s25, s25
; %bb.8660:                             ;   in Loop: Header=BB6_8046 Depth=2
	v_cmp_lt_i32_e32 vcc_lo, -1, v0
	v_cndmask_b32_e64 v30, -4, 0x7c, vcc_lo
; %bb.8661:                             ;   in Loop: Header=BB6_8046 Depth=2
	s_or_b32 exec_lo, exec_lo, s25
.LBB6_8662:                             ;   in Loop: Header=BB6_8046 Depth=2
	s_delay_alu instid0(SALU_CYCLE_1)
	s_or_b32 exec_lo, exec_lo, s7
	v_dual_mov_b32 v0, 0 :: v_dual_mov_b32 v1, 0
	s_mov_b32 s7, exec_lo
	v_cmpx_ne_u16_e32 0, v54
	s_cbranch_execz .LBB6_8672
; %bb.8663:                             ;   in Loop: Header=BB6_8046 Depth=2
	v_bfrev_b32_e32 v1, 1
	s_mov_b32 s25, exec_lo
	v_cmpx_ne_u16_e32 0xff80, v54
	s_cbranch_execz .LBB6_8671
; %bb.8664:                             ;   in Loop: Header=BB6_8046 Depth=2
	v_and_b32_e32 v1, 0x7c, v54
	v_and_b32_e32 v3, 3, v54
	s_delay_alu instid0(VALU_DEP_2) | instskip(SKIP_1) | instid1(SALU_CYCLE_1)
	v_cmp_ne_u32_e32 vcc_lo, 0x7c, v1
                                        ; implicit-def: $vgpr1
	s_and_saveexec_b32 s26, vcc_lo
	s_xor_b32 s26, exec_lo, s26
	s_cbranch_execz .LBB6_8668
; %bb.8665:                             ;   in Loop: Header=BB6_8046 Depth=2
	v_and_b32_e32 v1, 0xff, v54
	s_mov_b32 s27, exec_lo
	s_delay_alu instid0(VALU_DEP_1) | instskip(NEXT) | instid1(VALU_DEP_1)
	v_bfe_u32 v1, v1, 2, 5
	v_cmpx_eq_u32_e32 0, v1
	s_cbranch_execz .LBB6_8667
; %bb.8666:                             ;   in Loop: Header=BB6_8046 Depth=2
	v_clz_i32_u32_e32 v1, v3
	s_delay_alu instid0(VALU_DEP_1) | instskip(SKIP_1) | instid1(VALU_DEP_2)
	v_min_u32_e32 v1, 32, v1
	v_mov_b32_e32 v55, v5
	v_subrev_nc_u32_e32 v3, 29, v1
	v_sub_nc_u32_e32 v1, 30, v1
	s_delay_alu instid0(VALU_DEP_2) | instskip(NEXT) | instid1(VALU_DEP_1)
	v_lshlrev_b64_e32 v[6:7], v3, v[54:55]
	v_and_b32_e32 v3, 3, v6
.LBB6_8667:                             ;   in Loop: Header=BB6_8046 Depth=2
	s_or_b32 exec_lo, exec_lo, s27
	v_bfe_i32 v4, v54, 0, 16
                                        ; implicit-def: $vgpr54
	s_delay_alu instid0(VALU_DEP_1) | instskip(NEXT) | instid1(VALU_DEP_1)
	v_and_b32_e32 v4, 0x80000000, v4
	v_lshl_add_u32 v1, v1, 23, v4
	s_delay_alu instid0(VALU_DEP_1) | instskip(NEXT) | instid1(VALU_DEP_1)
	v_lshl_or_b32 v1, v3, 21, v1
                                        ; implicit-def: $vgpr3
	v_add_nc_u32_e32 v1, 0x38000000, v1
.LBB6_8668:                             ;   in Loop: Header=BB6_8046 Depth=2
	s_and_not1_saveexec_b32 s26, s26
; %bb.8669:                             ;   in Loop: Header=BB6_8046 Depth=2
	v_cmp_lt_i16_e32 vcc_lo, -1, v54
	v_cndmask_b32_e32 v1, 0xff800000, v105, vcc_lo
	v_cmp_eq_u32_e32 vcc_lo, 0, v3
	s_delay_alu instid0(VALU_DEP_2)
	v_cndmask_b32_e32 v1, 0x7f800001, v1, vcc_lo
; %bb.8670:                             ;   in Loop: Header=BB6_8046 Depth=2
	s_or_b32 exec_lo, exec_lo, s26
.LBB6_8671:                             ;   in Loop: Header=BB6_8046 Depth=2
	s_delay_alu instid0(SALU_CYCLE_1)
	s_or_b32 exec_lo, exec_lo, s25
.LBB6_8672:                             ;   in Loop: Header=BB6_8046 Depth=2
	s_delay_alu instid0(SALU_CYCLE_1) | instskip(NEXT) | instid1(SALU_CYCLE_1)
	s_or_b32 exec_lo, exec_lo, s7
	s_mov_b32 s7, exec_lo
	v_cmpx_ne_u16_e32 0, v110
	s_cbranch_execz .LBB6_8682
; %bb.8673:                             ;   in Loop: Header=BB6_8046 Depth=2
	v_bfrev_b32_e32 v0, 1
	s_mov_b32 s25, exec_lo
	v_cmpx_ne_u16_e32 0xff80, v110
	s_cbranch_execz .LBB6_8681
; %bb.8674:                             ;   in Loop: Header=BB6_8046 Depth=2
	v_and_b32_e32 v0, 0x7c, v110
	v_and_b32_e32 v3, 3, v110
	s_delay_alu instid0(VALU_DEP_2) | instskip(SKIP_1) | instid1(SALU_CYCLE_1)
	v_cmp_ne_u32_e32 vcc_lo, 0x7c, v0
                                        ; implicit-def: $vgpr0
	s_and_saveexec_b32 s26, vcc_lo
	s_xor_b32 s26, exec_lo, s26
	s_cbranch_execz .LBB6_8678
; %bb.8675:                             ;   in Loop: Header=BB6_8046 Depth=2
	v_and_b32_e32 v0, 0xff, v110
	s_mov_b32 s27, exec_lo
	s_delay_alu instid0(VALU_DEP_1) | instskip(NEXT) | instid1(VALU_DEP_1)
	v_bfe_u32 v0, v0, 2, 5
	v_cmpx_eq_u32_e32 0, v0
	s_cbranch_execz .LBB6_8677
; %bb.8676:                             ;   in Loop: Header=BB6_8046 Depth=2
	v_clz_i32_u32_e32 v0, v3
	s_delay_alu instid0(VALU_DEP_1) | instskip(SKIP_1) | instid1(VALU_DEP_2)
	v_min_u32_e32 v0, 32, v0
	v_mov_b32_e32 v111, v5
	v_subrev_nc_u32_e32 v3, 29, v0
	v_sub_nc_u32_e32 v0, 30, v0
	s_delay_alu instid0(VALU_DEP_2) | instskip(NEXT) | instid1(VALU_DEP_1)
	v_lshlrev_b64_e32 v[6:7], v3, v[110:111]
	v_and_b32_e32 v3, 3, v6
.LBB6_8677:                             ;   in Loop: Header=BB6_8046 Depth=2
	s_or_b32 exec_lo, exec_lo, s27
	v_bfe_i32 v4, v110, 0, 16
                                        ; implicit-def: $vgpr110
	s_delay_alu instid0(VALU_DEP_1) | instskip(NEXT) | instid1(VALU_DEP_1)
	v_and_b32_e32 v4, 0x80000000, v4
	v_lshl_add_u32 v0, v0, 23, v4
	s_delay_alu instid0(VALU_DEP_1) | instskip(NEXT) | instid1(VALU_DEP_1)
	v_lshl_or_b32 v0, v3, 21, v0
                                        ; implicit-def: $vgpr3
	v_add_nc_u32_e32 v0, 0x38000000, v0
.LBB6_8678:                             ;   in Loop: Header=BB6_8046 Depth=2
	s_and_not1_saveexec_b32 s26, s26
; %bb.8679:                             ;   in Loop: Header=BB6_8046 Depth=2
	v_cmp_lt_i16_e32 vcc_lo, -1, v110
	v_cndmask_b32_e32 v0, 0xff800000, v105, vcc_lo
	v_cmp_eq_u32_e32 vcc_lo, 0, v3
	s_delay_alu instid0(VALU_DEP_2)
	v_cndmask_b32_e32 v0, 0x7f800001, v0, vcc_lo
; %bb.8680:                             ;   in Loop: Header=BB6_8046 Depth=2
	s_or_b32 exec_lo, exec_lo, s26
.LBB6_8681:                             ;   in Loop: Header=BB6_8046 Depth=2
	s_delay_alu instid0(SALU_CYCLE_1)
	s_or_b32 exec_lo, exec_lo, s25
.LBB6_8682:                             ;   in Loop: Header=BB6_8046 Depth=2
	s_delay_alu instid0(SALU_CYCLE_1) | instskip(NEXT) | instid1(VALU_DEP_1)
	s_or_b32 exec_lo, exec_lo, s7
	v_mul_f32_e32 v0, v1, v0
	v_mov_b32_e32 v7, v5
	s_delay_alu instid0(VALU_DEP_2) | instskip(SKIP_1) | instid1(VALU_DEP_2)
	v_and_b32_e32 v6, 0x7f800000, v0
	v_and_b32_e32 v4, 0x7fffff, v0
	v_cmp_ne_u64_e32 vcc_lo, 0x7f800000, v[6:7]
                                        ; implicit-def: $vgpr6
	s_and_saveexec_b32 s7, vcc_lo
	s_delay_alu instid0(SALU_CYCLE_1)
	s_xor_b32 s25, exec_lo, s7
	s_cbranch_execz .LBB6_8700
; %bb.8683:                             ;   in Loop: Header=BB6_8046 Depth=2
	v_and_b32_e32 v6, 0x7fffffff, v0
	v_dual_mov_b32 v7, v5 :: v_dual_lshrrev_b32 v1, 24, v0
	s_delay_alu instid0(VALU_DEP_1) | instskip(NEXT) | instid1(VALU_DEP_2)
	v_cmp_gt_u64_e32 vcc_lo, 0x47600001, v[6:7]
	v_and_b32_e32 v3, 0x80, v1
                                        ; implicit-def: $vgpr6
	s_and_saveexec_b32 s7, vcc_lo
	s_delay_alu instid0(SALU_CYCLE_1)
	s_xor_b32 s26, exec_lo, s7
	s_cbranch_execz .LBB6_8697
; %bb.8684:                             ;   in Loop: Header=BB6_8046 Depth=2
	v_mov_b32_e32 v6, 0
	s_mov_b32 s27, exec_lo
	v_cmpx_ne_u32_e32 0, v0
	s_cbranch_execz .LBB6_8696
; %bb.8685:                             ;   in Loop: Header=BB6_8046 Depth=2
	v_bfe_u32 v27, v0, 23, 8
	v_or_b32_e32 v6, 0x800000, v4
	s_mov_b32 s28, exec_lo
	s_delay_alu instid0(VALU_DEP_2) | instskip(SKIP_1) | instid1(VALU_DEP_2)
	v_dual_mov_b32 v7, v5 :: v_dual_sub_nc_u32 v0, 0x71, v27
	v_cmp_gt_u32_e32 vcc_lo, 0x72, v27
	v_cndmask_b32_e32 v0, 0, v0, vcc_lo
	v_cmp_eq_u32_e32 vcc_lo, 0, v27
	s_delay_alu instid0(VALU_DEP_2) | instskip(NEXT) | instid1(VALU_DEP_1)
	v_cndmask_b32_e64 v29, v0, 0x70, vcc_lo
	v_dual_cndmask_b32 v6, v6, v4, vcc_lo :: v_dual_add_nc_u32 v0, 21, v29
	v_add_nc_u32_e32 v26, 20, v29
	s_delay_alu instid0(VALU_DEP_2) | instskip(NEXT) | instid1(VALU_DEP_2)
	v_lshlrev_b64_e64 v[0:1], v0, -1
	v_lshlrev_b64_e64 v[52:53], v26, 1
	s_delay_alu instid0(VALU_DEP_2) | instskip(NEXT) | instid1(VALU_DEP_3)
	v_bfi_b32 v55, v1, 0, 0
	v_bfi_b32 v54, v0, 0, v6
	v_lshrrev_b64 v[0:1], v29, v[6:7]
	s_delay_alu instid0(VALU_DEP_1) | instskip(NEXT) | instid1(VALU_DEP_3)
	v_mov_b64_e32 v[6:7], v[0:1]
	v_cmpx_eq_u64_e64 v[54:55], v[52:53]
; %bb.8686:                             ;   in Loop: Header=BB6_8046 Depth=2
	v_bfe_u32 v6, v0, 21, 1
	v_mov_b32_e32 v7, v5
	s_delay_alu instid0(VALU_DEP_1) | instskip(NEXT) | instid1(VALU_DEP_1)
	v_add_nc_u64_e32 v[6:7], v[0:1], v[6:7]
	v_add_nc_u64_e32 v[6:7], -1, v[6:7]
; %bb.8687:                             ;   in Loop: Header=BB6_8046 Depth=2
	s_or_b32 exec_lo, exec_lo, s28
	v_add_nc_u32_e32 v1, 0xffffff81, v27
	v_lshrrev_b32_e32 v4, 23, v0
	s_delay_alu instid0(VALU_DEP_3) | instskip(SKIP_1) | instid1(VALU_DEP_3)
	v_and_b32_e32 v7, 0x1fffff, v6
	s_mov_b32 s7, exec_lo
	v_cndmask_b32_e64 v1, v1, 0xffffff82, vcc_lo
	s_delay_alu instid0(VALU_DEP_1) | instskip(NEXT) | instid1(VALU_DEP_3)
	v_add3_u32 v6, v29, v1, v4
	v_add_nc_u32_e32 v4, v7, v0
                                        ; implicit-def: $vgpr0_vgpr1
                                        ; implicit-def: $vgpr7
	s_delay_alu instid0(VALU_DEP_2) | instskip(NEXT) | instid1(VALU_DEP_1)
	v_add_nc_u32_e32 v27, 14, v6
	v_cmpx_ne_u32_e32 0, v27
	s_xor_b32 s7, exec_lo, s7
; %bb.8688:                             ;   in Loop: Header=BB6_8046 Depth=2
	s_delay_alu instid0(VALU_DEP_3) | instskip(SKIP_1) | instid1(VALU_DEP_1)
	v_cmp_lt_u64_e32 vcc_lo, 0xffffff, v[4:5]
	v_add_nc_u32_e32 v0, 15, v6
	v_cndmask_b32_e32 v7, v27, v0, vcc_lo
	v_cndmask_b32_e64 v0, 0, 1, vcc_lo
	s_delay_alu instid0(VALU_DEP_1)
	v_lshrrev_b64 v[0:1], v0, v[4:5]
; %bb.8689:                             ;   in Loop: Header=BB6_8046 Depth=2
	s_and_not1_saveexec_b32 s7, s7
; %bb.8690:                             ;   in Loop: Header=BB6_8046 Depth=2
	v_mov_b64_e32 v[0:1], v[4:5]
	v_bfe_u32 v7, v4, 23, 1
; %bb.8691:                             ;   in Loop: Header=BB6_8046 Depth=2
	s_or_b32 exec_lo, exec_lo, s7
	s_delay_alu instid0(VALU_DEP_2) | instskip(NEXT) | instid1(VALU_DEP_2)
	v_lshrrev_b64 v[0:1], 21, v[0:1]
	v_cmp_gt_i32_e32 vcc_lo, 32, v7
	v_cmp_ne_u32_e64 s7, 0, v7
                                        ; implicit-def: $vgpr6
	s_delay_alu instid0(VALU_DEP_3) | instskip(NEXT) | instid1(VALU_DEP_1)
	v_dual_cndmask_b32 v1, 0, v1 :: v_dual_cndmask_b32 v0, 3, v0
	v_cmp_ne_u64_e32 vcc_lo, 0, v[0:1]
	s_or_b32 s7, s7, vcc_lo
	s_delay_alu instid0(SALU_CYCLE_1) | instskip(NEXT) | instid1(SALU_CYCLE_1)
	s_and_saveexec_b32 s28, s7
	s_xor_b32 s7, exec_lo, s28
; %bb.8692:                             ;   in Loop: Header=BB6_8046 Depth=2
	v_min_i32_e32 v1, 31, v7
	s_delay_alu instid0(VALU_DEP_1) | instskip(NEXT) | instid1(VALU_DEP_1)
	v_lshl_or_b32 v1, v1, 2, v3
                                        ; implicit-def: $vgpr3
	v_and_or_b32 v6, v0, 3, v1
; %bb.8693:                             ;   in Loop: Header=BB6_8046 Depth=2
	s_and_not1_saveexec_b32 s7, s7
; %bb.8694:                             ;   in Loop: Header=BB6_8046 Depth=2
	v_mov_b32_e32 v6, v3
; %bb.8695:                             ;   in Loop: Header=BB6_8046 Depth=2
	s_or_b32 exec_lo, exec_lo, s7
.LBB6_8696:                             ;   in Loop: Header=BB6_8046 Depth=2
	s_delay_alu instid0(SALU_CYCLE_1)
	s_or_b32 exec_lo, exec_lo, s27
                                        ; implicit-def: $vgpr3
.LBB6_8697:                             ;   in Loop: Header=BB6_8046 Depth=2
	s_and_not1_saveexec_b32 s7, s26
; %bb.8698:                             ;   in Loop: Header=BB6_8046 Depth=2
	v_or_b32_e32 v6, 0x7b, v3
; %bb.8699:                             ;   in Loop: Header=BB6_8046 Depth=2
	s_or_b32 exec_lo, exec_lo, s7
                                        ; implicit-def: $vgpr0
.LBB6_8700:                             ;   in Loop: Header=BB6_8046 Depth=2
	s_and_not1_saveexec_b32 s7, s25
	s_cbranch_execz .LBB6_8706
; %bb.8701:                             ;   in Loop: Header=BB6_8046 Depth=2
	s_mov_b32 s25, exec_lo
                                        ; implicit-def: $vgpr6
	v_cmpx_ne_u64_e32 0, v[4:5]
	s_xor_b32 s25, exec_lo, s25
; %bb.8702:                             ;   in Loop: Header=BB6_8046 Depth=2
	v_lshrrev_b32_e32 v0, 24, v0
	s_delay_alu instid0(VALU_DEP_1)
	v_or_b32_e32 v6, 0x7f, v0
                                        ; implicit-def: $vgpr0
; %bb.8703:                             ;   in Loop: Header=BB6_8046 Depth=2
	s_and_not1_saveexec_b32 s25, s25
; %bb.8704:                             ;   in Loop: Header=BB6_8046 Depth=2
	v_cmp_lt_i32_e32 vcc_lo, -1, v0
	v_cndmask_b32_e64 v6, -4, 0x7c, vcc_lo
; %bb.8705:                             ;   in Loop: Header=BB6_8046 Depth=2
	s_or_b32 exec_lo, exec_lo, s25
.LBB6_8706:                             ;   in Loop: Header=BB6_8046 Depth=2
	s_delay_alu instid0(SALU_CYCLE_1)
	s_or_b32 exec_lo, exec_lo, s7
	v_dual_mov_b32 v0, 0 :: v_dual_mov_b32 v1, 0
	s_mov_b32 s7, exec_lo
	v_cmpx_ne_u16_e32 0, v2
	s_cbranch_execz .LBB6_8716
; %bb.8707:                             ;   in Loop: Header=BB6_8046 Depth=2
	v_bfrev_b32_e32 v1, 1
	s_mov_b32 s25, exec_lo
	v_cmpx_ne_u16_e32 0xff80, v2
	s_cbranch_execz .LBB6_8715
; %bb.8708:                             ;   in Loop: Header=BB6_8046 Depth=2
	v_and_b32_e32 v1, 0x7c, v2
	v_and_b32_e32 v3, 3, v2
	s_delay_alu instid0(VALU_DEP_2) | instskip(SKIP_1) | instid1(SALU_CYCLE_1)
	v_cmp_ne_u32_e32 vcc_lo, 0x7c, v1
                                        ; implicit-def: $vgpr1
	s_and_saveexec_b32 s26, vcc_lo
	s_xor_b32 s26, exec_lo, s26
	s_cbranch_execz .LBB6_8712
; %bb.8709:                             ;   in Loop: Header=BB6_8046 Depth=2
	v_and_b32_e32 v1, 0xff, v2
	s_mov_b32 s27, exec_lo
	s_delay_alu instid0(VALU_DEP_1) | instskip(NEXT) | instid1(VALU_DEP_1)
	v_bfe_u32 v1, v1, 2, 5
	v_cmpx_eq_u32_e32 0, v1
	s_cbranch_execz .LBB6_8711
; %bb.8710:                             ;   in Loop: Header=BB6_8046 Depth=2
	v_clz_i32_u32_e32 v1, v3
	s_delay_alu instid0(VALU_DEP_1) | instskip(SKIP_1) | instid1(VALU_DEP_2)
	v_min_u32_e32 v1, 32, v1
	v_mov_b32_e32 v3, v5
	v_subrev_nc_u32_e32 v4, 29, v1
	v_sub_nc_u32_e32 v1, 30, v1
	s_delay_alu instid0(VALU_DEP_2) | instskip(NEXT) | instid1(VALU_DEP_1)
	v_lshlrev_b64_e32 v[26:27], v4, v[2:3]
	v_and_b32_e32 v3, 3, v26
.LBB6_8711:                             ;   in Loop: Header=BB6_8046 Depth=2
	s_or_b32 exec_lo, exec_lo, s27
	v_bfe_i32 v2, v2, 0, 16
	s_delay_alu instid0(VALU_DEP_1) | instskip(NEXT) | instid1(VALU_DEP_1)
	v_and_b32_e32 v2, 0x80000000, v2
	v_lshl_add_u32 v1, v1, 23, v2
                                        ; implicit-def: $vgpr2
	s_delay_alu instid0(VALU_DEP_1) | instskip(NEXT) | instid1(VALU_DEP_1)
	v_lshl_or_b32 v1, v3, 21, v1
                                        ; implicit-def: $vgpr3
	v_add_nc_u32_e32 v1, 0x38000000, v1
.LBB6_8712:                             ;   in Loop: Header=BB6_8046 Depth=2
	s_and_not1_saveexec_b32 s26, s26
; %bb.8713:                             ;   in Loop: Header=BB6_8046 Depth=2
	v_cmp_lt_i16_e32 vcc_lo, -1, v2
	v_cndmask_b32_e32 v1, 0xff800000, v105, vcc_lo
	v_cmp_eq_u32_e32 vcc_lo, 0, v3
	s_delay_alu instid0(VALU_DEP_2)
	v_cndmask_b32_e32 v1, 0x7f800001, v1, vcc_lo
; %bb.8714:                             ;   in Loop: Header=BB6_8046 Depth=2
	s_or_b32 exec_lo, exec_lo, s26
.LBB6_8715:                             ;   in Loop: Header=BB6_8046 Depth=2
	s_delay_alu instid0(SALU_CYCLE_1)
	s_or_b32 exec_lo, exec_lo, s25
.LBB6_8716:                             ;   in Loop: Header=BB6_8046 Depth=2
	s_delay_alu instid0(SALU_CYCLE_1) | instskip(NEXT) | instid1(SALU_CYCLE_1)
	s_or_b32 exec_lo, exec_lo, s7
	s_mov_b32 s7, exec_lo
	v_cmpx_ne_u16_e32 0, v108
	s_cbranch_execz .LBB6_8726
; %bb.8717:                             ;   in Loop: Header=BB6_8046 Depth=2
	v_bfrev_b32_e32 v0, 1
	s_mov_b32 s25, exec_lo
	v_cmpx_ne_u16_e32 0xff80, v108
	s_cbranch_execz .LBB6_8725
; %bb.8718:                             ;   in Loop: Header=BB6_8046 Depth=2
	v_and_b32_e32 v0, 0x7c, v108
	v_and_b32_e32 v2, 3, v108
	s_delay_alu instid0(VALU_DEP_2) | instskip(SKIP_1) | instid1(SALU_CYCLE_1)
	v_cmp_ne_u32_e32 vcc_lo, 0x7c, v0
                                        ; implicit-def: $vgpr0
	s_and_saveexec_b32 s26, vcc_lo
	s_xor_b32 s26, exec_lo, s26
	s_cbranch_execz .LBB6_8722
; %bb.8719:                             ;   in Loop: Header=BB6_8046 Depth=2
	v_and_b32_e32 v0, 0xff, v108
	s_mov_b32 s27, exec_lo
	s_delay_alu instid0(VALU_DEP_1) | instskip(NEXT) | instid1(VALU_DEP_1)
	v_bfe_u32 v0, v0, 2, 5
	v_cmpx_eq_u32_e32 0, v0
	s_cbranch_execz .LBB6_8721
; %bb.8720:                             ;   in Loop: Header=BB6_8046 Depth=2
	v_clz_i32_u32_e32 v0, v2
	s_delay_alu instid0(VALU_DEP_1) | instskip(SKIP_1) | instid1(VALU_DEP_2)
	v_min_u32_e32 v0, 32, v0
	v_mov_b32_e32 v109, v5
	v_subrev_nc_u32_e32 v2, 29, v0
	v_sub_nc_u32_e32 v0, 30, v0
	s_delay_alu instid0(VALU_DEP_2) | instskip(NEXT) | instid1(VALU_DEP_1)
	v_lshlrev_b64_e32 v[2:3], v2, v[108:109]
	v_and_b32_e32 v2, 3, v2
.LBB6_8721:                             ;   in Loop: Header=BB6_8046 Depth=2
	s_or_b32 exec_lo, exec_lo, s27
	v_bfe_i32 v3, v108, 0, 16
                                        ; implicit-def: $vgpr108
	s_delay_alu instid0(VALU_DEP_1) | instskip(NEXT) | instid1(VALU_DEP_1)
	v_and_b32_e32 v3, 0x80000000, v3
	v_lshl_add_u32 v0, v0, 23, v3
	s_delay_alu instid0(VALU_DEP_1) | instskip(NEXT) | instid1(VALU_DEP_1)
	v_lshl_or_b32 v0, v2, 21, v0
                                        ; implicit-def: $vgpr2
	v_add_nc_u32_e32 v0, 0x38000000, v0
.LBB6_8722:                             ;   in Loop: Header=BB6_8046 Depth=2
	s_and_not1_saveexec_b32 s26, s26
; %bb.8723:                             ;   in Loop: Header=BB6_8046 Depth=2
	v_cmp_lt_i16_e32 vcc_lo, -1, v108
	v_cndmask_b32_e32 v0, 0xff800000, v105, vcc_lo
	v_cmp_eq_u32_e32 vcc_lo, 0, v2
	s_delay_alu instid0(VALU_DEP_2)
	v_cndmask_b32_e32 v0, 0x7f800001, v0, vcc_lo
; %bb.8724:                             ;   in Loop: Header=BB6_8046 Depth=2
	s_or_b32 exec_lo, exec_lo, s26
.LBB6_8725:                             ;   in Loop: Header=BB6_8046 Depth=2
	s_delay_alu instid0(SALU_CYCLE_1)
	s_or_b32 exec_lo, exec_lo, s25
.LBB6_8726:                             ;   in Loop: Header=BB6_8046 Depth=2
	s_delay_alu instid0(SALU_CYCLE_1) | instskip(NEXT) | instid1(VALU_DEP_1)
	s_or_b32 exec_lo, exec_lo, s7
	v_mul_f32_e32 v0, v1, v0
	v_mov_b32_e32 v3, v5
                                        ; implicit-def: $vgpr7
	s_mov_b32 s7, exec_lo
	s_delay_alu instid0(VALU_DEP_2) | instskip(SKIP_1) | instid1(VALU_DEP_2)
	v_and_b32_e32 v2, 0x7f800000, v0
	v_and_b32_e32 v4, 0x7fffff, v0
	v_cmpx_ne_u64_e32 0x7f800000, v[2:3]
	s_xor_b32 s25, exec_lo, s7
	s_cbranch_execz .LBB6_8744
; %bb.8727:                             ;   in Loop: Header=BB6_8046 Depth=2
	v_dual_mov_b32 v3, v5 :: v_dual_lshrrev_b32 v1, 24, v0
	v_and_b32_e32 v2, 0x7fffffff, v0
                                        ; implicit-def: $vgpr7
	s_mov_b32 s7, exec_lo
	s_delay_alu instid0(VALU_DEP_2) | instskip(NEXT) | instid1(VALU_DEP_2)
	v_and_b32_e32 v27, 0x80, v1
	v_cmpx_gt_u64_e32 0x47600001, v[2:3]
	s_xor_b32 s26, exec_lo, s7
	s_cbranch_execz .LBB6_8741
; %bb.8728:                             ;   in Loop: Header=BB6_8046 Depth=2
	v_mov_b32_e32 v7, 0
	s_mov_b32 s27, exec_lo
	v_cmpx_ne_u32_e32 0, v0
	s_cbranch_execz .LBB6_8740
; %bb.8729:                             ;   in Loop: Header=BB6_8046 Depth=2
	v_bfe_u32 v7, v0, 23, 8
	v_or_b32_e32 v2, 0x800000, v4
	s_mov_b32 s28, exec_lo
	s_delay_alu instid0(VALU_DEP_2) | instskip(SKIP_1) | instid1(VALU_DEP_2)
	v_dual_mov_b32 v3, v5 :: v_dual_sub_nc_u32 v0, 0x71, v7
	v_cmp_gt_u32_e32 vcc_lo, 0x72, v7
	v_cndmask_b32_e32 v0, 0, v0, vcc_lo
	v_cmp_eq_u32_e32 vcc_lo, 0, v7
	s_delay_alu instid0(VALU_DEP_2) | instskip(NEXT) | instid1(VALU_DEP_1)
	v_cndmask_b32_e64 v29, v0, 0x70, vcc_lo
	v_dual_cndmask_b32 v2, v2, v4, vcc_lo :: v_dual_add_nc_u32 v0, 21, v29
	v_add_nc_u32_e32 v26, 20, v29
	s_delay_alu instid0(VALU_DEP_2) | instskip(NEXT) | instid1(VALU_DEP_2)
	v_lshlrev_b64_e64 v[0:1], v0, -1
	v_lshlrev_b64_e64 v[52:53], v26, 1
	s_delay_alu instid0(VALU_DEP_2) | instskip(NEXT) | instid1(VALU_DEP_3)
	v_bfi_b32 v55, v1, 0, 0
	v_bfi_b32 v54, v0, 0, v2
	v_lshrrev_b64 v[0:1], v29, v[2:3]
	s_delay_alu instid0(VALU_DEP_1) | instskip(NEXT) | instid1(VALU_DEP_3)
	v_mov_b64_e32 v[2:3], v[0:1]
	v_cmpx_eq_u64_e64 v[54:55], v[52:53]
; %bb.8730:                             ;   in Loop: Header=BB6_8046 Depth=2
	v_bfe_u32 v2, v0, 21, 1
	v_mov_b32_e32 v3, v5
	s_delay_alu instid0(VALU_DEP_1) | instskip(NEXT) | instid1(VALU_DEP_1)
	v_add_nc_u64_e32 v[2:3], v[0:1], v[2:3]
	v_add_nc_u64_e32 v[2:3], -1, v[2:3]
; %bb.8731:                             ;   in Loop: Header=BB6_8046 Depth=2
	s_or_b32 exec_lo, exec_lo, s28
	v_add_nc_u32_e32 v1, 0xffffff81, v7
	s_delay_alu instid0(VALU_DEP_2) | instskip(SKIP_2) | instid1(VALU_DEP_3)
	v_and_b32_e32 v2, 0x1fffff, v2
	v_lshrrev_b32_e32 v3, 23, v0
	s_mov_b32 s7, exec_lo
	v_cndmask_b32_e64 v1, v1, 0xffffff82, vcc_lo
	s_delay_alu instid0(VALU_DEP_3) | instskip(NEXT) | instid1(VALU_DEP_2)
	v_add_nc_u32_e32 v4, v2, v0
                                        ; implicit-def: $vgpr2
	v_add3_u32 v3, v29, v1, v3
                                        ; implicit-def: $vgpr0_vgpr1
	s_delay_alu instid0(VALU_DEP_1) | instskip(NEXT) | instid1(VALU_DEP_1)
	v_add_nc_u32_e32 v7, 14, v3
	v_cmpx_ne_u32_e32 0, v7
	s_xor_b32 s7, exec_lo, s7
; %bb.8732:                             ;   in Loop: Header=BB6_8046 Depth=2
	v_cmp_lt_u64_e32 vcc_lo, 0xffffff, v[4:5]
	v_add_nc_u32_e32 v0, 15, v3
	s_delay_alu instid0(VALU_DEP_1) | instskip(SKIP_1) | instid1(VALU_DEP_1)
	v_cndmask_b32_e32 v2, v7, v0, vcc_lo
	v_cndmask_b32_e64 v0, 0, 1, vcc_lo
	v_lshrrev_b64 v[0:1], v0, v[4:5]
; %bb.8733:                             ;   in Loop: Header=BB6_8046 Depth=2
	s_and_not1_saveexec_b32 s7, s7
; %bb.8734:                             ;   in Loop: Header=BB6_8046 Depth=2
	v_mov_b64_e32 v[0:1], v[4:5]
	v_bfe_u32 v2, v4, 23, 1
; %bb.8735:                             ;   in Loop: Header=BB6_8046 Depth=2
	s_or_b32 exec_lo, exec_lo, s7
	s_delay_alu instid0(VALU_DEP_2) | instskip(NEXT) | instid1(VALU_DEP_2)
	v_lshrrev_b64 v[0:1], 21, v[0:1]
	v_cmp_gt_i32_e32 vcc_lo, 32, v2
	v_cmp_ne_u32_e64 s7, 0, v2
                                        ; implicit-def: $vgpr7
	s_delay_alu instid0(VALU_DEP_3) | instskip(NEXT) | instid1(VALU_DEP_1)
	v_dual_cndmask_b32 v1, 0, v1 :: v_dual_cndmask_b32 v0, 3, v0
	v_cmp_ne_u64_e32 vcc_lo, 0, v[0:1]
	s_or_b32 s7, s7, vcc_lo
	s_delay_alu instid0(SALU_CYCLE_1) | instskip(NEXT) | instid1(SALU_CYCLE_1)
	s_and_saveexec_b32 s28, s7
	s_xor_b32 s7, exec_lo, s28
; %bb.8736:                             ;   in Loop: Header=BB6_8046 Depth=2
	v_min_i32_e32 v1, 31, v2
	s_delay_alu instid0(VALU_DEP_1) | instskip(NEXT) | instid1(VALU_DEP_1)
	v_lshl_or_b32 v1, v1, 2, v27
                                        ; implicit-def: $vgpr27
	v_and_or_b32 v7, v0, 3, v1
; %bb.8737:                             ;   in Loop: Header=BB6_8046 Depth=2
	s_and_not1_saveexec_b32 s7, s7
; %bb.8738:                             ;   in Loop: Header=BB6_8046 Depth=2
	v_mov_b32_e32 v7, v27
; %bb.8739:                             ;   in Loop: Header=BB6_8046 Depth=2
	s_or_b32 exec_lo, exec_lo, s7
.LBB6_8740:                             ;   in Loop: Header=BB6_8046 Depth=2
	s_delay_alu instid0(SALU_CYCLE_1)
	s_or_b32 exec_lo, exec_lo, s27
                                        ; implicit-def: $vgpr27
.LBB6_8741:                             ;   in Loop: Header=BB6_8046 Depth=2
	s_and_not1_saveexec_b32 s7, s26
; %bb.8742:                             ;   in Loop: Header=BB6_8046 Depth=2
	v_or_b32_e32 v7, 0x7b, v27
; %bb.8743:                             ;   in Loop: Header=BB6_8046 Depth=2
	s_or_b32 exec_lo, exec_lo, s7
                                        ; implicit-def: $vgpr0
.LBB6_8744:                             ;   in Loop: Header=BB6_8046 Depth=2
	s_and_not1_saveexec_b32 s7, s25
	s_cbranch_execz .LBB6_8750
; %bb.8745:                             ;   in Loop: Header=BB6_8046 Depth=2
	s_mov_b32 s25, exec_lo
                                        ; implicit-def: $vgpr7
	v_cmpx_ne_u64_e32 0, v[4:5]
	s_xor_b32 s25, exec_lo, s25
; %bb.8746:                             ;   in Loop: Header=BB6_8046 Depth=2
	v_lshrrev_b32_e32 v0, 24, v0
	s_delay_alu instid0(VALU_DEP_1)
	v_or_b32_e32 v7, 0x7f, v0
                                        ; implicit-def: $vgpr0
; %bb.8747:                             ;   in Loop: Header=BB6_8046 Depth=2
	s_and_not1_saveexec_b32 s25, s25
; %bb.8748:                             ;   in Loop: Header=BB6_8046 Depth=2
	v_cmp_lt_i32_e32 vcc_lo, -1, v0
	v_cndmask_b32_e64 v7, -4, 0x7c, vcc_lo
; %bb.8749:                             ;   in Loop: Header=BB6_8046 Depth=2
	s_or_b32 exec_lo, exec_lo, s25
.LBB6_8750:                             ;   in Loop: Header=BB6_8046 Depth=2
	s_delay_alu instid0(SALU_CYCLE_1)
	s_or_b32 exec_lo, exec_lo, s7
	v_dual_mov_b32 v0, 0 :: v_dual_mov_b32 v1, 0
	s_mov_b32 s7, exec_lo
	v_cmpx_ne_u16_e32 0, v106
	s_cbranch_execz .LBB6_8760
; %bb.8751:                             ;   in Loop: Header=BB6_8046 Depth=2
	v_bfrev_b32_e32 v1, 1
	s_mov_b32 s25, exec_lo
	v_cmpx_ne_u16_e32 0xff80, v106
	s_cbranch_execz .LBB6_8759
; %bb.8752:                             ;   in Loop: Header=BB6_8046 Depth=2
	v_and_b32_e32 v1, 0x7c, v106
	v_and_b32_e32 v2, 3, v106
	s_delay_alu instid0(VALU_DEP_2) | instskip(SKIP_1) | instid1(SALU_CYCLE_1)
	v_cmp_ne_u32_e32 vcc_lo, 0x7c, v1
                                        ; implicit-def: $vgpr1
	s_and_saveexec_b32 s26, vcc_lo
	s_xor_b32 s26, exec_lo, s26
	s_cbranch_execz .LBB6_8756
; %bb.8753:                             ;   in Loop: Header=BB6_8046 Depth=2
	v_and_b32_e32 v1, 0xff, v106
	s_mov_b32 s27, exec_lo
	s_delay_alu instid0(VALU_DEP_1) | instskip(NEXT) | instid1(VALU_DEP_1)
	v_bfe_u32 v1, v1, 2, 5
	v_cmpx_eq_u32_e32 0, v1
	s_cbranch_execz .LBB6_8755
; %bb.8754:                             ;   in Loop: Header=BB6_8046 Depth=2
	v_clz_i32_u32_e32 v1, v2
	s_delay_alu instid0(VALU_DEP_1) | instskip(SKIP_1) | instid1(VALU_DEP_2)
	v_min_u32_e32 v1, 32, v1
	v_mov_b32_e32 v107, v5
	v_subrev_nc_u32_e32 v2, 29, v1
	v_sub_nc_u32_e32 v1, 30, v1
	s_delay_alu instid0(VALU_DEP_2) | instskip(NEXT) | instid1(VALU_DEP_1)
	v_lshlrev_b64_e32 v[2:3], v2, v[106:107]
	v_and_b32_e32 v2, 3, v2
.LBB6_8755:                             ;   in Loop: Header=BB6_8046 Depth=2
	s_or_b32 exec_lo, exec_lo, s27
	v_bfe_i32 v3, v106, 0, 16
                                        ; implicit-def: $vgpr106
	s_delay_alu instid0(VALU_DEP_1) | instskip(NEXT) | instid1(VALU_DEP_1)
	v_and_b32_e32 v3, 0x80000000, v3
	v_lshl_add_u32 v1, v1, 23, v3
	s_delay_alu instid0(VALU_DEP_1) | instskip(NEXT) | instid1(VALU_DEP_1)
	v_lshl_or_b32 v1, v2, 21, v1
                                        ; implicit-def: $vgpr2
	v_add_nc_u32_e32 v1, 0x38000000, v1
.LBB6_8756:                             ;   in Loop: Header=BB6_8046 Depth=2
	s_and_not1_saveexec_b32 s26, s26
; %bb.8757:                             ;   in Loop: Header=BB6_8046 Depth=2
	v_cmp_lt_i16_e32 vcc_lo, -1, v106
	v_cndmask_b32_e32 v1, 0xff800000, v105, vcc_lo
	v_cmp_eq_u32_e32 vcc_lo, 0, v2
	s_delay_alu instid0(VALU_DEP_2)
	v_cndmask_b32_e32 v1, 0x7f800001, v1, vcc_lo
; %bb.8758:                             ;   in Loop: Header=BB6_8046 Depth=2
	s_or_b32 exec_lo, exec_lo, s26
.LBB6_8759:                             ;   in Loop: Header=BB6_8046 Depth=2
	s_delay_alu instid0(SALU_CYCLE_1)
	s_or_b32 exec_lo, exec_lo, s25
.LBB6_8760:                             ;   in Loop: Header=BB6_8046 Depth=2
	s_delay_alu instid0(SALU_CYCLE_1) | instskip(NEXT) | instid1(SALU_CYCLE_1)
	s_or_b32 exec_lo, exec_lo, s7
	s_mov_b32 s7, exec_lo
	v_cmpx_ne_u16_e32 0, v104
	s_cbranch_execz .LBB6_8770
; %bb.8761:                             ;   in Loop: Header=BB6_8046 Depth=2
	v_bfrev_b32_e32 v0, 1
	s_mov_b32 s25, exec_lo
	v_cmpx_ne_u16_e32 0xff80, v104
	s_cbranch_execz .LBB6_8769
; %bb.8762:                             ;   in Loop: Header=BB6_8046 Depth=2
	v_and_b32_e32 v0, 0x7c, v104
	v_and_b32_e32 v2, 3, v104
	s_delay_alu instid0(VALU_DEP_2) | instskip(SKIP_1) | instid1(SALU_CYCLE_1)
	v_cmp_ne_u32_e32 vcc_lo, 0x7c, v0
                                        ; implicit-def: $vgpr0
	s_and_saveexec_b32 s26, vcc_lo
	s_xor_b32 s26, exec_lo, s26
	s_cbranch_execz .LBB6_8766
; %bb.8763:                             ;   in Loop: Header=BB6_8046 Depth=2
	v_and_b32_e32 v0, 0xff, v104
	s_mov_b32 s27, exec_lo
	s_delay_alu instid0(VALU_DEP_1) | instskip(NEXT) | instid1(VALU_DEP_1)
	v_bfe_u32 v0, v0, 2, 5
	v_cmpx_eq_u32_e32 0, v0
	s_cbranch_execz .LBB6_8765
; %bb.8764:                             ;   in Loop: Header=BB6_8046 Depth=2
	v_clz_i32_u32_e32 v0, v2
	s_delay_alu instid0(VALU_DEP_1) | instskip(SKIP_1) | instid1(VALU_DEP_2)
	v_min_u32_e32 v0, 32, v0
	v_mov_b32_e32 v105, v5
	v_subrev_nc_u32_e32 v2, 29, v0
	v_sub_nc_u32_e32 v0, 30, v0
	s_delay_alu instid0(VALU_DEP_2) | instskip(SKIP_1) | instid1(VALU_DEP_2)
	v_lshlrev_b64_e32 v[2:3], v2, v[104:105]
	v_mov_b32_e32 v105, 0x7f800000
	v_and_b32_e32 v2, 3, v2
.LBB6_8765:                             ;   in Loop: Header=BB6_8046 Depth=2
	s_or_b32 exec_lo, exec_lo, s27
	v_bfe_i32 v3, v104, 0, 16
                                        ; implicit-def: $vgpr104
	s_delay_alu instid0(VALU_DEP_1) | instskip(NEXT) | instid1(VALU_DEP_1)
	v_and_b32_e32 v3, 0x80000000, v3
	v_lshl_add_u32 v0, v0, 23, v3
	s_delay_alu instid0(VALU_DEP_1) | instskip(NEXT) | instid1(VALU_DEP_1)
	v_lshl_or_b32 v0, v2, 21, v0
                                        ; implicit-def: $vgpr2
	v_add_nc_u32_e32 v0, 0x38000000, v0
.LBB6_8766:                             ;   in Loop: Header=BB6_8046 Depth=2
	s_and_not1_saveexec_b32 s26, s26
; %bb.8767:                             ;   in Loop: Header=BB6_8046 Depth=2
	v_cmp_lt_i16_e32 vcc_lo, -1, v104
	v_cndmask_b32_e32 v0, 0xff800000, v105, vcc_lo
	v_cmp_eq_u32_e32 vcc_lo, 0, v2
	s_delay_alu instid0(VALU_DEP_2)
	v_cndmask_b32_e32 v0, 0x7f800001, v0, vcc_lo
; %bb.8768:                             ;   in Loop: Header=BB6_8046 Depth=2
	s_or_b32 exec_lo, exec_lo, s26
.LBB6_8769:                             ;   in Loop: Header=BB6_8046 Depth=2
	s_delay_alu instid0(SALU_CYCLE_1)
	s_or_b32 exec_lo, exec_lo, s25
.LBB6_8770:                             ;   in Loop: Header=BB6_8046 Depth=2
	s_delay_alu instid0(SALU_CYCLE_1) | instskip(NEXT) | instid1(VALU_DEP_1)
	s_or_b32 exec_lo, exec_lo, s7
	v_mul_f32_e32 v0, v1, v0
	v_mov_b32_e32 v3, v5
                                        ; implicit-def: $vgpr31
	s_mov_b32 s7, exec_lo
	s_delay_alu instid0(VALU_DEP_2) | instskip(SKIP_1) | instid1(VALU_DEP_2)
	v_and_b32_e32 v2, 0x7f800000, v0
	v_and_b32_e32 v4, 0x7fffff, v0
	v_cmpx_ne_u64_e32 0x7f800000, v[2:3]
	s_xor_b32 s25, exec_lo, s7
	s_cbranch_execz .LBB6_8788
; %bb.8771:                             ;   in Loop: Header=BB6_8046 Depth=2
	v_dual_mov_b32 v3, v5 :: v_dual_lshrrev_b32 v1, 24, v0
	v_and_b32_e32 v2, 0x7fffffff, v0
                                        ; implicit-def: $vgpr31
	s_mov_b32 s7, exec_lo
	s_delay_alu instid0(VALU_DEP_2) | instskip(NEXT) | instid1(VALU_DEP_2)
	v_and_b32_e32 v27, 0x80, v1
	v_cmpx_gt_u64_e32 0x47600001, v[2:3]
	s_xor_b32 s26, exec_lo, s7
	s_cbranch_execz .LBB6_8785
; %bb.8772:                             ;   in Loop: Header=BB6_8046 Depth=2
	v_mov_b32_e32 v31, 0
	s_mov_b32 s27, exec_lo
	v_cmpx_ne_u32_e32 0, v0
	s_cbranch_execz .LBB6_8784
; %bb.8773:                             ;   in Loop: Header=BB6_8046 Depth=2
	v_bfe_u32 v29, v0, 23, 8
	v_or_b32_e32 v2, 0x800000, v4
	s_mov_b32 s28, exec_lo
	s_delay_alu instid0(VALU_DEP_2) | instskip(SKIP_1) | instid1(VALU_DEP_2)
	v_dual_mov_b32 v3, v5 :: v_dual_sub_nc_u32 v0, 0x71, v29
	v_cmp_gt_u32_e32 vcc_lo, 0x72, v29
	v_cndmask_b32_e32 v0, 0, v0, vcc_lo
	v_cmp_eq_u32_e32 vcc_lo, 0, v29
	s_delay_alu instid0(VALU_DEP_2) | instskip(NEXT) | instid1(VALU_DEP_1)
	v_cndmask_b32_e64 v31, v0, 0x70, vcc_lo
	v_dual_cndmask_b32 v2, v2, v4, vcc_lo :: v_dual_add_nc_u32 v0, 21, v31
	v_add_nc_u32_e32 v26, 20, v31
	s_delay_alu instid0(VALU_DEP_2) | instskip(NEXT) | instid1(VALU_DEP_2)
	v_lshlrev_b64_e64 v[0:1], v0, -1
	v_lshlrev_b64_e64 v[52:53], v26, 1
	s_delay_alu instid0(VALU_DEP_2) | instskip(NEXT) | instid1(VALU_DEP_3)
	v_bfi_b32 v55, v1, 0, 0
	v_bfi_b32 v54, v0, 0, v2
	v_lshrrev_b64 v[0:1], v31, v[2:3]
	s_delay_alu instid0(VALU_DEP_1) | instskip(NEXT) | instid1(VALU_DEP_3)
	v_mov_b64_e32 v[2:3], v[0:1]
	v_cmpx_eq_u64_e64 v[54:55], v[52:53]
; %bb.8774:                             ;   in Loop: Header=BB6_8046 Depth=2
	v_bfe_u32 v2, v0, 21, 1
	v_mov_b32_e32 v3, v5
	s_delay_alu instid0(VALU_DEP_1) | instskip(NEXT) | instid1(VALU_DEP_1)
	v_add_nc_u64_e32 v[2:3], v[0:1], v[2:3]
	v_add_nc_u64_e32 v[2:3], -1, v[2:3]
; %bb.8775:                             ;   in Loop: Header=BB6_8046 Depth=2
	s_or_b32 exec_lo, exec_lo, s28
	v_add_nc_u32_e32 v1, 0xffffff81, v29
	s_delay_alu instid0(VALU_DEP_2) | instskip(SKIP_2) | instid1(VALU_DEP_3)
	v_and_b32_e32 v2, 0x1fffff, v2
	v_lshrrev_b32_e32 v3, 23, v0
	s_mov_b32 s7, exec_lo
	v_cndmask_b32_e64 v1, v1, 0xffffff82, vcc_lo
	s_delay_alu instid0(VALU_DEP_3) | instskip(NEXT) | instid1(VALU_DEP_2)
	v_add_nc_u32_e32 v4, v2, v0
                                        ; implicit-def: $vgpr2
	v_add3_u32 v3, v31, v1, v3
                                        ; implicit-def: $vgpr0_vgpr1
	s_delay_alu instid0(VALU_DEP_1) | instskip(NEXT) | instid1(VALU_DEP_1)
	v_add_nc_u32_e32 v29, 14, v3
	v_cmpx_ne_u32_e32 0, v29
	s_xor_b32 s7, exec_lo, s7
; %bb.8776:                             ;   in Loop: Header=BB6_8046 Depth=2
	v_cmp_lt_u64_e32 vcc_lo, 0xffffff, v[4:5]
	v_add_nc_u32_e32 v0, 15, v3
	s_delay_alu instid0(VALU_DEP_1) | instskip(SKIP_1) | instid1(VALU_DEP_1)
	v_cndmask_b32_e32 v2, v29, v0, vcc_lo
	v_cndmask_b32_e64 v0, 0, 1, vcc_lo
	v_lshrrev_b64 v[0:1], v0, v[4:5]
; %bb.8777:                             ;   in Loop: Header=BB6_8046 Depth=2
	s_and_not1_saveexec_b32 s7, s7
; %bb.8778:                             ;   in Loop: Header=BB6_8046 Depth=2
	v_mov_b64_e32 v[0:1], v[4:5]
	v_bfe_u32 v2, v4, 23, 1
; %bb.8779:                             ;   in Loop: Header=BB6_8046 Depth=2
	s_or_b32 exec_lo, exec_lo, s7
	s_delay_alu instid0(VALU_DEP_2) | instskip(NEXT) | instid1(VALU_DEP_2)
	v_lshrrev_b64 v[0:1], 21, v[0:1]
	v_cmp_gt_i32_e32 vcc_lo, 32, v2
	v_cmp_ne_u32_e64 s7, 0, v2
                                        ; implicit-def: $vgpr31
	s_delay_alu instid0(VALU_DEP_3) | instskip(NEXT) | instid1(VALU_DEP_1)
	v_dual_cndmask_b32 v1, 0, v1 :: v_dual_cndmask_b32 v0, 3, v0
	v_cmp_ne_u64_e32 vcc_lo, 0, v[0:1]
	s_or_b32 s7, s7, vcc_lo
	s_delay_alu instid0(SALU_CYCLE_1) | instskip(NEXT) | instid1(SALU_CYCLE_1)
	s_and_saveexec_b32 s28, s7
	s_xor_b32 s7, exec_lo, s28
; %bb.8780:                             ;   in Loop: Header=BB6_8046 Depth=2
	v_min_i32_e32 v1, 31, v2
	s_delay_alu instid0(VALU_DEP_1) | instskip(NEXT) | instid1(VALU_DEP_1)
	v_lshl_or_b32 v1, v1, 2, v27
                                        ; implicit-def: $vgpr27
	v_and_or_b32 v31, v0, 3, v1
; %bb.8781:                             ;   in Loop: Header=BB6_8046 Depth=2
	s_and_not1_saveexec_b32 s7, s7
; %bb.8782:                             ;   in Loop: Header=BB6_8046 Depth=2
	v_mov_b32_e32 v31, v27
; %bb.8783:                             ;   in Loop: Header=BB6_8046 Depth=2
	s_or_b32 exec_lo, exec_lo, s7
.LBB6_8784:                             ;   in Loop: Header=BB6_8046 Depth=2
	s_delay_alu instid0(SALU_CYCLE_1)
	s_or_b32 exec_lo, exec_lo, s27
                                        ; implicit-def: $vgpr27
.LBB6_8785:                             ;   in Loop: Header=BB6_8046 Depth=2
	s_and_not1_saveexec_b32 s7, s26
; %bb.8786:                             ;   in Loop: Header=BB6_8046 Depth=2
	v_or_b32_e32 v31, 0x7b, v27
; %bb.8787:                             ;   in Loop: Header=BB6_8046 Depth=2
	s_or_b32 exec_lo, exec_lo, s7
                                        ; implicit-def: $vgpr0
.LBB6_8788:                             ;   in Loop: Header=BB6_8046 Depth=2
	s_and_not1_saveexec_b32 s7, s25
	s_cbranch_execz .LBB6_8794
; %bb.8789:                             ;   in Loop: Header=BB6_8046 Depth=2
	s_mov_b32 s25, exec_lo
                                        ; implicit-def: $vgpr31
	v_cmpx_ne_u64_e32 0, v[4:5]
	s_xor_b32 s25, exec_lo, s25
; %bb.8790:                             ;   in Loop: Header=BB6_8046 Depth=2
	v_lshrrev_b32_e32 v0, 24, v0
	s_delay_alu instid0(VALU_DEP_1)
	v_or_b32_e32 v31, 0x7f, v0
                                        ; implicit-def: $vgpr0
; %bb.8791:                             ;   in Loop: Header=BB6_8046 Depth=2
	s_and_not1_saveexec_b32 s25, s25
; %bb.8792:                             ;   in Loop: Header=BB6_8046 Depth=2
	v_cmp_lt_i32_e32 vcc_lo, -1, v0
	v_cndmask_b32_e64 v31, -4, 0x7c, vcc_lo
; %bb.8793:                             ;   in Loop: Header=BB6_8046 Depth=2
	s_or_b32 exec_lo, exec_lo, s25
.LBB6_8794:                             ;   in Loop: Header=BB6_8046 Depth=2
	s_delay_alu instid0(SALU_CYCLE_1)
	s_or_b32 exec_lo, exec_lo, s7
	v_dual_mov_b32 v0, 0 :: v_dual_mov_b32 v1, 0
	s_mov_b32 s7, exec_lo
	v_cmpx_ne_u16_e32 0, v94
	s_cbranch_execz .LBB6_8804
; %bb.8795:                             ;   in Loop: Header=BB6_8046 Depth=2
	v_bfrev_b32_e32 v1, 1
	s_mov_b32 s25, exec_lo
	v_cmpx_ne_u16_e32 0xff80, v94
	s_cbranch_execz .LBB6_8803
; %bb.8796:                             ;   in Loop: Header=BB6_8046 Depth=2
	v_and_b32_e32 v1, 0x7c, v94
	v_and_b32_e32 v2, 3, v94
	s_delay_alu instid0(VALU_DEP_2) | instskip(SKIP_1) | instid1(SALU_CYCLE_1)
	v_cmp_ne_u32_e32 vcc_lo, 0x7c, v1
                                        ; implicit-def: $vgpr1
	s_and_saveexec_b32 s26, vcc_lo
	s_xor_b32 s26, exec_lo, s26
	s_cbranch_execz .LBB6_8800
; %bb.8797:                             ;   in Loop: Header=BB6_8046 Depth=2
	v_and_b32_e32 v1, 0xff, v94
	s_mov_b32 s27, exec_lo
	s_delay_alu instid0(VALU_DEP_1) | instskip(NEXT) | instid1(VALU_DEP_1)
	v_bfe_u32 v1, v1, 2, 5
	v_cmpx_eq_u32_e32 0, v1
	s_cbranch_execz .LBB6_8799
; %bb.8798:                             ;   in Loop: Header=BB6_8046 Depth=2
	v_clz_i32_u32_e32 v1, v2
	s_delay_alu instid0(VALU_DEP_1) | instskip(SKIP_1) | instid1(VALU_DEP_2)
	v_min_u32_e32 v1, 32, v1
	v_mov_b32_e32 v95, v5
	v_subrev_nc_u32_e32 v2, 29, v1
	v_sub_nc_u32_e32 v1, 30, v1
	s_delay_alu instid0(VALU_DEP_2) | instskip(NEXT) | instid1(VALU_DEP_1)
	v_lshlrev_b64_e32 v[2:3], v2, v[94:95]
	v_and_b32_e32 v2, 3, v2
.LBB6_8799:                             ;   in Loop: Header=BB6_8046 Depth=2
	s_or_b32 exec_lo, exec_lo, s27
	v_bfe_i32 v3, v94, 0, 16
                                        ; implicit-def: $vgpr94
	s_delay_alu instid0(VALU_DEP_1) | instskip(NEXT) | instid1(VALU_DEP_1)
	v_and_b32_e32 v3, 0x80000000, v3
	v_lshl_add_u32 v1, v1, 23, v3
	s_delay_alu instid0(VALU_DEP_1) | instskip(NEXT) | instid1(VALU_DEP_1)
	v_lshl_or_b32 v1, v2, 21, v1
                                        ; implicit-def: $vgpr2
	v_add_nc_u32_e32 v1, 0x38000000, v1
.LBB6_8800:                             ;   in Loop: Header=BB6_8046 Depth=2
	s_and_not1_saveexec_b32 s26, s26
; %bb.8801:                             ;   in Loop: Header=BB6_8046 Depth=2
	v_cmp_lt_i16_e32 vcc_lo, -1, v94
	v_cndmask_b32_e32 v1, 0xff800000, v105, vcc_lo
	v_cmp_eq_u32_e32 vcc_lo, 0, v2
	s_delay_alu instid0(VALU_DEP_2)
	v_cndmask_b32_e32 v1, 0x7f800001, v1, vcc_lo
; %bb.8802:                             ;   in Loop: Header=BB6_8046 Depth=2
	s_or_b32 exec_lo, exec_lo, s26
.LBB6_8803:                             ;   in Loop: Header=BB6_8046 Depth=2
	s_delay_alu instid0(SALU_CYCLE_1)
	s_or_b32 exec_lo, exec_lo, s25
.LBB6_8804:                             ;   in Loop: Header=BB6_8046 Depth=2
	s_delay_alu instid0(SALU_CYCLE_1) | instskip(NEXT) | instid1(SALU_CYCLE_1)
	s_or_b32 exec_lo, exec_lo, s7
	s_mov_b32 s7, exec_lo
	v_cmpx_ne_u16_e32 0, v92
	s_cbranch_execz .LBB6_8814
; %bb.8805:                             ;   in Loop: Header=BB6_8046 Depth=2
	v_bfrev_b32_e32 v0, 1
	s_mov_b32 s25, exec_lo
	v_cmpx_ne_u16_e32 0xff80, v92
	s_cbranch_execz .LBB6_8813
; %bb.8806:                             ;   in Loop: Header=BB6_8046 Depth=2
	v_and_b32_e32 v0, 0x7c, v92
	v_and_b32_e32 v2, 3, v92
	s_delay_alu instid0(VALU_DEP_2) | instskip(SKIP_1) | instid1(SALU_CYCLE_1)
	v_cmp_ne_u32_e32 vcc_lo, 0x7c, v0
                                        ; implicit-def: $vgpr0
	s_and_saveexec_b32 s26, vcc_lo
	s_xor_b32 s26, exec_lo, s26
	s_cbranch_execz .LBB6_8810
; %bb.8807:                             ;   in Loop: Header=BB6_8046 Depth=2
	v_and_b32_e32 v0, 0xff, v92
	s_mov_b32 s27, exec_lo
	s_delay_alu instid0(VALU_DEP_1) | instskip(NEXT) | instid1(VALU_DEP_1)
	v_bfe_u32 v0, v0, 2, 5
	v_cmpx_eq_u32_e32 0, v0
	s_cbranch_execz .LBB6_8809
; %bb.8808:                             ;   in Loop: Header=BB6_8046 Depth=2
	v_clz_i32_u32_e32 v0, v2
	s_delay_alu instid0(VALU_DEP_1) | instskip(SKIP_1) | instid1(VALU_DEP_2)
	v_min_u32_e32 v0, 32, v0
	v_mov_b32_e32 v93, v5
	v_subrev_nc_u32_e32 v2, 29, v0
	v_sub_nc_u32_e32 v0, 30, v0
	s_delay_alu instid0(VALU_DEP_2) | instskip(NEXT) | instid1(VALU_DEP_1)
	v_lshlrev_b64_e32 v[2:3], v2, v[92:93]
	v_and_b32_e32 v2, 3, v2
.LBB6_8809:                             ;   in Loop: Header=BB6_8046 Depth=2
	s_or_b32 exec_lo, exec_lo, s27
	v_bfe_i32 v3, v92, 0, 16
                                        ; implicit-def: $vgpr92
	s_delay_alu instid0(VALU_DEP_1) | instskip(NEXT) | instid1(VALU_DEP_1)
	v_and_b32_e32 v3, 0x80000000, v3
	v_lshl_add_u32 v0, v0, 23, v3
	s_delay_alu instid0(VALU_DEP_1) | instskip(NEXT) | instid1(VALU_DEP_1)
	v_lshl_or_b32 v0, v2, 21, v0
                                        ; implicit-def: $vgpr2
	v_add_nc_u32_e32 v0, 0x38000000, v0
.LBB6_8810:                             ;   in Loop: Header=BB6_8046 Depth=2
	s_and_not1_saveexec_b32 s26, s26
; %bb.8811:                             ;   in Loop: Header=BB6_8046 Depth=2
	v_cmp_lt_i16_e32 vcc_lo, -1, v92
	v_cndmask_b32_e32 v0, 0xff800000, v105, vcc_lo
	v_cmp_eq_u32_e32 vcc_lo, 0, v2
	s_delay_alu instid0(VALU_DEP_2)
	v_cndmask_b32_e32 v0, 0x7f800001, v0, vcc_lo
; %bb.8812:                             ;   in Loop: Header=BB6_8046 Depth=2
	s_or_b32 exec_lo, exec_lo, s26
.LBB6_8813:                             ;   in Loop: Header=BB6_8046 Depth=2
	s_delay_alu instid0(SALU_CYCLE_1)
	s_or_b32 exec_lo, exec_lo, s25
.LBB6_8814:                             ;   in Loop: Header=BB6_8046 Depth=2
	s_delay_alu instid0(SALU_CYCLE_1) | instskip(NEXT) | instid1(VALU_DEP_1)
	s_or_b32 exec_lo, exec_lo, s7
	v_mul_f32_e32 v0, v1, v0
	v_mov_b32_e32 v3, v5
                                        ; implicit-def: $vgpr52
	s_mov_b32 s7, exec_lo
	s_delay_alu instid0(VALU_DEP_2) | instskip(SKIP_1) | instid1(VALU_DEP_2)
	v_and_b32_e32 v2, 0x7f800000, v0
	v_and_b32_e32 v4, 0x7fffff, v0
	v_cmpx_ne_u64_e32 0x7f800000, v[2:3]
	s_xor_b32 s25, exec_lo, s7
	s_cbranch_execz .LBB6_8832
; %bb.8815:                             ;   in Loop: Header=BB6_8046 Depth=2
	v_dual_mov_b32 v3, v5 :: v_dual_lshrrev_b32 v1, 24, v0
	v_and_b32_e32 v2, 0x7fffffff, v0
                                        ; implicit-def: $vgpr52
	s_mov_b32 s7, exec_lo
	s_delay_alu instid0(VALU_DEP_2) | instskip(NEXT) | instid1(VALU_DEP_2)
	v_and_b32_e32 v27, 0x80, v1
	v_cmpx_gt_u64_e32 0x47600001, v[2:3]
	s_xor_b32 s26, exec_lo, s7
	s_cbranch_execz .LBB6_8829
; %bb.8816:                             ;   in Loop: Header=BB6_8046 Depth=2
	v_mov_b32_e32 v52, 0
	s_mov_b32 s27, exec_lo
	v_cmpx_ne_u32_e32 0, v0
	s_cbranch_execz .LBB6_8828
; %bb.8817:                             ;   in Loop: Header=BB6_8046 Depth=2
	v_bfe_u32 v29, v0, 23, 8
	v_or_b32_e32 v2, 0x800000, v4
	s_mov_b32 s28, exec_lo
	s_delay_alu instid0(VALU_DEP_2) | instskip(SKIP_1) | instid1(VALU_DEP_2)
	v_dual_mov_b32 v3, v5 :: v_dual_sub_nc_u32 v0, 0x71, v29
	v_cmp_gt_u32_e32 vcc_lo, 0x72, v29
	v_cndmask_b32_e32 v0, 0, v0, vcc_lo
	v_cmp_eq_u32_e32 vcc_lo, 0, v29
	s_delay_alu instid0(VALU_DEP_2) | instskip(NEXT) | instid1(VALU_DEP_1)
	v_cndmask_b32_e64 v33, v0, 0x70, vcc_lo
	v_dual_cndmask_b32 v2, v2, v4, vcc_lo :: v_dual_add_nc_u32 v0, 21, v33
	v_add_nc_u32_e32 v26, 20, v33
	s_delay_alu instid0(VALU_DEP_2) | instskip(NEXT) | instid1(VALU_DEP_2)
	v_lshlrev_b64_e64 v[0:1], v0, -1
	v_lshlrev_b64_e64 v[52:53], v26, 1
	s_delay_alu instid0(VALU_DEP_2) | instskip(NEXT) | instid1(VALU_DEP_3)
	v_bfi_b32 v55, v1, 0, 0
	v_bfi_b32 v54, v0, 0, v2
	v_lshrrev_b64 v[0:1], v33, v[2:3]
	s_delay_alu instid0(VALU_DEP_1) | instskip(NEXT) | instid1(VALU_DEP_3)
	v_mov_b64_e32 v[2:3], v[0:1]
	v_cmpx_eq_u64_e64 v[54:55], v[52:53]
; %bb.8818:                             ;   in Loop: Header=BB6_8046 Depth=2
	v_bfe_u32 v2, v0, 21, 1
	v_mov_b32_e32 v3, v5
	s_delay_alu instid0(VALU_DEP_1) | instskip(NEXT) | instid1(VALU_DEP_1)
	v_add_nc_u64_e32 v[2:3], v[0:1], v[2:3]
	v_add_nc_u64_e32 v[2:3], -1, v[2:3]
; %bb.8819:                             ;   in Loop: Header=BB6_8046 Depth=2
	s_or_b32 exec_lo, exec_lo, s28
	v_add_nc_u32_e32 v1, 0xffffff81, v29
	s_delay_alu instid0(VALU_DEP_2) | instskip(SKIP_2) | instid1(VALU_DEP_3)
	v_and_b32_e32 v2, 0x1fffff, v2
	v_lshrrev_b32_e32 v3, 23, v0
	s_mov_b32 s7, exec_lo
	v_cndmask_b32_e64 v1, v1, 0xffffff82, vcc_lo
	s_delay_alu instid0(VALU_DEP_3) | instskip(NEXT) | instid1(VALU_DEP_2)
	v_add_nc_u32_e32 v4, v2, v0
                                        ; implicit-def: $vgpr2
	v_add3_u32 v3, v33, v1, v3
                                        ; implicit-def: $vgpr0_vgpr1
	s_delay_alu instid0(VALU_DEP_1) | instskip(NEXT) | instid1(VALU_DEP_1)
	v_add_nc_u32_e32 v29, 14, v3
	v_cmpx_ne_u32_e32 0, v29
	s_xor_b32 s7, exec_lo, s7
; %bb.8820:                             ;   in Loop: Header=BB6_8046 Depth=2
	v_cmp_lt_u64_e32 vcc_lo, 0xffffff, v[4:5]
	v_add_nc_u32_e32 v0, 15, v3
	s_delay_alu instid0(VALU_DEP_1) | instskip(SKIP_1) | instid1(VALU_DEP_1)
	v_cndmask_b32_e32 v2, v29, v0, vcc_lo
	v_cndmask_b32_e64 v0, 0, 1, vcc_lo
	v_lshrrev_b64 v[0:1], v0, v[4:5]
; %bb.8821:                             ;   in Loop: Header=BB6_8046 Depth=2
	s_and_not1_saveexec_b32 s7, s7
; %bb.8822:                             ;   in Loop: Header=BB6_8046 Depth=2
	v_mov_b64_e32 v[0:1], v[4:5]
	v_bfe_u32 v2, v4, 23, 1
; %bb.8823:                             ;   in Loop: Header=BB6_8046 Depth=2
	s_or_b32 exec_lo, exec_lo, s7
	s_delay_alu instid0(VALU_DEP_2) | instskip(NEXT) | instid1(VALU_DEP_2)
	v_lshrrev_b64 v[0:1], 21, v[0:1]
	v_cmp_gt_i32_e32 vcc_lo, 32, v2
	v_cmp_ne_u32_e64 s7, 0, v2
                                        ; implicit-def: $vgpr52
	s_delay_alu instid0(VALU_DEP_3) | instskip(NEXT) | instid1(VALU_DEP_1)
	v_dual_cndmask_b32 v1, 0, v1 :: v_dual_cndmask_b32 v0, 3, v0
	v_cmp_ne_u64_e32 vcc_lo, 0, v[0:1]
	s_or_b32 s7, s7, vcc_lo
	s_delay_alu instid0(SALU_CYCLE_1) | instskip(NEXT) | instid1(SALU_CYCLE_1)
	s_and_saveexec_b32 s28, s7
	s_xor_b32 s7, exec_lo, s28
; %bb.8824:                             ;   in Loop: Header=BB6_8046 Depth=2
	v_min_i32_e32 v1, 31, v2
	s_delay_alu instid0(VALU_DEP_1) | instskip(NEXT) | instid1(VALU_DEP_1)
	v_lshl_or_b32 v1, v1, 2, v27
                                        ; implicit-def: $vgpr27
	v_and_or_b32 v52, v0, 3, v1
; %bb.8825:                             ;   in Loop: Header=BB6_8046 Depth=2
	s_and_not1_saveexec_b32 s7, s7
; %bb.8826:                             ;   in Loop: Header=BB6_8046 Depth=2
	v_mov_b32_e32 v52, v27
; %bb.8827:                             ;   in Loop: Header=BB6_8046 Depth=2
	s_or_b32 exec_lo, exec_lo, s7
.LBB6_8828:                             ;   in Loop: Header=BB6_8046 Depth=2
	s_delay_alu instid0(SALU_CYCLE_1)
	s_or_b32 exec_lo, exec_lo, s27
                                        ; implicit-def: $vgpr27
.LBB6_8829:                             ;   in Loop: Header=BB6_8046 Depth=2
	s_and_not1_saveexec_b32 s7, s26
; %bb.8830:                             ;   in Loop: Header=BB6_8046 Depth=2
	v_or_b32_e32 v52, 0x7b, v27
; %bb.8831:                             ;   in Loop: Header=BB6_8046 Depth=2
	s_or_b32 exec_lo, exec_lo, s7
                                        ; implicit-def: $vgpr0
.LBB6_8832:                             ;   in Loop: Header=BB6_8046 Depth=2
	s_and_not1_saveexec_b32 s7, s25
	s_cbranch_execz .LBB6_8838
; %bb.8833:                             ;   in Loop: Header=BB6_8046 Depth=2
	s_mov_b32 s25, exec_lo
                                        ; implicit-def: $vgpr52
	v_cmpx_ne_u64_e32 0, v[4:5]
	s_xor_b32 s25, exec_lo, s25
; %bb.8834:                             ;   in Loop: Header=BB6_8046 Depth=2
	v_lshrrev_b32_e32 v0, 24, v0
	s_delay_alu instid0(VALU_DEP_1)
	v_or_b32_e32 v52, 0x7f, v0
                                        ; implicit-def: $vgpr0
; %bb.8835:                             ;   in Loop: Header=BB6_8046 Depth=2
	s_and_not1_saveexec_b32 s25, s25
; %bb.8836:                             ;   in Loop: Header=BB6_8046 Depth=2
	v_cmp_lt_i32_e32 vcc_lo, -1, v0
	v_cndmask_b32_e64 v52, -4, 0x7c, vcc_lo
; %bb.8837:                             ;   in Loop: Header=BB6_8046 Depth=2
	s_or_b32 exec_lo, exec_lo, s25
.LBB6_8838:                             ;   in Loop: Header=BB6_8046 Depth=2
	s_delay_alu instid0(SALU_CYCLE_1)
	s_or_b32 exec_lo, exec_lo, s7
	v_dual_mov_b32 v0, 0 :: v_dual_mov_b32 v1, 0
	s_mov_b32 s7, exec_lo
	v_cmpx_ne_u16_e32 0, v90
	s_cbranch_execz .LBB6_8848
; %bb.8839:                             ;   in Loop: Header=BB6_8046 Depth=2
	v_bfrev_b32_e32 v1, 1
	s_mov_b32 s25, exec_lo
	v_cmpx_ne_u16_e32 0xff80, v90
	s_cbranch_execz .LBB6_8847
; %bb.8840:                             ;   in Loop: Header=BB6_8046 Depth=2
	v_and_b32_e32 v1, 0x7c, v90
	v_and_b32_e32 v2, 3, v90
	s_delay_alu instid0(VALU_DEP_2) | instskip(SKIP_1) | instid1(SALU_CYCLE_1)
	v_cmp_ne_u32_e32 vcc_lo, 0x7c, v1
                                        ; implicit-def: $vgpr1
	s_and_saveexec_b32 s26, vcc_lo
	s_xor_b32 s26, exec_lo, s26
	s_cbranch_execz .LBB6_8844
; %bb.8841:                             ;   in Loop: Header=BB6_8046 Depth=2
	v_and_b32_e32 v1, 0xff, v90
	s_mov_b32 s27, exec_lo
	s_delay_alu instid0(VALU_DEP_1) | instskip(NEXT) | instid1(VALU_DEP_1)
	v_bfe_u32 v1, v1, 2, 5
	v_cmpx_eq_u32_e32 0, v1
	s_cbranch_execz .LBB6_8843
; %bb.8842:                             ;   in Loop: Header=BB6_8046 Depth=2
	v_clz_i32_u32_e32 v1, v2
	s_delay_alu instid0(VALU_DEP_1) | instskip(SKIP_1) | instid1(VALU_DEP_2)
	v_min_u32_e32 v1, 32, v1
	v_mov_b32_e32 v91, v5
	v_subrev_nc_u32_e32 v2, 29, v1
	v_sub_nc_u32_e32 v1, 30, v1
	s_delay_alu instid0(VALU_DEP_2) | instskip(NEXT) | instid1(VALU_DEP_1)
	v_lshlrev_b64_e32 v[2:3], v2, v[90:91]
	v_and_b32_e32 v2, 3, v2
.LBB6_8843:                             ;   in Loop: Header=BB6_8046 Depth=2
	s_or_b32 exec_lo, exec_lo, s27
	v_bfe_i32 v3, v90, 0, 16
                                        ; implicit-def: $vgpr90
	s_delay_alu instid0(VALU_DEP_1) | instskip(NEXT) | instid1(VALU_DEP_1)
	v_and_b32_e32 v3, 0x80000000, v3
	v_lshl_add_u32 v1, v1, 23, v3
	s_delay_alu instid0(VALU_DEP_1) | instskip(NEXT) | instid1(VALU_DEP_1)
	v_lshl_or_b32 v1, v2, 21, v1
                                        ; implicit-def: $vgpr2
	v_add_nc_u32_e32 v1, 0x38000000, v1
.LBB6_8844:                             ;   in Loop: Header=BB6_8046 Depth=2
	s_and_not1_saveexec_b32 s26, s26
; %bb.8845:                             ;   in Loop: Header=BB6_8046 Depth=2
	v_cmp_lt_i16_e32 vcc_lo, -1, v90
	v_cndmask_b32_e32 v1, 0xff800000, v105, vcc_lo
	v_cmp_eq_u32_e32 vcc_lo, 0, v2
	s_delay_alu instid0(VALU_DEP_2)
	v_cndmask_b32_e32 v1, 0x7f800001, v1, vcc_lo
; %bb.8846:                             ;   in Loop: Header=BB6_8046 Depth=2
	s_or_b32 exec_lo, exec_lo, s26
.LBB6_8847:                             ;   in Loop: Header=BB6_8046 Depth=2
	s_delay_alu instid0(SALU_CYCLE_1)
	s_or_b32 exec_lo, exec_lo, s25
.LBB6_8848:                             ;   in Loop: Header=BB6_8046 Depth=2
	s_delay_alu instid0(SALU_CYCLE_1) | instskip(NEXT) | instid1(SALU_CYCLE_1)
	s_or_b32 exec_lo, exec_lo, s7
	s_mov_b32 s7, exec_lo
	v_cmpx_ne_u16_e32 0, v88
	s_cbranch_execz .LBB6_8858
; %bb.8849:                             ;   in Loop: Header=BB6_8046 Depth=2
	v_bfrev_b32_e32 v0, 1
	s_mov_b32 s25, exec_lo
	v_cmpx_ne_u16_e32 0xff80, v88
	s_cbranch_execz .LBB6_8857
; %bb.8850:                             ;   in Loop: Header=BB6_8046 Depth=2
	v_and_b32_e32 v0, 0x7c, v88
	v_and_b32_e32 v2, 3, v88
	s_delay_alu instid0(VALU_DEP_2) | instskip(SKIP_1) | instid1(SALU_CYCLE_1)
	v_cmp_ne_u32_e32 vcc_lo, 0x7c, v0
                                        ; implicit-def: $vgpr0
	s_and_saveexec_b32 s26, vcc_lo
	s_xor_b32 s26, exec_lo, s26
	s_cbranch_execz .LBB6_8854
; %bb.8851:                             ;   in Loop: Header=BB6_8046 Depth=2
	v_and_b32_e32 v0, 0xff, v88
	s_mov_b32 s27, exec_lo
	s_delay_alu instid0(VALU_DEP_1) | instskip(NEXT) | instid1(VALU_DEP_1)
	v_bfe_u32 v0, v0, 2, 5
	v_cmpx_eq_u32_e32 0, v0
	s_cbranch_execz .LBB6_8853
; %bb.8852:                             ;   in Loop: Header=BB6_8046 Depth=2
	v_clz_i32_u32_e32 v0, v2
	s_delay_alu instid0(VALU_DEP_1) | instskip(SKIP_1) | instid1(VALU_DEP_2)
	v_min_u32_e32 v0, 32, v0
	v_mov_b32_e32 v89, v5
	v_subrev_nc_u32_e32 v2, 29, v0
	v_sub_nc_u32_e32 v0, 30, v0
	s_delay_alu instid0(VALU_DEP_2) | instskip(NEXT) | instid1(VALU_DEP_1)
	v_lshlrev_b64_e32 v[2:3], v2, v[88:89]
	v_and_b32_e32 v2, 3, v2
.LBB6_8853:                             ;   in Loop: Header=BB6_8046 Depth=2
	s_or_b32 exec_lo, exec_lo, s27
	v_bfe_i32 v3, v88, 0, 16
                                        ; implicit-def: $vgpr88
	s_delay_alu instid0(VALU_DEP_1) | instskip(NEXT) | instid1(VALU_DEP_1)
	v_and_b32_e32 v3, 0x80000000, v3
	v_lshl_add_u32 v0, v0, 23, v3
	s_delay_alu instid0(VALU_DEP_1) | instskip(NEXT) | instid1(VALU_DEP_1)
	v_lshl_or_b32 v0, v2, 21, v0
                                        ; implicit-def: $vgpr2
	v_add_nc_u32_e32 v0, 0x38000000, v0
.LBB6_8854:                             ;   in Loop: Header=BB6_8046 Depth=2
	s_and_not1_saveexec_b32 s26, s26
; %bb.8855:                             ;   in Loop: Header=BB6_8046 Depth=2
	v_cmp_lt_i16_e32 vcc_lo, -1, v88
	v_cndmask_b32_e32 v0, 0xff800000, v105, vcc_lo
	v_cmp_eq_u32_e32 vcc_lo, 0, v2
	s_delay_alu instid0(VALU_DEP_2)
	v_cndmask_b32_e32 v0, 0x7f800001, v0, vcc_lo
; %bb.8856:                             ;   in Loop: Header=BB6_8046 Depth=2
	s_or_b32 exec_lo, exec_lo, s26
.LBB6_8857:                             ;   in Loop: Header=BB6_8046 Depth=2
	s_delay_alu instid0(SALU_CYCLE_1)
	s_or_b32 exec_lo, exec_lo, s25
.LBB6_8858:                             ;   in Loop: Header=BB6_8046 Depth=2
	s_delay_alu instid0(SALU_CYCLE_1) | instskip(NEXT) | instid1(VALU_DEP_1)
	s_or_b32 exec_lo, exec_lo, s7
	v_mul_f32_e32 v0, v1, v0
	v_mov_b32_e32 v3, v5
                                        ; implicit-def: $vgpr53
	s_mov_b32 s7, exec_lo
	s_delay_alu instid0(VALU_DEP_2) | instskip(SKIP_1) | instid1(VALU_DEP_2)
	v_and_b32_e32 v2, 0x7f800000, v0
	v_and_b32_e32 v4, 0x7fffff, v0
	v_cmpx_ne_u64_e32 0x7f800000, v[2:3]
	s_xor_b32 s25, exec_lo, s7
	s_cbranch_execz .LBB6_8876
; %bb.8859:                             ;   in Loop: Header=BB6_8046 Depth=2
	v_dual_mov_b32 v3, v5 :: v_dual_lshrrev_b32 v1, 24, v0
	v_and_b32_e32 v2, 0x7fffffff, v0
                                        ; implicit-def: $vgpr53
	s_mov_b32 s7, exec_lo
	s_delay_alu instid0(VALU_DEP_2) | instskip(NEXT) | instid1(VALU_DEP_2)
	v_and_b32_e32 v27, 0x80, v1
	v_cmpx_gt_u64_e32 0x47600001, v[2:3]
	s_xor_b32 s26, exec_lo, s7
	s_cbranch_execz .LBB6_8873
; %bb.8860:                             ;   in Loop: Header=BB6_8046 Depth=2
	v_mov_b32_e32 v53, 0
	s_mov_b32 s27, exec_lo
	v_cmpx_ne_u32_e32 0, v0
	s_cbranch_execz .LBB6_8872
; %bb.8861:                             ;   in Loop: Header=BB6_8046 Depth=2
	v_bfe_u32 v29, v0, 23, 8
	v_or_b32_e32 v2, 0x800000, v4
	s_mov_b32 s28, exec_lo
	s_delay_alu instid0(VALU_DEP_2) | instskip(SKIP_1) | instid1(VALU_DEP_2)
	v_dual_mov_b32 v3, v5 :: v_dual_sub_nc_u32 v0, 0x71, v29
	v_cmp_gt_u32_e32 vcc_lo, 0x72, v29
	v_cndmask_b32_e32 v0, 0, v0, vcc_lo
	v_cmp_eq_u32_e32 vcc_lo, 0, v29
	s_delay_alu instid0(VALU_DEP_2) | instskip(NEXT) | instid1(VALU_DEP_1)
	v_cndmask_b32_e64 v33, v0, 0x70, vcc_lo
	v_dual_cndmask_b32 v2, v2, v4, vcc_lo :: v_dual_add_nc_u32 v0, 21, v33
	v_add_nc_u32_e32 v26, 20, v33
	s_delay_alu instid0(VALU_DEP_2) | instskip(NEXT) | instid1(VALU_DEP_2)
	v_lshlrev_b64_e64 v[0:1], v0, -1
	v_lshlrev_b64_e64 v[54:55], v26, 1
	s_delay_alu instid0(VALU_DEP_2) | instskip(NEXT) | instid1(VALU_DEP_3)
	v_bfi_b32 v65, v1, 0, 0
	v_bfi_b32 v64, v0, 0, v2
	v_lshrrev_b64 v[0:1], v33, v[2:3]
	s_delay_alu instid0(VALU_DEP_1) | instskip(NEXT) | instid1(VALU_DEP_3)
	v_mov_b64_e32 v[2:3], v[0:1]
	v_cmpx_eq_u64_e64 v[64:65], v[54:55]
; %bb.8862:                             ;   in Loop: Header=BB6_8046 Depth=2
	v_bfe_u32 v2, v0, 21, 1
	v_mov_b32_e32 v3, v5
	s_delay_alu instid0(VALU_DEP_1) | instskip(NEXT) | instid1(VALU_DEP_1)
	v_add_nc_u64_e32 v[2:3], v[0:1], v[2:3]
	v_add_nc_u64_e32 v[2:3], -1, v[2:3]
; %bb.8863:                             ;   in Loop: Header=BB6_8046 Depth=2
	s_or_b32 exec_lo, exec_lo, s28
	v_add_nc_u32_e32 v1, 0xffffff81, v29
	s_delay_alu instid0(VALU_DEP_2) | instskip(SKIP_2) | instid1(VALU_DEP_3)
	v_and_b32_e32 v2, 0x1fffff, v2
	v_lshrrev_b32_e32 v3, 23, v0
	s_mov_b32 s7, exec_lo
	v_cndmask_b32_e64 v1, v1, 0xffffff82, vcc_lo
	s_delay_alu instid0(VALU_DEP_3) | instskip(NEXT) | instid1(VALU_DEP_2)
	v_add_nc_u32_e32 v4, v2, v0
                                        ; implicit-def: $vgpr2
	v_add3_u32 v3, v33, v1, v3
                                        ; implicit-def: $vgpr0_vgpr1
	s_delay_alu instid0(VALU_DEP_1) | instskip(NEXT) | instid1(VALU_DEP_1)
	v_add_nc_u32_e32 v29, 14, v3
	v_cmpx_ne_u32_e32 0, v29
	s_xor_b32 s7, exec_lo, s7
; %bb.8864:                             ;   in Loop: Header=BB6_8046 Depth=2
	v_cmp_lt_u64_e32 vcc_lo, 0xffffff, v[4:5]
	v_add_nc_u32_e32 v0, 15, v3
	s_delay_alu instid0(VALU_DEP_1) | instskip(SKIP_1) | instid1(VALU_DEP_1)
	v_cndmask_b32_e32 v2, v29, v0, vcc_lo
	v_cndmask_b32_e64 v0, 0, 1, vcc_lo
	v_lshrrev_b64 v[0:1], v0, v[4:5]
; %bb.8865:                             ;   in Loop: Header=BB6_8046 Depth=2
	s_and_not1_saveexec_b32 s7, s7
; %bb.8866:                             ;   in Loop: Header=BB6_8046 Depth=2
	v_mov_b64_e32 v[0:1], v[4:5]
	v_bfe_u32 v2, v4, 23, 1
; %bb.8867:                             ;   in Loop: Header=BB6_8046 Depth=2
	s_or_b32 exec_lo, exec_lo, s7
	s_delay_alu instid0(VALU_DEP_2) | instskip(NEXT) | instid1(VALU_DEP_2)
	v_lshrrev_b64 v[0:1], 21, v[0:1]
	v_cmp_gt_i32_e32 vcc_lo, 32, v2
	v_cmp_ne_u32_e64 s7, 0, v2
                                        ; implicit-def: $vgpr53
	s_delay_alu instid0(VALU_DEP_3) | instskip(NEXT) | instid1(VALU_DEP_1)
	v_dual_cndmask_b32 v1, 0, v1 :: v_dual_cndmask_b32 v0, 3, v0
	v_cmp_ne_u64_e32 vcc_lo, 0, v[0:1]
	s_or_b32 s7, s7, vcc_lo
	s_delay_alu instid0(SALU_CYCLE_1) | instskip(NEXT) | instid1(SALU_CYCLE_1)
	s_and_saveexec_b32 s28, s7
	s_xor_b32 s7, exec_lo, s28
; %bb.8868:                             ;   in Loop: Header=BB6_8046 Depth=2
	v_min_i32_e32 v1, 31, v2
	s_delay_alu instid0(VALU_DEP_1) | instskip(NEXT) | instid1(VALU_DEP_1)
	v_lshl_or_b32 v1, v1, 2, v27
                                        ; implicit-def: $vgpr27
	v_and_or_b32 v53, v0, 3, v1
; %bb.8869:                             ;   in Loop: Header=BB6_8046 Depth=2
	s_and_not1_saveexec_b32 s7, s7
; %bb.8870:                             ;   in Loop: Header=BB6_8046 Depth=2
	v_mov_b32_e32 v53, v27
; %bb.8871:                             ;   in Loop: Header=BB6_8046 Depth=2
	s_or_b32 exec_lo, exec_lo, s7
.LBB6_8872:                             ;   in Loop: Header=BB6_8046 Depth=2
	s_delay_alu instid0(SALU_CYCLE_1)
	s_or_b32 exec_lo, exec_lo, s27
                                        ; implicit-def: $vgpr27
.LBB6_8873:                             ;   in Loop: Header=BB6_8046 Depth=2
	s_and_not1_saveexec_b32 s7, s26
; %bb.8874:                             ;   in Loop: Header=BB6_8046 Depth=2
	v_or_b32_e32 v53, 0x7b, v27
; %bb.8875:                             ;   in Loop: Header=BB6_8046 Depth=2
	s_or_b32 exec_lo, exec_lo, s7
                                        ; implicit-def: $vgpr0
.LBB6_8876:                             ;   in Loop: Header=BB6_8046 Depth=2
	s_and_not1_saveexec_b32 s7, s25
	s_cbranch_execz .LBB6_8882
; %bb.8877:                             ;   in Loop: Header=BB6_8046 Depth=2
	s_mov_b32 s25, exec_lo
                                        ; implicit-def: $vgpr53
	v_cmpx_ne_u64_e32 0, v[4:5]
	s_xor_b32 s25, exec_lo, s25
; %bb.8878:                             ;   in Loop: Header=BB6_8046 Depth=2
	v_lshrrev_b32_e32 v0, 24, v0
	s_delay_alu instid0(VALU_DEP_1)
	v_or_b32_e32 v53, 0x7f, v0
                                        ; implicit-def: $vgpr0
; %bb.8879:                             ;   in Loop: Header=BB6_8046 Depth=2
	s_and_not1_saveexec_b32 s25, s25
; %bb.8880:                             ;   in Loop: Header=BB6_8046 Depth=2
	v_cmp_lt_i32_e32 vcc_lo, -1, v0
	v_cndmask_b32_e64 v53, -4, 0x7c, vcc_lo
; %bb.8881:                             ;   in Loop: Header=BB6_8046 Depth=2
	s_or_b32 exec_lo, exec_lo, s25
.LBB6_8882:                             ;   in Loop: Header=BB6_8046 Depth=2
	s_delay_alu instid0(SALU_CYCLE_1)
	s_or_b32 exec_lo, exec_lo, s7
	v_dual_mov_b32 v0, 0 :: v_dual_mov_b32 v1, 0
	s_mov_b32 s7, exec_lo
	v_cmpx_ne_u16_e32 0, v78
	s_cbranch_execz .LBB6_8892
; %bb.8883:                             ;   in Loop: Header=BB6_8046 Depth=2
	v_bfrev_b32_e32 v1, 1
	s_mov_b32 s25, exec_lo
	v_cmpx_ne_u16_e32 0xff80, v78
	s_cbranch_execz .LBB6_8891
; %bb.8884:                             ;   in Loop: Header=BB6_8046 Depth=2
	v_and_b32_e32 v1, 0x7c, v78
	v_and_b32_e32 v2, 3, v78
	s_delay_alu instid0(VALU_DEP_2) | instskip(SKIP_1) | instid1(SALU_CYCLE_1)
	v_cmp_ne_u32_e32 vcc_lo, 0x7c, v1
                                        ; implicit-def: $vgpr1
	s_and_saveexec_b32 s26, vcc_lo
	s_xor_b32 s26, exec_lo, s26
	s_cbranch_execz .LBB6_8888
; %bb.8885:                             ;   in Loop: Header=BB6_8046 Depth=2
	v_and_b32_e32 v1, 0xff, v78
	s_mov_b32 s27, exec_lo
	s_delay_alu instid0(VALU_DEP_1) | instskip(NEXT) | instid1(VALU_DEP_1)
	v_bfe_u32 v1, v1, 2, 5
	v_cmpx_eq_u32_e32 0, v1
	s_cbranch_execz .LBB6_8887
; %bb.8886:                             ;   in Loop: Header=BB6_8046 Depth=2
	v_clz_i32_u32_e32 v1, v2
	s_delay_alu instid0(VALU_DEP_1) | instskip(SKIP_1) | instid1(VALU_DEP_2)
	v_min_u32_e32 v1, 32, v1
	v_mov_b32_e32 v79, v5
	v_subrev_nc_u32_e32 v2, 29, v1
	v_sub_nc_u32_e32 v1, 30, v1
	s_delay_alu instid0(VALU_DEP_2) | instskip(NEXT) | instid1(VALU_DEP_1)
	v_lshlrev_b64_e32 v[2:3], v2, v[78:79]
	v_and_b32_e32 v2, 3, v2
.LBB6_8887:                             ;   in Loop: Header=BB6_8046 Depth=2
	s_or_b32 exec_lo, exec_lo, s27
	v_bfe_i32 v3, v78, 0, 16
                                        ; implicit-def: $vgpr78
	s_delay_alu instid0(VALU_DEP_1) | instskip(NEXT) | instid1(VALU_DEP_1)
	v_and_b32_e32 v3, 0x80000000, v3
	v_lshl_add_u32 v1, v1, 23, v3
	s_delay_alu instid0(VALU_DEP_1) | instskip(NEXT) | instid1(VALU_DEP_1)
	v_lshl_or_b32 v1, v2, 21, v1
                                        ; implicit-def: $vgpr2
	v_add_nc_u32_e32 v1, 0x38000000, v1
.LBB6_8888:                             ;   in Loop: Header=BB6_8046 Depth=2
	s_and_not1_saveexec_b32 s26, s26
; %bb.8889:                             ;   in Loop: Header=BB6_8046 Depth=2
	v_cmp_lt_i16_e32 vcc_lo, -1, v78
	v_cndmask_b32_e32 v1, 0xff800000, v105, vcc_lo
	v_cmp_eq_u32_e32 vcc_lo, 0, v2
	s_delay_alu instid0(VALU_DEP_2)
	v_cndmask_b32_e32 v1, 0x7f800001, v1, vcc_lo
; %bb.8890:                             ;   in Loop: Header=BB6_8046 Depth=2
	s_or_b32 exec_lo, exec_lo, s26
.LBB6_8891:                             ;   in Loop: Header=BB6_8046 Depth=2
	s_delay_alu instid0(SALU_CYCLE_1)
	s_or_b32 exec_lo, exec_lo, s25
.LBB6_8892:                             ;   in Loop: Header=BB6_8046 Depth=2
	s_delay_alu instid0(SALU_CYCLE_1) | instskip(NEXT) | instid1(SALU_CYCLE_1)
	s_or_b32 exec_lo, exec_lo, s7
	s_mov_b32 s7, exec_lo
	v_cmpx_ne_u16_e32 0, v76
	s_cbranch_execz .LBB6_8902
; %bb.8893:                             ;   in Loop: Header=BB6_8046 Depth=2
	v_bfrev_b32_e32 v0, 1
	s_mov_b32 s25, exec_lo
	v_cmpx_ne_u16_e32 0xff80, v76
	s_cbranch_execz .LBB6_8901
; %bb.8894:                             ;   in Loop: Header=BB6_8046 Depth=2
	v_and_b32_e32 v0, 0x7c, v76
	v_and_b32_e32 v2, 3, v76
	s_delay_alu instid0(VALU_DEP_2) | instskip(SKIP_1) | instid1(SALU_CYCLE_1)
	v_cmp_ne_u32_e32 vcc_lo, 0x7c, v0
                                        ; implicit-def: $vgpr0
	s_and_saveexec_b32 s26, vcc_lo
	s_xor_b32 s26, exec_lo, s26
	s_cbranch_execz .LBB6_8898
; %bb.8895:                             ;   in Loop: Header=BB6_8046 Depth=2
	v_and_b32_e32 v0, 0xff, v76
	s_mov_b32 s27, exec_lo
	s_delay_alu instid0(VALU_DEP_1) | instskip(NEXT) | instid1(VALU_DEP_1)
	v_bfe_u32 v0, v0, 2, 5
	v_cmpx_eq_u32_e32 0, v0
	s_cbranch_execz .LBB6_8897
; %bb.8896:                             ;   in Loop: Header=BB6_8046 Depth=2
	v_clz_i32_u32_e32 v0, v2
	s_delay_alu instid0(VALU_DEP_1) | instskip(SKIP_1) | instid1(VALU_DEP_2)
	v_min_u32_e32 v0, 32, v0
	v_mov_b32_e32 v77, v5
	v_subrev_nc_u32_e32 v2, 29, v0
	v_sub_nc_u32_e32 v0, 30, v0
	s_delay_alu instid0(VALU_DEP_2) | instskip(NEXT) | instid1(VALU_DEP_1)
	v_lshlrev_b64_e32 v[2:3], v2, v[76:77]
	v_and_b32_e32 v2, 3, v2
.LBB6_8897:                             ;   in Loop: Header=BB6_8046 Depth=2
	s_or_b32 exec_lo, exec_lo, s27
	v_bfe_i32 v3, v76, 0, 16
                                        ; implicit-def: $vgpr76
	s_delay_alu instid0(VALU_DEP_1) | instskip(NEXT) | instid1(VALU_DEP_1)
	v_and_b32_e32 v3, 0x80000000, v3
	v_lshl_add_u32 v0, v0, 23, v3
	s_delay_alu instid0(VALU_DEP_1) | instskip(NEXT) | instid1(VALU_DEP_1)
	v_lshl_or_b32 v0, v2, 21, v0
                                        ; implicit-def: $vgpr2
	v_add_nc_u32_e32 v0, 0x38000000, v0
.LBB6_8898:                             ;   in Loop: Header=BB6_8046 Depth=2
	s_and_not1_saveexec_b32 s26, s26
; %bb.8899:                             ;   in Loop: Header=BB6_8046 Depth=2
	v_cmp_lt_i16_e32 vcc_lo, -1, v76
	v_cndmask_b32_e32 v0, 0xff800000, v105, vcc_lo
	v_cmp_eq_u32_e32 vcc_lo, 0, v2
	s_delay_alu instid0(VALU_DEP_2)
	v_cndmask_b32_e32 v0, 0x7f800001, v0, vcc_lo
; %bb.8900:                             ;   in Loop: Header=BB6_8046 Depth=2
	s_or_b32 exec_lo, exec_lo, s26
.LBB6_8901:                             ;   in Loop: Header=BB6_8046 Depth=2
	s_delay_alu instid0(SALU_CYCLE_1)
	s_or_b32 exec_lo, exec_lo, s25
.LBB6_8902:                             ;   in Loop: Header=BB6_8046 Depth=2
	s_delay_alu instid0(SALU_CYCLE_1) | instskip(NEXT) | instid1(VALU_DEP_1)
	s_or_b32 exec_lo, exec_lo, s7
	v_mul_f32_e32 v0, v1, v0
	v_mov_b32_e32 v3, v5
                                        ; implicit-def: $vgpr54
	s_mov_b32 s7, exec_lo
	s_delay_alu instid0(VALU_DEP_2) | instskip(SKIP_1) | instid1(VALU_DEP_2)
	v_and_b32_e32 v2, 0x7f800000, v0
	v_and_b32_e32 v4, 0x7fffff, v0
	v_cmpx_ne_u64_e32 0x7f800000, v[2:3]
	s_xor_b32 s25, exec_lo, s7
	s_cbranch_execz .LBB6_8920
; %bb.8903:                             ;   in Loop: Header=BB6_8046 Depth=2
	v_dual_mov_b32 v3, v5 :: v_dual_lshrrev_b32 v1, 24, v0
	v_and_b32_e32 v2, 0x7fffffff, v0
                                        ; implicit-def: $vgpr54
	s_mov_b32 s7, exec_lo
	s_delay_alu instid0(VALU_DEP_2) | instskip(NEXT) | instid1(VALU_DEP_2)
	v_and_b32_e32 v27, 0x80, v1
	v_cmpx_gt_u64_e32 0x47600001, v[2:3]
	s_xor_b32 s26, exec_lo, s7
	s_cbranch_execz .LBB6_8917
; %bb.8904:                             ;   in Loop: Header=BB6_8046 Depth=2
	v_mov_b32_e32 v54, 0
	s_mov_b32 s27, exec_lo
	v_cmpx_ne_u32_e32 0, v0
	s_cbranch_execz .LBB6_8916
; %bb.8905:                             ;   in Loop: Header=BB6_8046 Depth=2
	v_bfe_u32 v29, v0, 23, 8
	v_or_b32_e32 v2, 0x800000, v4
	s_mov_b32 s28, exec_lo
	s_delay_alu instid0(VALU_DEP_2) | instskip(SKIP_1) | instid1(VALU_DEP_2)
	v_dual_mov_b32 v3, v5 :: v_dual_sub_nc_u32 v0, 0x71, v29
	v_cmp_gt_u32_e32 vcc_lo, 0x72, v29
	v_cndmask_b32_e32 v0, 0, v0, vcc_lo
	v_cmp_eq_u32_e32 vcc_lo, 0, v29
	s_delay_alu instid0(VALU_DEP_2) | instskip(NEXT) | instid1(VALU_DEP_1)
	v_cndmask_b32_e64 v33, v0, 0x70, vcc_lo
	v_dual_cndmask_b32 v2, v2, v4, vcc_lo :: v_dual_add_nc_u32 v0, 21, v33
	v_add_nc_u32_e32 v26, 20, v33
	s_delay_alu instid0(VALU_DEP_2) | instskip(NEXT) | instid1(VALU_DEP_2)
	v_lshlrev_b64_e64 v[0:1], v0, -1
	v_lshlrev_b64_e64 v[54:55], v26, 1
	s_delay_alu instid0(VALU_DEP_2) | instskip(NEXT) | instid1(VALU_DEP_3)
	v_bfi_b32 v65, v1, 0, 0
	v_bfi_b32 v64, v0, 0, v2
	v_lshrrev_b64 v[0:1], v33, v[2:3]
	s_delay_alu instid0(VALU_DEP_1) | instskip(NEXT) | instid1(VALU_DEP_3)
	v_mov_b64_e32 v[2:3], v[0:1]
	v_cmpx_eq_u64_e64 v[64:65], v[54:55]
; %bb.8906:                             ;   in Loop: Header=BB6_8046 Depth=2
	v_bfe_u32 v2, v0, 21, 1
	v_mov_b32_e32 v3, v5
	s_delay_alu instid0(VALU_DEP_1) | instskip(NEXT) | instid1(VALU_DEP_1)
	v_add_nc_u64_e32 v[2:3], v[0:1], v[2:3]
	v_add_nc_u64_e32 v[2:3], -1, v[2:3]
; %bb.8907:                             ;   in Loop: Header=BB6_8046 Depth=2
	s_or_b32 exec_lo, exec_lo, s28
	v_add_nc_u32_e32 v1, 0xffffff81, v29
	s_delay_alu instid0(VALU_DEP_2) | instskip(SKIP_2) | instid1(VALU_DEP_3)
	v_and_b32_e32 v2, 0x1fffff, v2
	v_lshrrev_b32_e32 v3, 23, v0
	s_mov_b32 s7, exec_lo
	v_cndmask_b32_e64 v1, v1, 0xffffff82, vcc_lo
	s_delay_alu instid0(VALU_DEP_3) | instskip(NEXT) | instid1(VALU_DEP_2)
	v_add_nc_u32_e32 v4, v2, v0
                                        ; implicit-def: $vgpr2
	v_add3_u32 v3, v33, v1, v3
                                        ; implicit-def: $vgpr0_vgpr1
	s_delay_alu instid0(VALU_DEP_1) | instskip(NEXT) | instid1(VALU_DEP_1)
	v_add_nc_u32_e32 v29, 14, v3
	v_cmpx_ne_u32_e32 0, v29
	s_xor_b32 s7, exec_lo, s7
; %bb.8908:                             ;   in Loop: Header=BB6_8046 Depth=2
	v_cmp_lt_u64_e32 vcc_lo, 0xffffff, v[4:5]
	v_add_nc_u32_e32 v0, 15, v3
	s_delay_alu instid0(VALU_DEP_1) | instskip(SKIP_1) | instid1(VALU_DEP_1)
	v_cndmask_b32_e32 v2, v29, v0, vcc_lo
	v_cndmask_b32_e64 v0, 0, 1, vcc_lo
	v_lshrrev_b64 v[0:1], v0, v[4:5]
; %bb.8909:                             ;   in Loop: Header=BB6_8046 Depth=2
	s_and_not1_saveexec_b32 s7, s7
; %bb.8910:                             ;   in Loop: Header=BB6_8046 Depth=2
	v_mov_b64_e32 v[0:1], v[4:5]
	v_bfe_u32 v2, v4, 23, 1
; %bb.8911:                             ;   in Loop: Header=BB6_8046 Depth=2
	s_or_b32 exec_lo, exec_lo, s7
	s_delay_alu instid0(VALU_DEP_2) | instskip(NEXT) | instid1(VALU_DEP_2)
	v_lshrrev_b64 v[0:1], 21, v[0:1]
	v_cmp_gt_i32_e32 vcc_lo, 32, v2
	v_cmp_ne_u32_e64 s7, 0, v2
                                        ; implicit-def: $vgpr54
	s_delay_alu instid0(VALU_DEP_3) | instskip(NEXT) | instid1(VALU_DEP_1)
	v_dual_cndmask_b32 v1, 0, v1 :: v_dual_cndmask_b32 v0, 3, v0
	v_cmp_ne_u64_e32 vcc_lo, 0, v[0:1]
	s_or_b32 s7, s7, vcc_lo
	s_delay_alu instid0(SALU_CYCLE_1) | instskip(NEXT) | instid1(SALU_CYCLE_1)
	s_and_saveexec_b32 s28, s7
	s_xor_b32 s7, exec_lo, s28
; %bb.8912:                             ;   in Loop: Header=BB6_8046 Depth=2
	v_min_i32_e32 v1, 31, v2
	s_delay_alu instid0(VALU_DEP_1) | instskip(NEXT) | instid1(VALU_DEP_1)
	v_lshl_or_b32 v1, v1, 2, v27
                                        ; implicit-def: $vgpr27
	v_and_or_b32 v54, v0, 3, v1
; %bb.8913:                             ;   in Loop: Header=BB6_8046 Depth=2
	s_and_not1_saveexec_b32 s7, s7
; %bb.8914:                             ;   in Loop: Header=BB6_8046 Depth=2
	v_mov_b32_e32 v54, v27
; %bb.8915:                             ;   in Loop: Header=BB6_8046 Depth=2
	s_or_b32 exec_lo, exec_lo, s7
.LBB6_8916:                             ;   in Loop: Header=BB6_8046 Depth=2
	s_delay_alu instid0(SALU_CYCLE_1)
	s_or_b32 exec_lo, exec_lo, s27
                                        ; implicit-def: $vgpr27
.LBB6_8917:                             ;   in Loop: Header=BB6_8046 Depth=2
	s_and_not1_saveexec_b32 s7, s26
; %bb.8918:                             ;   in Loop: Header=BB6_8046 Depth=2
	v_or_b32_e32 v54, 0x7b, v27
; %bb.8919:                             ;   in Loop: Header=BB6_8046 Depth=2
	s_or_b32 exec_lo, exec_lo, s7
                                        ; implicit-def: $vgpr0
.LBB6_8920:                             ;   in Loop: Header=BB6_8046 Depth=2
	s_and_not1_saveexec_b32 s7, s25
	s_cbranch_execz .LBB6_8926
; %bb.8921:                             ;   in Loop: Header=BB6_8046 Depth=2
	s_mov_b32 s25, exec_lo
                                        ; implicit-def: $vgpr54
	v_cmpx_ne_u64_e32 0, v[4:5]
	s_xor_b32 s25, exec_lo, s25
; %bb.8922:                             ;   in Loop: Header=BB6_8046 Depth=2
	v_lshrrev_b32_e32 v0, 24, v0
	s_delay_alu instid0(VALU_DEP_1)
	v_or_b32_e32 v54, 0x7f, v0
                                        ; implicit-def: $vgpr0
; %bb.8923:                             ;   in Loop: Header=BB6_8046 Depth=2
	s_and_not1_saveexec_b32 s25, s25
; %bb.8924:                             ;   in Loop: Header=BB6_8046 Depth=2
	v_cmp_lt_i32_e32 vcc_lo, -1, v0
	v_cndmask_b32_e64 v54, -4, 0x7c, vcc_lo
; %bb.8925:                             ;   in Loop: Header=BB6_8046 Depth=2
	s_or_b32 exec_lo, exec_lo, s25
.LBB6_8926:                             ;   in Loop: Header=BB6_8046 Depth=2
	s_delay_alu instid0(SALU_CYCLE_1)
	s_or_b32 exec_lo, exec_lo, s7
	v_dual_mov_b32 v0, 0 :: v_dual_mov_b32 v1, 0
	s_mov_b32 s7, exec_lo
	v_cmpx_ne_u16_e32 0, v74
	s_cbranch_execz .LBB6_8936
; %bb.8927:                             ;   in Loop: Header=BB6_8046 Depth=2
	v_bfrev_b32_e32 v1, 1
	s_mov_b32 s25, exec_lo
	v_cmpx_ne_u16_e32 0xff80, v74
	s_cbranch_execz .LBB6_8935
; %bb.8928:                             ;   in Loop: Header=BB6_8046 Depth=2
	v_and_b32_e32 v1, 0x7c, v74
	v_and_b32_e32 v2, 3, v74
	s_delay_alu instid0(VALU_DEP_2) | instskip(SKIP_1) | instid1(SALU_CYCLE_1)
	v_cmp_ne_u32_e32 vcc_lo, 0x7c, v1
                                        ; implicit-def: $vgpr1
	s_and_saveexec_b32 s26, vcc_lo
	s_xor_b32 s26, exec_lo, s26
	s_cbranch_execz .LBB6_8932
; %bb.8929:                             ;   in Loop: Header=BB6_8046 Depth=2
	v_and_b32_e32 v1, 0xff, v74
	s_mov_b32 s27, exec_lo
	s_delay_alu instid0(VALU_DEP_1) | instskip(NEXT) | instid1(VALU_DEP_1)
	v_bfe_u32 v1, v1, 2, 5
	v_cmpx_eq_u32_e32 0, v1
	s_cbranch_execz .LBB6_8931
; %bb.8930:                             ;   in Loop: Header=BB6_8046 Depth=2
	v_clz_i32_u32_e32 v1, v2
	s_delay_alu instid0(VALU_DEP_1) | instskip(SKIP_1) | instid1(VALU_DEP_2)
	v_min_u32_e32 v1, 32, v1
	v_mov_b32_e32 v75, v5
	v_subrev_nc_u32_e32 v2, 29, v1
	v_sub_nc_u32_e32 v1, 30, v1
	s_delay_alu instid0(VALU_DEP_2) | instskip(NEXT) | instid1(VALU_DEP_1)
	v_lshlrev_b64_e32 v[2:3], v2, v[74:75]
	v_and_b32_e32 v2, 3, v2
.LBB6_8931:                             ;   in Loop: Header=BB6_8046 Depth=2
	s_or_b32 exec_lo, exec_lo, s27
	v_bfe_i32 v3, v74, 0, 16
                                        ; implicit-def: $vgpr74
	s_delay_alu instid0(VALU_DEP_1) | instskip(NEXT) | instid1(VALU_DEP_1)
	v_and_b32_e32 v3, 0x80000000, v3
	v_lshl_add_u32 v1, v1, 23, v3
	s_delay_alu instid0(VALU_DEP_1) | instskip(NEXT) | instid1(VALU_DEP_1)
	v_lshl_or_b32 v1, v2, 21, v1
                                        ; implicit-def: $vgpr2
	v_add_nc_u32_e32 v1, 0x38000000, v1
.LBB6_8932:                             ;   in Loop: Header=BB6_8046 Depth=2
	s_and_not1_saveexec_b32 s26, s26
; %bb.8933:                             ;   in Loop: Header=BB6_8046 Depth=2
	v_cmp_lt_i16_e32 vcc_lo, -1, v74
	v_cndmask_b32_e32 v1, 0xff800000, v105, vcc_lo
	v_cmp_eq_u32_e32 vcc_lo, 0, v2
	s_delay_alu instid0(VALU_DEP_2)
	v_cndmask_b32_e32 v1, 0x7f800001, v1, vcc_lo
; %bb.8934:                             ;   in Loop: Header=BB6_8046 Depth=2
	s_or_b32 exec_lo, exec_lo, s26
.LBB6_8935:                             ;   in Loop: Header=BB6_8046 Depth=2
	s_delay_alu instid0(SALU_CYCLE_1)
	s_or_b32 exec_lo, exec_lo, s25
.LBB6_8936:                             ;   in Loop: Header=BB6_8046 Depth=2
	s_delay_alu instid0(SALU_CYCLE_1) | instskip(NEXT) | instid1(SALU_CYCLE_1)
	s_or_b32 exec_lo, exec_lo, s7
	s_mov_b32 s7, exec_lo
	v_cmpx_ne_u16_e32 0, v72
	s_cbranch_execz .LBB6_8946
; %bb.8937:                             ;   in Loop: Header=BB6_8046 Depth=2
	v_bfrev_b32_e32 v0, 1
	s_mov_b32 s25, exec_lo
	v_cmpx_ne_u16_e32 0xff80, v72
	s_cbranch_execz .LBB6_8945
; %bb.8938:                             ;   in Loop: Header=BB6_8046 Depth=2
	v_and_b32_e32 v0, 0x7c, v72
	v_and_b32_e32 v2, 3, v72
	s_delay_alu instid0(VALU_DEP_2) | instskip(SKIP_1) | instid1(SALU_CYCLE_1)
	v_cmp_ne_u32_e32 vcc_lo, 0x7c, v0
                                        ; implicit-def: $vgpr0
	s_and_saveexec_b32 s26, vcc_lo
	s_xor_b32 s26, exec_lo, s26
	s_cbranch_execz .LBB6_8942
; %bb.8939:                             ;   in Loop: Header=BB6_8046 Depth=2
	v_and_b32_e32 v0, 0xff, v72
	s_mov_b32 s27, exec_lo
	s_delay_alu instid0(VALU_DEP_1) | instskip(NEXT) | instid1(VALU_DEP_1)
	v_bfe_u32 v0, v0, 2, 5
	v_cmpx_eq_u32_e32 0, v0
	s_cbranch_execz .LBB6_8941
; %bb.8940:                             ;   in Loop: Header=BB6_8046 Depth=2
	v_clz_i32_u32_e32 v0, v2
	s_delay_alu instid0(VALU_DEP_1) | instskip(SKIP_1) | instid1(VALU_DEP_2)
	v_min_u32_e32 v0, 32, v0
	v_mov_b32_e32 v73, v5
	v_subrev_nc_u32_e32 v2, 29, v0
	v_sub_nc_u32_e32 v0, 30, v0
	s_delay_alu instid0(VALU_DEP_2) | instskip(NEXT) | instid1(VALU_DEP_1)
	v_lshlrev_b64_e32 v[2:3], v2, v[72:73]
	v_and_b32_e32 v2, 3, v2
.LBB6_8941:                             ;   in Loop: Header=BB6_8046 Depth=2
	s_or_b32 exec_lo, exec_lo, s27
	v_bfe_i32 v3, v72, 0, 16
                                        ; implicit-def: $vgpr72
	s_delay_alu instid0(VALU_DEP_1) | instskip(NEXT) | instid1(VALU_DEP_1)
	v_and_b32_e32 v3, 0x80000000, v3
	v_lshl_add_u32 v0, v0, 23, v3
	s_delay_alu instid0(VALU_DEP_1) | instskip(NEXT) | instid1(VALU_DEP_1)
	v_lshl_or_b32 v0, v2, 21, v0
                                        ; implicit-def: $vgpr2
	v_add_nc_u32_e32 v0, 0x38000000, v0
.LBB6_8942:                             ;   in Loop: Header=BB6_8046 Depth=2
	s_and_not1_saveexec_b32 s26, s26
; %bb.8943:                             ;   in Loop: Header=BB6_8046 Depth=2
	v_cmp_lt_i16_e32 vcc_lo, -1, v72
	v_cndmask_b32_e32 v0, 0xff800000, v105, vcc_lo
	v_cmp_eq_u32_e32 vcc_lo, 0, v2
	s_delay_alu instid0(VALU_DEP_2)
	v_cndmask_b32_e32 v0, 0x7f800001, v0, vcc_lo
; %bb.8944:                             ;   in Loop: Header=BB6_8046 Depth=2
	s_or_b32 exec_lo, exec_lo, s26
.LBB6_8945:                             ;   in Loop: Header=BB6_8046 Depth=2
	s_delay_alu instid0(SALU_CYCLE_1)
	s_or_b32 exec_lo, exec_lo, s25
.LBB6_8946:                             ;   in Loop: Header=BB6_8046 Depth=2
	s_delay_alu instid0(SALU_CYCLE_1) | instskip(NEXT) | instid1(VALU_DEP_1)
	s_or_b32 exec_lo, exec_lo, s7
	v_mul_f32_e32 v0, v1, v0
	v_mov_b32_e32 v3, v5
                                        ; implicit-def: $vgpr55
	s_mov_b32 s7, exec_lo
	s_delay_alu instid0(VALU_DEP_2) | instskip(SKIP_1) | instid1(VALU_DEP_2)
	v_and_b32_e32 v2, 0x7f800000, v0
	v_and_b32_e32 v4, 0x7fffff, v0
	v_cmpx_ne_u64_e32 0x7f800000, v[2:3]
	s_xor_b32 s25, exec_lo, s7
	s_cbranch_execz .LBB6_8964
; %bb.8947:                             ;   in Loop: Header=BB6_8046 Depth=2
	v_dual_mov_b32 v3, v5 :: v_dual_lshrrev_b32 v1, 24, v0
	v_and_b32_e32 v2, 0x7fffffff, v0
                                        ; implicit-def: $vgpr55
	s_mov_b32 s7, exec_lo
	s_delay_alu instid0(VALU_DEP_2) | instskip(NEXT) | instid1(VALU_DEP_2)
	v_and_b32_e32 v27, 0x80, v1
	v_cmpx_gt_u64_e32 0x47600001, v[2:3]
	s_xor_b32 s26, exec_lo, s7
	s_cbranch_execz .LBB6_8961
; %bb.8948:                             ;   in Loop: Header=BB6_8046 Depth=2
	v_mov_b32_e32 v55, 0
	s_mov_b32 s27, exec_lo
	v_cmpx_ne_u32_e32 0, v0
	s_cbranch_execz .LBB6_8960
; %bb.8949:                             ;   in Loop: Header=BB6_8046 Depth=2
	v_bfe_u32 v29, v0, 23, 8
	v_or_b32_e32 v2, 0x800000, v4
	s_mov_b32 s28, exec_lo
	s_delay_alu instid0(VALU_DEP_2) | instskip(SKIP_1) | instid1(VALU_DEP_2)
	v_dual_mov_b32 v3, v5 :: v_dual_sub_nc_u32 v0, 0x71, v29
	v_cmp_gt_u32_e32 vcc_lo, 0x72, v29
	v_cndmask_b32_e32 v0, 0, v0, vcc_lo
	v_cmp_eq_u32_e32 vcc_lo, 0, v29
	s_delay_alu instid0(VALU_DEP_2) | instskip(NEXT) | instid1(VALU_DEP_1)
	v_cndmask_b32_e64 v33, v0, 0x70, vcc_lo
	v_dual_cndmask_b32 v2, v2, v4, vcc_lo :: v_dual_add_nc_u32 v0, 21, v33
	v_add_nc_u32_e32 v26, 20, v33
	s_delay_alu instid0(VALU_DEP_2) | instskip(NEXT) | instid1(VALU_DEP_2)
	v_lshlrev_b64_e64 v[0:1], v0, -1
	v_lshlrev_b64_e64 v[64:65], v26, 1
	s_delay_alu instid0(VALU_DEP_2) | instskip(NEXT) | instid1(VALU_DEP_3)
	v_bfi_b32 v67, v1, 0, 0
	v_bfi_b32 v66, v0, 0, v2
	v_lshrrev_b64 v[0:1], v33, v[2:3]
	s_delay_alu instid0(VALU_DEP_1) | instskip(NEXT) | instid1(VALU_DEP_3)
	v_mov_b64_e32 v[2:3], v[0:1]
	v_cmpx_eq_u64_e64 v[66:67], v[64:65]
; %bb.8950:                             ;   in Loop: Header=BB6_8046 Depth=2
	v_bfe_u32 v2, v0, 21, 1
	v_mov_b32_e32 v3, v5
	s_delay_alu instid0(VALU_DEP_1) | instskip(NEXT) | instid1(VALU_DEP_1)
	v_add_nc_u64_e32 v[2:3], v[0:1], v[2:3]
	v_add_nc_u64_e32 v[2:3], -1, v[2:3]
; %bb.8951:                             ;   in Loop: Header=BB6_8046 Depth=2
	s_or_b32 exec_lo, exec_lo, s28
	v_add_nc_u32_e32 v1, 0xffffff81, v29
	s_delay_alu instid0(VALU_DEP_2) | instskip(SKIP_2) | instid1(VALU_DEP_3)
	v_and_b32_e32 v2, 0x1fffff, v2
	v_lshrrev_b32_e32 v3, 23, v0
	s_mov_b32 s7, exec_lo
	v_cndmask_b32_e64 v1, v1, 0xffffff82, vcc_lo
	s_delay_alu instid0(VALU_DEP_3) | instskip(NEXT) | instid1(VALU_DEP_2)
	v_add_nc_u32_e32 v4, v2, v0
                                        ; implicit-def: $vgpr2
	v_add3_u32 v3, v33, v1, v3
                                        ; implicit-def: $vgpr0_vgpr1
	s_delay_alu instid0(VALU_DEP_1) | instskip(NEXT) | instid1(VALU_DEP_1)
	v_add_nc_u32_e32 v29, 14, v3
	v_cmpx_ne_u32_e32 0, v29
	s_xor_b32 s7, exec_lo, s7
; %bb.8952:                             ;   in Loop: Header=BB6_8046 Depth=2
	v_cmp_lt_u64_e32 vcc_lo, 0xffffff, v[4:5]
	v_add_nc_u32_e32 v0, 15, v3
	s_delay_alu instid0(VALU_DEP_1) | instskip(SKIP_1) | instid1(VALU_DEP_1)
	v_cndmask_b32_e32 v2, v29, v0, vcc_lo
	v_cndmask_b32_e64 v0, 0, 1, vcc_lo
	v_lshrrev_b64 v[0:1], v0, v[4:5]
; %bb.8953:                             ;   in Loop: Header=BB6_8046 Depth=2
	s_and_not1_saveexec_b32 s7, s7
; %bb.8954:                             ;   in Loop: Header=BB6_8046 Depth=2
	v_mov_b64_e32 v[0:1], v[4:5]
	v_bfe_u32 v2, v4, 23, 1
; %bb.8955:                             ;   in Loop: Header=BB6_8046 Depth=2
	s_or_b32 exec_lo, exec_lo, s7
	s_delay_alu instid0(VALU_DEP_2) | instskip(NEXT) | instid1(VALU_DEP_2)
	v_lshrrev_b64 v[0:1], 21, v[0:1]
	v_cmp_gt_i32_e32 vcc_lo, 32, v2
	v_cmp_ne_u32_e64 s7, 0, v2
                                        ; implicit-def: $vgpr55
	s_delay_alu instid0(VALU_DEP_3) | instskip(NEXT) | instid1(VALU_DEP_1)
	v_dual_cndmask_b32 v1, 0, v1 :: v_dual_cndmask_b32 v0, 3, v0
	v_cmp_ne_u64_e32 vcc_lo, 0, v[0:1]
	s_or_b32 s7, s7, vcc_lo
	s_delay_alu instid0(SALU_CYCLE_1) | instskip(NEXT) | instid1(SALU_CYCLE_1)
	s_and_saveexec_b32 s28, s7
	s_xor_b32 s7, exec_lo, s28
; %bb.8956:                             ;   in Loop: Header=BB6_8046 Depth=2
	v_min_i32_e32 v1, 31, v2
	s_delay_alu instid0(VALU_DEP_1) | instskip(NEXT) | instid1(VALU_DEP_1)
	v_lshl_or_b32 v1, v1, 2, v27
                                        ; implicit-def: $vgpr27
	v_and_or_b32 v55, v0, 3, v1
; %bb.8957:                             ;   in Loop: Header=BB6_8046 Depth=2
	s_and_not1_saveexec_b32 s7, s7
; %bb.8958:                             ;   in Loop: Header=BB6_8046 Depth=2
	v_mov_b32_e32 v55, v27
; %bb.8959:                             ;   in Loop: Header=BB6_8046 Depth=2
	s_or_b32 exec_lo, exec_lo, s7
.LBB6_8960:                             ;   in Loop: Header=BB6_8046 Depth=2
	s_delay_alu instid0(SALU_CYCLE_1)
	s_or_b32 exec_lo, exec_lo, s27
                                        ; implicit-def: $vgpr27
.LBB6_8961:                             ;   in Loop: Header=BB6_8046 Depth=2
	s_and_not1_saveexec_b32 s7, s26
; %bb.8962:                             ;   in Loop: Header=BB6_8046 Depth=2
	v_or_b32_e32 v55, 0x7b, v27
; %bb.8963:                             ;   in Loop: Header=BB6_8046 Depth=2
	s_or_b32 exec_lo, exec_lo, s7
                                        ; implicit-def: $vgpr0
.LBB6_8964:                             ;   in Loop: Header=BB6_8046 Depth=2
	s_and_not1_saveexec_b32 s7, s25
	s_cbranch_execz .LBB6_8970
; %bb.8965:                             ;   in Loop: Header=BB6_8046 Depth=2
	s_mov_b32 s25, exec_lo
                                        ; implicit-def: $vgpr55
	v_cmpx_ne_u64_e32 0, v[4:5]
	s_xor_b32 s25, exec_lo, s25
; %bb.8966:                             ;   in Loop: Header=BB6_8046 Depth=2
	v_lshrrev_b32_e32 v0, 24, v0
	s_delay_alu instid0(VALU_DEP_1)
	v_or_b32_e32 v55, 0x7f, v0
                                        ; implicit-def: $vgpr0
; %bb.8967:                             ;   in Loop: Header=BB6_8046 Depth=2
	s_and_not1_saveexec_b32 s25, s25
; %bb.8968:                             ;   in Loop: Header=BB6_8046 Depth=2
	v_cmp_lt_i32_e32 vcc_lo, -1, v0
	v_cndmask_b32_e64 v55, -4, 0x7c, vcc_lo
; %bb.8969:                             ;   in Loop: Header=BB6_8046 Depth=2
	s_or_b32 exec_lo, exec_lo, s25
.LBB6_8970:                             ;   in Loop: Header=BB6_8046 Depth=2
	s_delay_alu instid0(SALU_CYCLE_1)
	s_or_b32 exec_lo, exec_lo, s7
	v_dual_mov_b32 v0, 0 :: v_dual_mov_b32 v1, 0
	s_mov_b32 s7, exec_lo
	v_cmpx_ne_u16_e32 0, v62
	s_cbranch_execz .LBB6_8980
; %bb.8971:                             ;   in Loop: Header=BB6_8046 Depth=2
	v_bfrev_b32_e32 v1, 1
	s_mov_b32 s25, exec_lo
	v_cmpx_ne_u16_e32 0xff80, v62
	s_cbranch_execz .LBB6_8979
; %bb.8972:                             ;   in Loop: Header=BB6_8046 Depth=2
	v_and_b32_e32 v1, 0x7c, v62
	v_and_b32_e32 v2, 3, v62
	s_delay_alu instid0(VALU_DEP_2) | instskip(SKIP_1) | instid1(SALU_CYCLE_1)
	v_cmp_ne_u32_e32 vcc_lo, 0x7c, v1
                                        ; implicit-def: $vgpr1
	s_and_saveexec_b32 s26, vcc_lo
	s_xor_b32 s26, exec_lo, s26
	s_cbranch_execz .LBB6_8976
; %bb.8973:                             ;   in Loop: Header=BB6_8046 Depth=2
	v_and_b32_e32 v1, 0xff, v62
	s_mov_b32 s27, exec_lo
	s_delay_alu instid0(VALU_DEP_1) | instskip(NEXT) | instid1(VALU_DEP_1)
	v_bfe_u32 v1, v1, 2, 5
	v_cmpx_eq_u32_e32 0, v1
	s_cbranch_execz .LBB6_8975
; %bb.8974:                             ;   in Loop: Header=BB6_8046 Depth=2
	v_clz_i32_u32_e32 v1, v2
	s_delay_alu instid0(VALU_DEP_1) | instskip(SKIP_1) | instid1(VALU_DEP_2)
	v_min_u32_e32 v1, 32, v1
	v_mov_b32_e32 v63, v5
	v_subrev_nc_u32_e32 v2, 29, v1
	v_sub_nc_u32_e32 v1, 30, v1
	s_delay_alu instid0(VALU_DEP_2) | instskip(NEXT) | instid1(VALU_DEP_1)
	v_lshlrev_b64_e32 v[2:3], v2, v[62:63]
	v_and_b32_e32 v2, 3, v2
.LBB6_8975:                             ;   in Loop: Header=BB6_8046 Depth=2
	s_or_b32 exec_lo, exec_lo, s27
	v_bfe_i32 v3, v62, 0, 16
                                        ; implicit-def: $vgpr62
	s_delay_alu instid0(VALU_DEP_1) | instskip(NEXT) | instid1(VALU_DEP_1)
	v_and_b32_e32 v3, 0x80000000, v3
	v_lshl_add_u32 v1, v1, 23, v3
	s_delay_alu instid0(VALU_DEP_1) | instskip(NEXT) | instid1(VALU_DEP_1)
	v_lshl_or_b32 v1, v2, 21, v1
                                        ; implicit-def: $vgpr2
	v_add_nc_u32_e32 v1, 0x38000000, v1
.LBB6_8976:                             ;   in Loop: Header=BB6_8046 Depth=2
	s_and_not1_saveexec_b32 s26, s26
; %bb.8977:                             ;   in Loop: Header=BB6_8046 Depth=2
	v_cmp_lt_i16_e32 vcc_lo, -1, v62
	v_cndmask_b32_e32 v1, 0xff800000, v105, vcc_lo
	v_cmp_eq_u32_e32 vcc_lo, 0, v2
	s_delay_alu instid0(VALU_DEP_2)
	v_cndmask_b32_e32 v1, 0x7f800001, v1, vcc_lo
; %bb.8978:                             ;   in Loop: Header=BB6_8046 Depth=2
	s_or_b32 exec_lo, exec_lo, s26
.LBB6_8979:                             ;   in Loop: Header=BB6_8046 Depth=2
	s_delay_alu instid0(SALU_CYCLE_1)
	s_or_b32 exec_lo, exec_lo, s25
.LBB6_8980:                             ;   in Loop: Header=BB6_8046 Depth=2
	s_delay_alu instid0(SALU_CYCLE_1) | instskip(NEXT) | instid1(SALU_CYCLE_1)
	s_or_b32 exec_lo, exec_lo, s7
	s_mov_b32 s7, exec_lo
	v_cmpx_ne_u16_e32 0, v60
	s_cbranch_execz .LBB6_8990
; %bb.8981:                             ;   in Loop: Header=BB6_8046 Depth=2
	v_bfrev_b32_e32 v0, 1
	s_mov_b32 s25, exec_lo
	v_cmpx_ne_u16_e32 0xff80, v60
	s_cbranch_execz .LBB6_8989
; %bb.8982:                             ;   in Loop: Header=BB6_8046 Depth=2
	v_and_b32_e32 v0, 0x7c, v60
	v_and_b32_e32 v2, 3, v60
	s_delay_alu instid0(VALU_DEP_2) | instskip(SKIP_1) | instid1(SALU_CYCLE_1)
	v_cmp_ne_u32_e32 vcc_lo, 0x7c, v0
                                        ; implicit-def: $vgpr0
	s_and_saveexec_b32 s26, vcc_lo
	s_xor_b32 s26, exec_lo, s26
	s_cbranch_execz .LBB6_8986
; %bb.8983:                             ;   in Loop: Header=BB6_8046 Depth=2
	v_and_b32_e32 v0, 0xff, v60
	s_mov_b32 s27, exec_lo
	s_delay_alu instid0(VALU_DEP_1) | instskip(NEXT) | instid1(VALU_DEP_1)
	v_bfe_u32 v0, v0, 2, 5
	v_cmpx_eq_u32_e32 0, v0
	s_cbranch_execz .LBB6_8985
; %bb.8984:                             ;   in Loop: Header=BB6_8046 Depth=2
	v_clz_i32_u32_e32 v0, v2
	s_delay_alu instid0(VALU_DEP_1) | instskip(SKIP_1) | instid1(VALU_DEP_2)
	v_min_u32_e32 v0, 32, v0
	v_mov_b32_e32 v61, v5
	v_subrev_nc_u32_e32 v2, 29, v0
	v_sub_nc_u32_e32 v0, 30, v0
	s_delay_alu instid0(VALU_DEP_2) | instskip(NEXT) | instid1(VALU_DEP_1)
	v_lshlrev_b64_e32 v[2:3], v2, v[60:61]
	v_and_b32_e32 v2, 3, v2
.LBB6_8985:                             ;   in Loop: Header=BB6_8046 Depth=2
	s_or_b32 exec_lo, exec_lo, s27
	v_bfe_i32 v3, v60, 0, 16
                                        ; implicit-def: $vgpr60
	s_delay_alu instid0(VALU_DEP_1) | instskip(NEXT) | instid1(VALU_DEP_1)
	v_and_b32_e32 v3, 0x80000000, v3
	v_lshl_add_u32 v0, v0, 23, v3
	s_delay_alu instid0(VALU_DEP_1) | instskip(NEXT) | instid1(VALU_DEP_1)
	v_lshl_or_b32 v0, v2, 21, v0
                                        ; implicit-def: $vgpr2
	v_add_nc_u32_e32 v0, 0x38000000, v0
.LBB6_8986:                             ;   in Loop: Header=BB6_8046 Depth=2
	s_and_not1_saveexec_b32 s26, s26
; %bb.8987:                             ;   in Loop: Header=BB6_8046 Depth=2
	v_cmp_lt_i16_e32 vcc_lo, -1, v60
	v_cndmask_b32_e32 v0, 0xff800000, v105, vcc_lo
	v_cmp_eq_u32_e32 vcc_lo, 0, v2
	s_delay_alu instid0(VALU_DEP_2)
	v_cndmask_b32_e32 v0, 0x7f800001, v0, vcc_lo
; %bb.8988:                             ;   in Loop: Header=BB6_8046 Depth=2
	s_or_b32 exec_lo, exec_lo, s26
.LBB6_8989:                             ;   in Loop: Header=BB6_8046 Depth=2
	s_delay_alu instid0(SALU_CYCLE_1)
	s_or_b32 exec_lo, exec_lo, s25
.LBB6_8990:                             ;   in Loop: Header=BB6_8046 Depth=2
	s_delay_alu instid0(SALU_CYCLE_1) | instskip(NEXT) | instid1(VALU_DEP_1)
	s_or_b32 exec_lo, exec_lo, s7
	v_mul_f32_e32 v0, v1, v0
	v_mov_b32_e32 v3, v5
                                        ; implicit-def: $vgpr64
	s_mov_b32 s7, exec_lo
	s_delay_alu instid0(VALU_DEP_2) | instskip(SKIP_1) | instid1(VALU_DEP_2)
	v_and_b32_e32 v2, 0x7f800000, v0
	v_and_b32_e32 v4, 0x7fffff, v0
	v_cmpx_ne_u64_e32 0x7f800000, v[2:3]
	s_xor_b32 s25, exec_lo, s7
	s_cbranch_execz .LBB6_9008
; %bb.8991:                             ;   in Loop: Header=BB6_8046 Depth=2
	v_dual_mov_b32 v3, v5 :: v_dual_lshrrev_b32 v1, 24, v0
	v_and_b32_e32 v2, 0x7fffffff, v0
                                        ; implicit-def: $vgpr64
	s_mov_b32 s7, exec_lo
	s_delay_alu instid0(VALU_DEP_2) | instskip(NEXT) | instid1(VALU_DEP_2)
	v_and_b32_e32 v27, 0x80, v1
	v_cmpx_gt_u64_e32 0x47600001, v[2:3]
	s_xor_b32 s26, exec_lo, s7
	s_cbranch_execz .LBB6_9005
; %bb.8992:                             ;   in Loop: Header=BB6_8046 Depth=2
	v_mov_b32_e32 v64, 0
	s_mov_b32 s27, exec_lo
	v_cmpx_ne_u32_e32 0, v0
	s_cbranch_execz .LBB6_9004
; %bb.8993:                             ;   in Loop: Header=BB6_8046 Depth=2
	v_bfe_u32 v29, v0, 23, 8
	v_or_b32_e32 v2, 0x800000, v4
	s_mov_b32 s28, exec_lo
	s_delay_alu instid0(VALU_DEP_2) | instskip(SKIP_1) | instid1(VALU_DEP_2)
	v_dual_mov_b32 v3, v5 :: v_dual_sub_nc_u32 v0, 0x71, v29
	v_cmp_gt_u32_e32 vcc_lo, 0x72, v29
	v_cndmask_b32_e32 v0, 0, v0, vcc_lo
	v_cmp_eq_u32_e32 vcc_lo, 0, v29
	s_delay_alu instid0(VALU_DEP_2) | instskip(NEXT) | instid1(VALU_DEP_1)
	v_cndmask_b32_e64 v33, v0, 0x70, vcc_lo
	v_dual_cndmask_b32 v2, v2, v4, vcc_lo :: v_dual_add_nc_u32 v0, 21, v33
	v_add_nc_u32_e32 v26, 20, v33
	s_delay_alu instid0(VALU_DEP_2) | instskip(NEXT) | instid1(VALU_DEP_2)
	v_lshlrev_b64_e64 v[0:1], v0, -1
	v_lshlrev_b64_e64 v[64:65], v26, 1
	s_delay_alu instid0(VALU_DEP_2) | instskip(NEXT) | instid1(VALU_DEP_3)
	v_bfi_b32 v67, v1, 0, 0
	v_bfi_b32 v66, v0, 0, v2
	v_lshrrev_b64 v[0:1], v33, v[2:3]
	s_delay_alu instid0(VALU_DEP_1) | instskip(NEXT) | instid1(VALU_DEP_3)
	v_mov_b64_e32 v[2:3], v[0:1]
	v_cmpx_eq_u64_e64 v[66:67], v[64:65]
; %bb.8994:                             ;   in Loop: Header=BB6_8046 Depth=2
	v_bfe_u32 v2, v0, 21, 1
	v_mov_b32_e32 v3, v5
	s_delay_alu instid0(VALU_DEP_1) | instskip(NEXT) | instid1(VALU_DEP_1)
	v_add_nc_u64_e32 v[2:3], v[0:1], v[2:3]
	v_add_nc_u64_e32 v[2:3], -1, v[2:3]
; %bb.8995:                             ;   in Loop: Header=BB6_8046 Depth=2
	s_or_b32 exec_lo, exec_lo, s28
	v_add_nc_u32_e32 v1, 0xffffff81, v29
	s_delay_alu instid0(VALU_DEP_2) | instskip(SKIP_2) | instid1(VALU_DEP_3)
	v_and_b32_e32 v2, 0x1fffff, v2
	v_lshrrev_b32_e32 v3, 23, v0
	s_mov_b32 s7, exec_lo
	v_cndmask_b32_e64 v1, v1, 0xffffff82, vcc_lo
	s_delay_alu instid0(VALU_DEP_3) | instskip(NEXT) | instid1(VALU_DEP_2)
	v_add_nc_u32_e32 v4, v2, v0
                                        ; implicit-def: $vgpr2
	v_add3_u32 v3, v33, v1, v3
                                        ; implicit-def: $vgpr0_vgpr1
	s_delay_alu instid0(VALU_DEP_1) | instskip(NEXT) | instid1(VALU_DEP_1)
	v_add_nc_u32_e32 v29, 14, v3
	v_cmpx_ne_u32_e32 0, v29
	s_xor_b32 s7, exec_lo, s7
; %bb.8996:                             ;   in Loop: Header=BB6_8046 Depth=2
	v_cmp_lt_u64_e32 vcc_lo, 0xffffff, v[4:5]
	v_add_nc_u32_e32 v0, 15, v3
	s_delay_alu instid0(VALU_DEP_1) | instskip(SKIP_1) | instid1(VALU_DEP_1)
	v_cndmask_b32_e32 v2, v29, v0, vcc_lo
	v_cndmask_b32_e64 v0, 0, 1, vcc_lo
	v_lshrrev_b64 v[0:1], v0, v[4:5]
; %bb.8997:                             ;   in Loop: Header=BB6_8046 Depth=2
	s_and_not1_saveexec_b32 s7, s7
; %bb.8998:                             ;   in Loop: Header=BB6_8046 Depth=2
	v_mov_b64_e32 v[0:1], v[4:5]
	v_bfe_u32 v2, v4, 23, 1
; %bb.8999:                             ;   in Loop: Header=BB6_8046 Depth=2
	s_or_b32 exec_lo, exec_lo, s7
	s_delay_alu instid0(VALU_DEP_2) | instskip(NEXT) | instid1(VALU_DEP_2)
	v_lshrrev_b64 v[0:1], 21, v[0:1]
	v_cmp_gt_i32_e32 vcc_lo, 32, v2
	v_cmp_ne_u32_e64 s7, 0, v2
                                        ; implicit-def: $vgpr64
	s_delay_alu instid0(VALU_DEP_3) | instskip(NEXT) | instid1(VALU_DEP_1)
	v_dual_cndmask_b32 v1, 0, v1 :: v_dual_cndmask_b32 v0, 3, v0
	v_cmp_ne_u64_e32 vcc_lo, 0, v[0:1]
	s_or_b32 s7, s7, vcc_lo
	s_delay_alu instid0(SALU_CYCLE_1) | instskip(NEXT) | instid1(SALU_CYCLE_1)
	s_and_saveexec_b32 s28, s7
	s_xor_b32 s7, exec_lo, s28
; %bb.9000:                             ;   in Loop: Header=BB6_8046 Depth=2
	v_min_i32_e32 v1, 31, v2
	s_delay_alu instid0(VALU_DEP_1) | instskip(NEXT) | instid1(VALU_DEP_1)
	v_lshl_or_b32 v1, v1, 2, v27
                                        ; implicit-def: $vgpr27
	v_and_or_b32 v64, v0, 3, v1
; %bb.9001:                             ;   in Loop: Header=BB6_8046 Depth=2
	s_and_not1_saveexec_b32 s7, s7
; %bb.9002:                             ;   in Loop: Header=BB6_8046 Depth=2
	v_mov_b32_e32 v64, v27
; %bb.9003:                             ;   in Loop: Header=BB6_8046 Depth=2
	s_or_b32 exec_lo, exec_lo, s7
.LBB6_9004:                             ;   in Loop: Header=BB6_8046 Depth=2
	s_delay_alu instid0(SALU_CYCLE_1)
	s_or_b32 exec_lo, exec_lo, s27
                                        ; implicit-def: $vgpr27
.LBB6_9005:                             ;   in Loop: Header=BB6_8046 Depth=2
	s_and_not1_saveexec_b32 s7, s26
; %bb.9006:                             ;   in Loop: Header=BB6_8046 Depth=2
	v_or_b32_e32 v64, 0x7b, v27
; %bb.9007:                             ;   in Loop: Header=BB6_8046 Depth=2
	s_or_b32 exec_lo, exec_lo, s7
                                        ; implicit-def: $vgpr0
.LBB6_9008:                             ;   in Loop: Header=BB6_8046 Depth=2
	s_and_not1_saveexec_b32 s7, s25
	s_cbranch_execz .LBB6_9014
; %bb.9009:                             ;   in Loop: Header=BB6_8046 Depth=2
	s_mov_b32 s25, exec_lo
                                        ; implicit-def: $vgpr64
	v_cmpx_ne_u64_e32 0, v[4:5]
	s_xor_b32 s25, exec_lo, s25
; %bb.9010:                             ;   in Loop: Header=BB6_8046 Depth=2
	v_lshrrev_b32_e32 v0, 24, v0
	s_delay_alu instid0(VALU_DEP_1)
	v_or_b32_e32 v64, 0x7f, v0
                                        ; implicit-def: $vgpr0
; %bb.9011:                             ;   in Loop: Header=BB6_8046 Depth=2
	s_and_not1_saveexec_b32 s25, s25
; %bb.9012:                             ;   in Loop: Header=BB6_8046 Depth=2
	v_cmp_lt_i32_e32 vcc_lo, -1, v0
	v_cndmask_b32_e64 v64, -4, 0x7c, vcc_lo
; %bb.9013:                             ;   in Loop: Header=BB6_8046 Depth=2
	s_or_b32 exec_lo, exec_lo, s25
.LBB6_9014:                             ;   in Loop: Header=BB6_8046 Depth=2
	s_delay_alu instid0(SALU_CYCLE_1)
	s_or_b32 exec_lo, exec_lo, s7
	v_dual_mov_b32 v0, 0 :: v_dual_mov_b32 v1, 0
	s_mov_b32 s7, exec_lo
	v_cmpx_ne_u16_e32 0, v58
	s_cbranch_execz .LBB6_9024
; %bb.9015:                             ;   in Loop: Header=BB6_8046 Depth=2
	v_bfrev_b32_e32 v1, 1
	s_mov_b32 s25, exec_lo
	v_cmpx_ne_u16_e32 0xff80, v58
	s_cbranch_execz .LBB6_9023
; %bb.9016:                             ;   in Loop: Header=BB6_8046 Depth=2
	v_and_b32_e32 v1, 0x7c, v58
	v_and_b32_e32 v2, 3, v58
	s_delay_alu instid0(VALU_DEP_2) | instskip(SKIP_1) | instid1(SALU_CYCLE_1)
	v_cmp_ne_u32_e32 vcc_lo, 0x7c, v1
                                        ; implicit-def: $vgpr1
	s_and_saveexec_b32 s26, vcc_lo
	s_xor_b32 s26, exec_lo, s26
	s_cbranch_execz .LBB6_9020
; %bb.9017:                             ;   in Loop: Header=BB6_8046 Depth=2
	v_and_b32_e32 v1, 0xff, v58
	s_mov_b32 s27, exec_lo
	s_delay_alu instid0(VALU_DEP_1) | instskip(NEXT) | instid1(VALU_DEP_1)
	v_bfe_u32 v1, v1, 2, 5
	v_cmpx_eq_u32_e32 0, v1
	s_cbranch_execz .LBB6_9019
; %bb.9018:                             ;   in Loop: Header=BB6_8046 Depth=2
	v_clz_i32_u32_e32 v1, v2
	s_delay_alu instid0(VALU_DEP_1) | instskip(SKIP_1) | instid1(VALU_DEP_2)
	v_min_u32_e32 v1, 32, v1
	v_mov_b32_e32 v59, v5
	v_subrev_nc_u32_e32 v2, 29, v1
	v_sub_nc_u32_e32 v1, 30, v1
	s_delay_alu instid0(VALU_DEP_2) | instskip(NEXT) | instid1(VALU_DEP_1)
	v_lshlrev_b64_e32 v[2:3], v2, v[58:59]
	v_and_b32_e32 v2, 3, v2
.LBB6_9019:                             ;   in Loop: Header=BB6_8046 Depth=2
	s_or_b32 exec_lo, exec_lo, s27
	v_bfe_i32 v3, v58, 0, 16
                                        ; implicit-def: $vgpr58
	s_delay_alu instid0(VALU_DEP_1) | instskip(NEXT) | instid1(VALU_DEP_1)
	v_and_b32_e32 v3, 0x80000000, v3
	v_lshl_add_u32 v1, v1, 23, v3
	s_delay_alu instid0(VALU_DEP_1) | instskip(NEXT) | instid1(VALU_DEP_1)
	v_lshl_or_b32 v1, v2, 21, v1
                                        ; implicit-def: $vgpr2
	v_add_nc_u32_e32 v1, 0x38000000, v1
.LBB6_9020:                             ;   in Loop: Header=BB6_8046 Depth=2
	s_and_not1_saveexec_b32 s26, s26
; %bb.9021:                             ;   in Loop: Header=BB6_8046 Depth=2
	v_cmp_lt_i16_e32 vcc_lo, -1, v58
	v_cndmask_b32_e32 v1, 0xff800000, v105, vcc_lo
	v_cmp_eq_u32_e32 vcc_lo, 0, v2
	s_delay_alu instid0(VALU_DEP_2)
	v_cndmask_b32_e32 v1, 0x7f800001, v1, vcc_lo
; %bb.9022:                             ;   in Loop: Header=BB6_8046 Depth=2
	s_or_b32 exec_lo, exec_lo, s26
.LBB6_9023:                             ;   in Loop: Header=BB6_8046 Depth=2
	s_delay_alu instid0(SALU_CYCLE_1)
	s_or_b32 exec_lo, exec_lo, s25
.LBB6_9024:                             ;   in Loop: Header=BB6_8046 Depth=2
	s_delay_alu instid0(SALU_CYCLE_1) | instskip(NEXT) | instid1(SALU_CYCLE_1)
	s_or_b32 exec_lo, exec_lo, s7
	s_mov_b32 s7, exec_lo
	v_cmpx_ne_u16_e32 0, v56
	s_cbranch_execz .LBB6_9034
; %bb.9025:                             ;   in Loop: Header=BB6_8046 Depth=2
	v_bfrev_b32_e32 v0, 1
	s_mov_b32 s25, exec_lo
	v_cmpx_ne_u16_e32 0xff80, v56
	s_cbranch_execz .LBB6_9033
; %bb.9026:                             ;   in Loop: Header=BB6_8046 Depth=2
	v_and_b32_e32 v0, 0x7c, v56
	v_and_b32_e32 v2, 3, v56
	s_delay_alu instid0(VALU_DEP_2) | instskip(SKIP_1) | instid1(SALU_CYCLE_1)
	v_cmp_ne_u32_e32 vcc_lo, 0x7c, v0
                                        ; implicit-def: $vgpr0
	s_and_saveexec_b32 s26, vcc_lo
	s_xor_b32 s26, exec_lo, s26
	s_cbranch_execz .LBB6_9030
; %bb.9027:                             ;   in Loop: Header=BB6_8046 Depth=2
	v_and_b32_e32 v0, 0xff, v56
	s_mov_b32 s27, exec_lo
	s_delay_alu instid0(VALU_DEP_1) | instskip(NEXT) | instid1(VALU_DEP_1)
	v_bfe_u32 v0, v0, 2, 5
	v_cmpx_eq_u32_e32 0, v0
	s_cbranch_execz .LBB6_9029
; %bb.9028:                             ;   in Loop: Header=BB6_8046 Depth=2
	v_clz_i32_u32_e32 v0, v2
	s_delay_alu instid0(VALU_DEP_1) | instskip(SKIP_1) | instid1(VALU_DEP_2)
	v_min_u32_e32 v0, 32, v0
	v_mov_b32_e32 v57, v5
	v_subrev_nc_u32_e32 v2, 29, v0
	v_sub_nc_u32_e32 v0, 30, v0
	s_delay_alu instid0(VALU_DEP_2) | instskip(NEXT) | instid1(VALU_DEP_1)
	v_lshlrev_b64_e32 v[2:3], v2, v[56:57]
	v_and_b32_e32 v2, 3, v2
.LBB6_9029:                             ;   in Loop: Header=BB6_8046 Depth=2
	s_or_b32 exec_lo, exec_lo, s27
	v_bfe_i32 v3, v56, 0, 16
                                        ; implicit-def: $vgpr56
	s_delay_alu instid0(VALU_DEP_1) | instskip(NEXT) | instid1(VALU_DEP_1)
	v_and_b32_e32 v3, 0x80000000, v3
	v_lshl_add_u32 v0, v0, 23, v3
	s_delay_alu instid0(VALU_DEP_1) | instskip(NEXT) | instid1(VALU_DEP_1)
	v_lshl_or_b32 v0, v2, 21, v0
                                        ; implicit-def: $vgpr2
	v_add_nc_u32_e32 v0, 0x38000000, v0
.LBB6_9030:                             ;   in Loop: Header=BB6_8046 Depth=2
	s_and_not1_saveexec_b32 s26, s26
; %bb.9031:                             ;   in Loop: Header=BB6_8046 Depth=2
	v_cmp_lt_i16_e32 vcc_lo, -1, v56
	v_cndmask_b32_e32 v0, 0xff800000, v105, vcc_lo
	v_cmp_eq_u32_e32 vcc_lo, 0, v2
	s_delay_alu instid0(VALU_DEP_2)
	v_cndmask_b32_e32 v0, 0x7f800001, v0, vcc_lo
; %bb.9032:                             ;   in Loop: Header=BB6_8046 Depth=2
	s_or_b32 exec_lo, exec_lo, s26
.LBB6_9033:                             ;   in Loop: Header=BB6_8046 Depth=2
	s_delay_alu instid0(SALU_CYCLE_1)
	s_or_b32 exec_lo, exec_lo, s25
.LBB6_9034:                             ;   in Loop: Header=BB6_8046 Depth=2
	s_delay_alu instid0(SALU_CYCLE_1) | instskip(NEXT) | instid1(VALU_DEP_1)
	s_or_b32 exec_lo, exec_lo, s7
	v_mul_f32_e32 v0, v1, v0
	v_mov_b32_e32 v3, v5
                                        ; implicit-def: $vgpr65
	s_mov_b32 s7, exec_lo
	s_delay_alu instid0(VALU_DEP_2) | instskip(SKIP_1) | instid1(VALU_DEP_2)
	v_and_b32_e32 v2, 0x7f800000, v0
	v_and_b32_e32 v4, 0x7fffff, v0
	v_cmpx_ne_u64_e32 0x7f800000, v[2:3]
	s_xor_b32 s25, exec_lo, s7
	s_cbranch_execz .LBB6_9052
; %bb.9035:                             ;   in Loop: Header=BB6_8046 Depth=2
	v_dual_mov_b32 v3, v5 :: v_dual_lshrrev_b32 v1, 24, v0
	v_and_b32_e32 v2, 0x7fffffff, v0
                                        ; implicit-def: $vgpr65
	s_mov_b32 s7, exec_lo
	s_delay_alu instid0(VALU_DEP_2) | instskip(NEXT) | instid1(VALU_DEP_2)
	v_and_b32_e32 v27, 0x80, v1
	v_cmpx_gt_u64_e32 0x47600001, v[2:3]
	s_xor_b32 s26, exec_lo, s7
	s_cbranch_execz .LBB6_9049
; %bb.9036:                             ;   in Loop: Header=BB6_8046 Depth=2
	v_mov_b32_e32 v65, 0
	s_mov_b32 s27, exec_lo
	v_cmpx_ne_u32_e32 0, v0
	s_cbranch_execz .LBB6_9048
; %bb.9037:                             ;   in Loop: Header=BB6_8046 Depth=2
	v_bfe_u32 v29, v0, 23, 8
	v_or_b32_e32 v2, 0x800000, v4
	s_mov_b32 s28, exec_lo
	s_delay_alu instid0(VALU_DEP_2) | instskip(SKIP_1) | instid1(VALU_DEP_2)
	v_dual_mov_b32 v3, v5 :: v_dual_sub_nc_u32 v0, 0x71, v29
	v_cmp_gt_u32_e32 vcc_lo, 0x72, v29
	v_cndmask_b32_e32 v0, 0, v0, vcc_lo
	v_cmp_eq_u32_e32 vcc_lo, 0, v29
	s_delay_alu instid0(VALU_DEP_2) | instskip(NEXT) | instid1(VALU_DEP_1)
	v_cndmask_b32_e64 v33, v0, 0x70, vcc_lo
	v_dual_cndmask_b32 v2, v2, v4, vcc_lo :: v_dual_add_nc_u32 v0, 21, v33
	v_add_nc_u32_e32 v26, 20, v33
	s_delay_alu instid0(VALU_DEP_2) | instskip(NEXT) | instid1(VALU_DEP_2)
	v_lshlrev_b64_e64 v[0:1], v0, -1
	v_lshlrev_b64_e64 v[66:67], v26, 1
	s_delay_alu instid0(VALU_DEP_2) | instskip(NEXT) | instid1(VALU_DEP_3)
	v_bfi_b32 v69, v1, 0, 0
	v_bfi_b32 v68, v0, 0, v2
	v_lshrrev_b64 v[0:1], v33, v[2:3]
	s_delay_alu instid0(VALU_DEP_1) | instskip(NEXT) | instid1(VALU_DEP_3)
	v_mov_b64_e32 v[2:3], v[0:1]
	v_cmpx_eq_u64_e64 v[68:69], v[66:67]
; %bb.9038:                             ;   in Loop: Header=BB6_8046 Depth=2
	v_bfe_u32 v2, v0, 21, 1
	v_mov_b32_e32 v3, v5
	s_delay_alu instid0(VALU_DEP_1) | instskip(NEXT) | instid1(VALU_DEP_1)
	v_add_nc_u64_e32 v[2:3], v[0:1], v[2:3]
	v_add_nc_u64_e32 v[2:3], -1, v[2:3]
; %bb.9039:                             ;   in Loop: Header=BB6_8046 Depth=2
	s_or_b32 exec_lo, exec_lo, s28
	v_add_nc_u32_e32 v1, 0xffffff81, v29
	s_delay_alu instid0(VALU_DEP_2) | instskip(SKIP_2) | instid1(VALU_DEP_3)
	v_and_b32_e32 v2, 0x1fffff, v2
	v_lshrrev_b32_e32 v3, 23, v0
	s_mov_b32 s7, exec_lo
	v_cndmask_b32_e64 v1, v1, 0xffffff82, vcc_lo
	s_delay_alu instid0(VALU_DEP_3) | instskip(NEXT) | instid1(VALU_DEP_2)
	v_add_nc_u32_e32 v4, v2, v0
                                        ; implicit-def: $vgpr2
	v_add3_u32 v3, v33, v1, v3
                                        ; implicit-def: $vgpr0_vgpr1
	s_delay_alu instid0(VALU_DEP_1) | instskip(NEXT) | instid1(VALU_DEP_1)
	v_add_nc_u32_e32 v29, 14, v3
	v_cmpx_ne_u32_e32 0, v29
	s_xor_b32 s7, exec_lo, s7
; %bb.9040:                             ;   in Loop: Header=BB6_8046 Depth=2
	v_cmp_lt_u64_e32 vcc_lo, 0xffffff, v[4:5]
	v_add_nc_u32_e32 v0, 15, v3
	s_delay_alu instid0(VALU_DEP_1) | instskip(SKIP_1) | instid1(VALU_DEP_1)
	v_cndmask_b32_e32 v2, v29, v0, vcc_lo
	v_cndmask_b32_e64 v0, 0, 1, vcc_lo
	v_lshrrev_b64 v[0:1], v0, v[4:5]
; %bb.9041:                             ;   in Loop: Header=BB6_8046 Depth=2
	s_and_not1_saveexec_b32 s7, s7
; %bb.9042:                             ;   in Loop: Header=BB6_8046 Depth=2
	v_mov_b64_e32 v[0:1], v[4:5]
	v_bfe_u32 v2, v4, 23, 1
; %bb.9043:                             ;   in Loop: Header=BB6_8046 Depth=2
	s_or_b32 exec_lo, exec_lo, s7
	s_delay_alu instid0(VALU_DEP_2) | instskip(NEXT) | instid1(VALU_DEP_2)
	v_lshrrev_b64 v[0:1], 21, v[0:1]
	v_cmp_gt_i32_e32 vcc_lo, 32, v2
	v_cmp_ne_u32_e64 s7, 0, v2
                                        ; implicit-def: $vgpr65
	s_delay_alu instid0(VALU_DEP_3) | instskip(NEXT) | instid1(VALU_DEP_1)
	v_dual_cndmask_b32 v1, 0, v1 :: v_dual_cndmask_b32 v0, 3, v0
	v_cmp_ne_u64_e32 vcc_lo, 0, v[0:1]
	s_or_b32 s7, s7, vcc_lo
	s_delay_alu instid0(SALU_CYCLE_1) | instskip(NEXT) | instid1(SALU_CYCLE_1)
	s_and_saveexec_b32 s28, s7
	s_xor_b32 s7, exec_lo, s28
; %bb.9044:                             ;   in Loop: Header=BB6_8046 Depth=2
	v_min_i32_e32 v1, 31, v2
	s_delay_alu instid0(VALU_DEP_1) | instskip(NEXT) | instid1(VALU_DEP_1)
	v_lshl_or_b32 v1, v1, 2, v27
                                        ; implicit-def: $vgpr27
	v_and_or_b32 v65, v0, 3, v1
; %bb.9045:                             ;   in Loop: Header=BB6_8046 Depth=2
	s_and_not1_saveexec_b32 s7, s7
; %bb.9046:                             ;   in Loop: Header=BB6_8046 Depth=2
	v_mov_b32_e32 v65, v27
; %bb.9047:                             ;   in Loop: Header=BB6_8046 Depth=2
	s_or_b32 exec_lo, exec_lo, s7
.LBB6_9048:                             ;   in Loop: Header=BB6_8046 Depth=2
	s_delay_alu instid0(SALU_CYCLE_1)
	s_or_b32 exec_lo, exec_lo, s27
                                        ; implicit-def: $vgpr27
.LBB6_9049:                             ;   in Loop: Header=BB6_8046 Depth=2
	s_and_not1_saveexec_b32 s7, s26
; %bb.9050:                             ;   in Loop: Header=BB6_8046 Depth=2
	v_or_b32_e32 v65, 0x7b, v27
; %bb.9051:                             ;   in Loop: Header=BB6_8046 Depth=2
	s_or_b32 exec_lo, exec_lo, s7
                                        ; implicit-def: $vgpr0
.LBB6_9052:                             ;   in Loop: Header=BB6_8046 Depth=2
	s_and_not1_saveexec_b32 s7, s25
	s_cbranch_execz .LBB6_9058
; %bb.9053:                             ;   in Loop: Header=BB6_8046 Depth=2
	s_mov_b32 s25, exec_lo
                                        ; implicit-def: $vgpr65
	v_cmpx_ne_u64_e32 0, v[4:5]
	s_xor_b32 s25, exec_lo, s25
; %bb.9054:                             ;   in Loop: Header=BB6_8046 Depth=2
	v_lshrrev_b32_e32 v0, 24, v0
	s_delay_alu instid0(VALU_DEP_1)
	v_or_b32_e32 v65, 0x7f, v0
                                        ; implicit-def: $vgpr0
; %bb.9055:                             ;   in Loop: Header=BB6_8046 Depth=2
	s_and_not1_saveexec_b32 s25, s25
; %bb.9056:                             ;   in Loop: Header=BB6_8046 Depth=2
	v_cmp_lt_i32_e32 vcc_lo, -1, v0
	v_cndmask_b32_e64 v65, -4, 0x7c, vcc_lo
; %bb.9057:                             ;   in Loop: Header=BB6_8046 Depth=2
	s_or_b32 exec_lo, exec_lo, s25
.LBB6_9058:                             ;   in Loop: Header=BB6_8046 Depth=2
	s_delay_alu instid0(SALU_CYCLE_1)
	s_or_b32 exec_lo, exec_lo, s7
	v_dual_mov_b32 v0, 0 :: v_dual_mov_b32 v1, 0
	s_mov_b32 s7, exec_lo
	v_cmpx_ne_u16_e32 0, v46
	s_cbranch_execz .LBB6_9068
; %bb.9059:                             ;   in Loop: Header=BB6_8046 Depth=2
	v_bfrev_b32_e32 v1, 1
	s_mov_b32 s25, exec_lo
	v_cmpx_ne_u16_e32 0xff80, v46
	s_cbranch_execz .LBB6_9067
; %bb.9060:                             ;   in Loop: Header=BB6_8046 Depth=2
	v_and_b32_e32 v1, 0x7c, v46
	v_and_b32_e32 v2, 3, v46
	s_delay_alu instid0(VALU_DEP_2) | instskip(SKIP_1) | instid1(SALU_CYCLE_1)
	v_cmp_ne_u32_e32 vcc_lo, 0x7c, v1
                                        ; implicit-def: $vgpr1
	s_and_saveexec_b32 s26, vcc_lo
	s_xor_b32 s26, exec_lo, s26
	s_cbranch_execz .LBB6_9064
; %bb.9061:                             ;   in Loop: Header=BB6_8046 Depth=2
	v_and_b32_e32 v1, 0xff, v46
	s_mov_b32 s27, exec_lo
	s_delay_alu instid0(VALU_DEP_1) | instskip(NEXT) | instid1(VALU_DEP_1)
	v_bfe_u32 v1, v1, 2, 5
	v_cmpx_eq_u32_e32 0, v1
	s_cbranch_execz .LBB6_9063
; %bb.9062:                             ;   in Loop: Header=BB6_8046 Depth=2
	v_clz_i32_u32_e32 v1, v2
	s_delay_alu instid0(VALU_DEP_1) | instskip(SKIP_1) | instid1(VALU_DEP_2)
	v_min_u32_e32 v1, 32, v1
	v_mov_b32_e32 v47, v5
	v_subrev_nc_u32_e32 v2, 29, v1
	v_sub_nc_u32_e32 v1, 30, v1
	s_delay_alu instid0(VALU_DEP_2) | instskip(NEXT) | instid1(VALU_DEP_1)
	v_lshlrev_b64_e32 v[2:3], v2, v[46:47]
	v_and_b32_e32 v2, 3, v2
.LBB6_9063:                             ;   in Loop: Header=BB6_8046 Depth=2
	s_or_b32 exec_lo, exec_lo, s27
	v_bfe_i32 v3, v46, 0, 16
                                        ; implicit-def: $vgpr46
	s_delay_alu instid0(VALU_DEP_1) | instskip(NEXT) | instid1(VALU_DEP_1)
	v_and_b32_e32 v3, 0x80000000, v3
	v_lshl_add_u32 v1, v1, 23, v3
	s_delay_alu instid0(VALU_DEP_1) | instskip(NEXT) | instid1(VALU_DEP_1)
	v_lshl_or_b32 v1, v2, 21, v1
                                        ; implicit-def: $vgpr2
	v_add_nc_u32_e32 v1, 0x38000000, v1
.LBB6_9064:                             ;   in Loop: Header=BB6_8046 Depth=2
	s_and_not1_saveexec_b32 s26, s26
; %bb.9065:                             ;   in Loop: Header=BB6_8046 Depth=2
	v_cmp_lt_i16_e32 vcc_lo, -1, v46
	v_cndmask_b32_e32 v1, 0xff800000, v105, vcc_lo
	v_cmp_eq_u32_e32 vcc_lo, 0, v2
	s_delay_alu instid0(VALU_DEP_2)
	v_cndmask_b32_e32 v1, 0x7f800001, v1, vcc_lo
; %bb.9066:                             ;   in Loop: Header=BB6_8046 Depth=2
	s_or_b32 exec_lo, exec_lo, s26
.LBB6_9067:                             ;   in Loop: Header=BB6_8046 Depth=2
	s_delay_alu instid0(SALU_CYCLE_1)
	s_or_b32 exec_lo, exec_lo, s25
.LBB6_9068:                             ;   in Loop: Header=BB6_8046 Depth=2
	s_delay_alu instid0(SALU_CYCLE_1) | instskip(NEXT) | instid1(SALU_CYCLE_1)
	s_or_b32 exec_lo, exec_lo, s7
	s_mov_b32 s7, exec_lo
	v_cmpx_ne_u16_e32 0, v44
	s_cbranch_execz .LBB6_9078
; %bb.9069:                             ;   in Loop: Header=BB6_8046 Depth=2
	v_bfrev_b32_e32 v0, 1
	s_mov_b32 s25, exec_lo
	v_cmpx_ne_u16_e32 0xff80, v44
	s_cbranch_execz .LBB6_9077
; %bb.9070:                             ;   in Loop: Header=BB6_8046 Depth=2
	v_and_b32_e32 v0, 0x7c, v44
	v_and_b32_e32 v2, 3, v44
	s_delay_alu instid0(VALU_DEP_2) | instskip(SKIP_1) | instid1(SALU_CYCLE_1)
	v_cmp_ne_u32_e32 vcc_lo, 0x7c, v0
                                        ; implicit-def: $vgpr0
	s_and_saveexec_b32 s26, vcc_lo
	s_xor_b32 s26, exec_lo, s26
	s_cbranch_execz .LBB6_9074
; %bb.9071:                             ;   in Loop: Header=BB6_8046 Depth=2
	v_and_b32_e32 v0, 0xff, v44
	s_mov_b32 s27, exec_lo
	s_delay_alu instid0(VALU_DEP_1) | instskip(NEXT) | instid1(VALU_DEP_1)
	v_bfe_u32 v0, v0, 2, 5
	v_cmpx_eq_u32_e32 0, v0
	s_cbranch_execz .LBB6_9073
; %bb.9072:                             ;   in Loop: Header=BB6_8046 Depth=2
	v_clz_i32_u32_e32 v0, v2
	s_delay_alu instid0(VALU_DEP_1) | instskip(SKIP_1) | instid1(VALU_DEP_2)
	v_min_u32_e32 v0, 32, v0
	v_mov_b32_e32 v45, v5
	v_subrev_nc_u32_e32 v2, 29, v0
	v_sub_nc_u32_e32 v0, 30, v0
	s_delay_alu instid0(VALU_DEP_2) | instskip(NEXT) | instid1(VALU_DEP_1)
	v_lshlrev_b64_e32 v[2:3], v2, v[44:45]
	v_and_b32_e32 v2, 3, v2
.LBB6_9073:                             ;   in Loop: Header=BB6_8046 Depth=2
	s_or_b32 exec_lo, exec_lo, s27
	v_bfe_i32 v3, v44, 0, 16
                                        ; implicit-def: $vgpr44
	s_delay_alu instid0(VALU_DEP_1) | instskip(NEXT) | instid1(VALU_DEP_1)
	v_and_b32_e32 v3, 0x80000000, v3
	v_lshl_add_u32 v0, v0, 23, v3
	s_delay_alu instid0(VALU_DEP_1) | instskip(NEXT) | instid1(VALU_DEP_1)
	v_lshl_or_b32 v0, v2, 21, v0
                                        ; implicit-def: $vgpr2
	v_add_nc_u32_e32 v0, 0x38000000, v0
.LBB6_9074:                             ;   in Loop: Header=BB6_8046 Depth=2
	s_and_not1_saveexec_b32 s26, s26
; %bb.9075:                             ;   in Loop: Header=BB6_8046 Depth=2
	v_cmp_lt_i16_e32 vcc_lo, -1, v44
	v_cndmask_b32_e32 v0, 0xff800000, v105, vcc_lo
	v_cmp_eq_u32_e32 vcc_lo, 0, v2
	s_delay_alu instid0(VALU_DEP_2)
	v_cndmask_b32_e32 v0, 0x7f800001, v0, vcc_lo
; %bb.9076:                             ;   in Loop: Header=BB6_8046 Depth=2
	s_or_b32 exec_lo, exec_lo, s26
.LBB6_9077:                             ;   in Loop: Header=BB6_8046 Depth=2
	s_delay_alu instid0(SALU_CYCLE_1)
	s_or_b32 exec_lo, exec_lo, s25
.LBB6_9078:                             ;   in Loop: Header=BB6_8046 Depth=2
	s_delay_alu instid0(SALU_CYCLE_1) | instskip(NEXT) | instid1(VALU_DEP_1)
	s_or_b32 exec_lo, exec_lo, s7
	v_mul_f32_e32 v0, v1, v0
	v_mov_b32_e32 v3, v5
                                        ; implicit-def: $vgpr66
	s_mov_b32 s7, exec_lo
	s_delay_alu instid0(VALU_DEP_2) | instskip(SKIP_1) | instid1(VALU_DEP_2)
	v_and_b32_e32 v2, 0x7f800000, v0
	v_and_b32_e32 v4, 0x7fffff, v0
	v_cmpx_ne_u64_e32 0x7f800000, v[2:3]
	s_xor_b32 s25, exec_lo, s7
	s_cbranch_execz .LBB6_9096
; %bb.9079:                             ;   in Loop: Header=BB6_8046 Depth=2
	v_dual_mov_b32 v3, v5 :: v_dual_lshrrev_b32 v1, 24, v0
	v_and_b32_e32 v2, 0x7fffffff, v0
                                        ; implicit-def: $vgpr66
	s_mov_b32 s7, exec_lo
	s_delay_alu instid0(VALU_DEP_2) | instskip(NEXT) | instid1(VALU_DEP_2)
	v_and_b32_e32 v27, 0x80, v1
	v_cmpx_gt_u64_e32 0x47600001, v[2:3]
	s_xor_b32 s26, exec_lo, s7
	s_cbranch_execz .LBB6_9093
; %bb.9080:                             ;   in Loop: Header=BB6_8046 Depth=2
	v_mov_b32_e32 v66, 0
	s_mov_b32 s27, exec_lo
	v_cmpx_ne_u32_e32 0, v0
	s_cbranch_execz .LBB6_9092
; %bb.9081:                             ;   in Loop: Header=BB6_8046 Depth=2
	v_bfe_u32 v29, v0, 23, 8
	v_or_b32_e32 v2, 0x800000, v4
	s_mov_b32 s28, exec_lo
	s_delay_alu instid0(VALU_DEP_2) | instskip(SKIP_1) | instid1(VALU_DEP_2)
	v_dual_mov_b32 v3, v5 :: v_dual_sub_nc_u32 v0, 0x71, v29
	v_cmp_gt_u32_e32 vcc_lo, 0x72, v29
	v_cndmask_b32_e32 v0, 0, v0, vcc_lo
	v_cmp_eq_u32_e32 vcc_lo, 0, v29
	s_delay_alu instid0(VALU_DEP_2) | instskip(NEXT) | instid1(VALU_DEP_1)
	v_cndmask_b32_e64 v33, v0, 0x70, vcc_lo
	v_dual_cndmask_b32 v2, v2, v4, vcc_lo :: v_dual_add_nc_u32 v0, 21, v33
	v_add_nc_u32_e32 v26, 20, v33
	s_delay_alu instid0(VALU_DEP_2) | instskip(NEXT) | instid1(VALU_DEP_2)
	v_lshlrev_b64_e64 v[0:1], v0, -1
	v_lshlrev_b64_e64 v[66:67], v26, 1
	s_delay_alu instid0(VALU_DEP_2) | instskip(NEXT) | instid1(VALU_DEP_3)
	v_bfi_b32 v69, v1, 0, 0
	v_bfi_b32 v68, v0, 0, v2
	v_lshrrev_b64 v[0:1], v33, v[2:3]
	s_delay_alu instid0(VALU_DEP_1) | instskip(NEXT) | instid1(VALU_DEP_3)
	v_mov_b64_e32 v[2:3], v[0:1]
	v_cmpx_eq_u64_e64 v[68:69], v[66:67]
; %bb.9082:                             ;   in Loop: Header=BB6_8046 Depth=2
	v_bfe_u32 v2, v0, 21, 1
	v_mov_b32_e32 v3, v5
	s_delay_alu instid0(VALU_DEP_1) | instskip(NEXT) | instid1(VALU_DEP_1)
	v_add_nc_u64_e32 v[2:3], v[0:1], v[2:3]
	v_add_nc_u64_e32 v[2:3], -1, v[2:3]
; %bb.9083:                             ;   in Loop: Header=BB6_8046 Depth=2
	s_or_b32 exec_lo, exec_lo, s28
	v_add_nc_u32_e32 v1, 0xffffff81, v29
	s_delay_alu instid0(VALU_DEP_2) | instskip(SKIP_2) | instid1(VALU_DEP_3)
	v_and_b32_e32 v2, 0x1fffff, v2
	v_lshrrev_b32_e32 v3, 23, v0
	s_mov_b32 s7, exec_lo
	v_cndmask_b32_e64 v1, v1, 0xffffff82, vcc_lo
	s_delay_alu instid0(VALU_DEP_3) | instskip(NEXT) | instid1(VALU_DEP_2)
	v_add_nc_u32_e32 v4, v2, v0
                                        ; implicit-def: $vgpr2
	v_add3_u32 v3, v33, v1, v3
                                        ; implicit-def: $vgpr0_vgpr1
	s_delay_alu instid0(VALU_DEP_1) | instskip(NEXT) | instid1(VALU_DEP_1)
	v_add_nc_u32_e32 v29, 14, v3
	v_cmpx_ne_u32_e32 0, v29
	s_xor_b32 s7, exec_lo, s7
; %bb.9084:                             ;   in Loop: Header=BB6_8046 Depth=2
	v_cmp_lt_u64_e32 vcc_lo, 0xffffff, v[4:5]
	v_add_nc_u32_e32 v0, 15, v3
	s_delay_alu instid0(VALU_DEP_1) | instskip(SKIP_1) | instid1(VALU_DEP_1)
	v_cndmask_b32_e32 v2, v29, v0, vcc_lo
	v_cndmask_b32_e64 v0, 0, 1, vcc_lo
	v_lshrrev_b64 v[0:1], v0, v[4:5]
; %bb.9085:                             ;   in Loop: Header=BB6_8046 Depth=2
	s_and_not1_saveexec_b32 s7, s7
; %bb.9086:                             ;   in Loop: Header=BB6_8046 Depth=2
	v_mov_b64_e32 v[0:1], v[4:5]
	v_bfe_u32 v2, v4, 23, 1
; %bb.9087:                             ;   in Loop: Header=BB6_8046 Depth=2
	s_or_b32 exec_lo, exec_lo, s7
	s_delay_alu instid0(VALU_DEP_2) | instskip(NEXT) | instid1(VALU_DEP_2)
	v_lshrrev_b64 v[0:1], 21, v[0:1]
	v_cmp_gt_i32_e32 vcc_lo, 32, v2
	v_cmp_ne_u32_e64 s7, 0, v2
                                        ; implicit-def: $vgpr66
	s_delay_alu instid0(VALU_DEP_3) | instskip(NEXT) | instid1(VALU_DEP_1)
	v_dual_cndmask_b32 v1, 0, v1 :: v_dual_cndmask_b32 v0, 3, v0
	v_cmp_ne_u64_e32 vcc_lo, 0, v[0:1]
	s_or_b32 s7, s7, vcc_lo
	s_delay_alu instid0(SALU_CYCLE_1) | instskip(NEXT) | instid1(SALU_CYCLE_1)
	s_and_saveexec_b32 s28, s7
	s_xor_b32 s7, exec_lo, s28
; %bb.9088:                             ;   in Loop: Header=BB6_8046 Depth=2
	v_min_i32_e32 v1, 31, v2
	s_delay_alu instid0(VALU_DEP_1) | instskip(NEXT) | instid1(VALU_DEP_1)
	v_lshl_or_b32 v1, v1, 2, v27
                                        ; implicit-def: $vgpr27
	v_and_or_b32 v66, v0, 3, v1
; %bb.9089:                             ;   in Loop: Header=BB6_8046 Depth=2
	s_and_not1_saveexec_b32 s7, s7
; %bb.9090:                             ;   in Loop: Header=BB6_8046 Depth=2
	v_mov_b32_e32 v66, v27
; %bb.9091:                             ;   in Loop: Header=BB6_8046 Depth=2
	s_or_b32 exec_lo, exec_lo, s7
.LBB6_9092:                             ;   in Loop: Header=BB6_8046 Depth=2
	s_delay_alu instid0(SALU_CYCLE_1)
	s_or_b32 exec_lo, exec_lo, s27
                                        ; implicit-def: $vgpr27
.LBB6_9093:                             ;   in Loop: Header=BB6_8046 Depth=2
	s_and_not1_saveexec_b32 s7, s26
; %bb.9094:                             ;   in Loop: Header=BB6_8046 Depth=2
	v_or_b32_e32 v66, 0x7b, v27
; %bb.9095:                             ;   in Loop: Header=BB6_8046 Depth=2
	s_or_b32 exec_lo, exec_lo, s7
                                        ; implicit-def: $vgpr0
.LBB6_9096:                             ;   in Loop: Header=BB6_8046 Depth=2
	s_and_not1_saveexec_b32 s7, s25
	s_cbranch_execz .LBB6_9102
; %bb.9097:                             ;   in Loop: Header=BB6_8046 Depth=2
	s_mov_b32 s25, exec_lo
                                        ; implicit-def: $vgpr66
	v_cmpx_ne_u64_e32 0, v[4:5]
	s_xor_b32 s25, exec_lo, s25
; %bb.9098:                             ;   in Loop: Header=BB6_8046 Depth=2
	v_lshrrev_b32_e32 v0, 24, v0
	s_delay_alu instid0(VALU_DEP_1)
	v_or_b32_e32 v66, 0x7f, v0
                                        ; implicit-def: $vgpr0
; %bb.9099:                             ;   in Loop: Header=BB6_8046 Depth=2
	s_and_not1_saveexec_b32 s25, s25
; %bb.9100:                             ;   in Loop: Header=BB6_8046 Depth=2
	v_cmp_lt_i32_e32 vcc_lo, -1, v0
	v_cndmask_b32_e64 v66, -4, 0x7c, vcc_lo
; %bb.9101:                             ;   in Loop: Header=BB6_8046 Depth=2
	s_or_b32 exec_lo, exec_lo, s25
.LBB6_9102:                             ;   in Loop: Header=BB6_8046 Depth=2
	s_delay_alu instid0(SALU_CYCLE_1)
	s_or_b32 exec_lo, exec_lo, s7
	v_dual_mov_b32 v0, 0 :: v_dual_mov_b32 v1, 0
	s_mov_b32 s7, exec_lo
	v_cmpx_ne_u16_e32 0, v42
	s_cbranch_execz .LBB6_9112
; %bb.9103:                             ;   in Loop: Header=BB6_8046 Depth=2
	v_bfrev_b32_e32 v1, 1
	s_mov_b32 s25, exec_lo
	v_cmpx_ne_u16_e32 0xff80, v42
	s_cbranch_execz .LBB6_9111
; %bb.9104:                             ;   in Loop: Header=BB6_8046 Depth=2
	v_and_b32_e32 v1, 0x7c, v42
	v_and_b32_e32 v2, 3, v42
	s_delay_alu instid0(VALU_DEP_2) | instskip(SKIP_1) | instid1(SALU_CYCLE_1)
	v_cmp_ne_u32_e32 vcc_lo, 0x7c, v1
                                        ; implicit-def: $vgpr1
	s_and_saveexec_b32 s26, vcc_lo
	s_xor_b32 s26, exec_lo, s26
	s_cbranch_execz .LBB6_9108
; %bb.9105:                             ;   in Loop: Header=BB6_8046 Depth=2
	v_and_b32_e32 v1, 0xff, v42
	s_mov_b32 s27, exec_lo
	s_delay_alu instid0(VALU_DEP_1) | instskip(NEXT) | instid1(VALU_DEP_1)
	v_bfe_u32 v1, v1, 2, 5
	v_cmpx_eq_u32_e32 0, v1
	s_cbranch_execz .LBB6_9107
; %bb.9106:                             ;   in Loop: Header=BB6_8046 Depth=2
	v_clz_i32_u32_e32 v1, v2
	s_delay_alu instid0(VALU_DEP_1) | instskip(SKIP_1) | instid1(VALU_DEP_2)
	v_min_u32_e32 v1, 32, v1
	v_mov_b32_e32 v43, v5
	v_subrev_nc_u32_e32 v2, 29, v1
	v_sub_nc_u32_e32 v1, 30, v1
	s_delay_alu instid0(VALU_DEP_2) | instskip(NEXT) | instid1(VALU_DEP_1)
	v_lshlrev_b64_e32 v[2:3], v2, v[42:43]
	v_and_b32_e32 v2, 3, v2
.LBB6_9107:                             ;   in Loop: Header=BB6_8046 Depth=2
	s_or_b32 exec_lo, exec_lo, s27
	v_bfe_i32 v3, v42, 0, 16
                                        ; implicit-def: $vgpr42
	s_delay_alu instid0(VALU_DEP_1) | instskip(NEXT) | instid1(VALU_DEP_1)
	v_and_b32_e32 v3, 0x80000000, v3
	v_lshl_add_u32 v1, v1, 23, v3
	s_delay_alu instid0(VALU_DEP_1) | instskip(NEXT) | instid1(VALU_DEP_1)
	v_lshl_or_b32 v1, v2, 21, v1
                                        ; implicit-def: $vgpr2
	v_add_nc_u32_e32 v1, 0x38000000, v1
.LBB6_9108:                             ;   in Loop: Header=BB6_8046 Depth=2
	s_and_not1_saveexec_b32 s26, s26
; %bb.9109:                             ;   in Loop: Header=BB6_8046 Depth=2
	v_cmp_lt_i16_e32 vcc_lo, -1, v42
	v_cndmask_b32_e32 v1, 0xff800000, v105, vcc_lo
	v_cmp_eq_u32_e32 vcc_lo, 0, v2
	s_delay_alu instid0(VALU_DEP_2)
	v_cndmask_b32_e32 v1, 0x7f800001, v1, vcc_lo
; %bb.9110:                             ;   in Loop: Header=BB6_8046 Depth=2
	s_or_b32 exec_lo, exec_lo, s26
.LBB6_9111:                             ;   in Loop: Header=BB6_8046 Depth=2
	s_delay_alu instid0(SALU_CYCLE_1)
	s_or_b32 exec_lo, exec_lo, s25
.LBB6_9112:                             ;   in Loop: Header=BB6_8046 Depth=2
	s_delay_alu instid0(SALU_CYCLE_1) | instskip(NEXT) | instid1(SALU_CYCLE_1)
	s_or_b32 exec_lo, exec_lo, s7
	s_mov_b32 s7, exec_lo
	v_cmpx_ne_u16_e32 0, v40
	s_cbranch_execz .LBB6_9122
; %bb.9113:                             ;   in Loop: Header=BB6_8046 Depth=2
	v_bfrev_b32_e32 v0, 1
	s_mov_b32 s25, exec_lo
	v_cmpx_ne_u16_e32 0xff80, v40
	s_cbranch_execz .LBB6_9121
; %bb.9114:                             ;   in Loop: Header=BB6_8046 Depth=2
	v_and_b32_e32 v0, 0x7c, v40
	v_and_b32_e32 v2, 3, v40
	s_delay_alu instid0(VALU_DEP_2) | instskip(SKIP_1) | instid1(SALU_CYCLE_1)
	v_cmp_ne_u32_e32 vcc_lo, 0x7c, v0
                                        ; implicit-def: $vgpr0
	s_and_saveexec_b32 s26, vcc_lo
	s_xor_b32 s26, exec_lo, s26
	s_cbranch_execz .LBB6_9118
; %bb.9115:                             ;   in Loop: Header=BB6_8046 Depth=2
	v_and_b32_e32 v0, 0xff, v40
	s_mov_b32 s27, exec_lo
	s_delay_alu instid0(VALU_DEP_1) | instskip(NEXT) | instid1(VALU_DEP_1)
	v_bfe_u32 v0, v0, 2, 5
	v_cmpx_eq_u32_e32 0, v0
	s_cbranch_execz .LBB6_9117
; %bb.9116:                             ;   in Loop: Header=BB6_8046 Depth=2
	v_clz_i32_u32_e32 v0, v2
	s_delay_alu instid0(VALU_DEP_1) | instskip(SKIP_1) | instid1(VALU_DEP_2)
	v_min_u32_e32 v0, 32, v0
	v_mov_b32_e32 v41, v5
	v_subrev_nc_u32_e32 v2, 29, v0
	v_sub_nc_u32_e32 v0, 30, v0
	s_delay_alu instid0(VALU_DEP_2) | instskip(NEXT) | instid1(VALU_DEP_1)
	v_lshlrev_b64_e32 v[2:3], v2, v[40:41]
	v_and_b32_e32 v2, 3, v2
.LBB6_9117:                             ;   in Loop: Header=BB6_8046 Depth=2
	s_or_b32 exec_lo, exec_lo, s27
	v_bfe_i32 v3, v40, 0, 16
                                        ; implicit-def: $vgpr40
	s_delay_alu instid0(VALU_DEP_1) | instskip(NEXT) | instid1(VALU_DEP_1)
	v_and_b32_e32 v3, 0x80000000, v3
	v_lshl_add_u32 v0, v0, 23, v3
	s_delay_alu instid0(VALU_DEP_1) | instskip(NEXT) | instid1(VALU_DEP_1)
	v_lshl_or_b32 v0, v2, 21, v0
                                        ; implicit-def: $vgpr2
	v_add_nc_u32_e32 v0, 0x38000000, v0
.LBB6_9118:                             ;   in Loop: Header=BB6_8046 Depth=2
	s_and_not1_saveexec_b32 s26, s26
; %bb.9119:                             ;   in Loop: Header=BB6_8046 Depth=2
	v_cmp_lt_i16_e32 vcc_lo, -1, v40
	v_cndmask_b32_e32 v0, 0xff800000, v105, vcc_lo
	v_cmp_eq_u32_e32 vcc_lo, 0, v2
	s_delay_alu instid0(VALU_DEP_2)
	v_cndmask_b32_e32 v0, 0x7f800001, v0, vcc_lo
; %bb.9120:                             ;   in Loop: Header=BB6_8046 Depth=2
	s_or_b32 exec_lo, exec_lo, s26
.LBB6_9121:                             ;   in Loop: Header=BB6_8046 Depth=2
	s_delay_alu instid0(SALU_CYCLE_1)
	s_or_b32 exec_lo, exec_lo, s25
.LBB6_9122:                             ;   in Loop: Header=BB6_8046 Depth=2
	s_delay_alu instid0(SALU_CYCLE_1) | instskip(NEXT) | instid1(VALU_DEP_1)
	s_or_b32 exec_lo, exec_lo, s7
	v_mul_f32_e32 v0, v1, v0
	v_mov_b32_e32 v3, v5
                                        ; implicit-def: $vgpr67
	s_mov_b32 s7, exec_lo
	s_delay_alu instid0(VALU_DEP_2) | instskip(SKIP_1) | instid1(VALU_DEP_2)
	v_and_b32_e32 v2, 0x7f800000, v0
	v_and_b32_e32 v4, 0x7fffff, v0
	v_cmpx_ne_u64_e32 0x7f800000, v[2:3]
	s_xor_b32 s25, exec_lo, s7
	s_cbranch_execz .LBB6_9140
; %bb.9123:                             ;   in Loop: Header=BB6_8046 Depth=2
	v_dual_mov_b32 v3, v5 :: v_dual_lshrrev_b32 v1, 24, v0
	v_and_b32_e32 v2, 0x7fffffff, v0
                                        ; implicit-def: $vgpr67
	s_mov_b32 s7, exec_lo
	s_delay_alu instid0(VALU_DEP_2) | instskip(NEXT) | instid1(VALU_DEP_2)
	v_and_b32_e32 v27, 0x80, v1
	v_cmpx_gt_u64_e32 0x47600001, v[2:3]
	s_xor_b32 s26, exec_lo, s7
	s_cbranch_execz .LBB6_9137
; %bb.9124:                             ;   in Loop: Header=BB6_8046 Depth=2
	v_mov_b32_e32 v67, 0
	s_mov_b32 s27, exec_lo
	v_cmpx_ne_u32_e32 0, v0
	s_cbranch_execz .LBB6_9136
; %bb.9125:                             ;   in Loop: Header=BB6_8046 Depth=2
	v_bfe_u32 v29, v0, 23, 8
	v_or_b32_e32 v2, 0x800000, v4
	s_mov_b32 s28, exec_lo
	s_delay_alu instid0(VALU_DEP_2) | instskip(SKIP_1) | instid1(VALU_DEP_2)
	v_dual_mov_b32 v3, v5 :: v_dual_sub_nc_u32 v0, 0x71, v29
	v_cmp_gt_u32_e32 vcc_lo, 0x72, v29
	v_cndmask_b32_e32 v0, 0, v0, vcc_lo
	v_cmp_eq_u32_e32 vcc_lo, 0, v29
	s_delay_alu instid0(VALU_DEP_2) | instskip(NEXT) | instid1(VALU_DEP_1)
	v_cndmask_b32_e64 v33, v0, 0x70, vcc_lo
	v_dual_cndmask_b32 v2, v2, v4, vcc_lo :: v_dual_add_nc_u32 v0, 21, v33
	v_add_nc_u32_e32 v26, 20, v33
	s_delay_alu instid0(VALU_DEP_2) | instskip(NEXT) | instid1(VALU_DEP_2)
	v_lshlrev_b64_e64 v[0:1], v0, -1
	v_lshlrev_b64_e64 v[68:69], v26, 1
	s_delay_alu instid0(VALU_DEP_2) | instskip(NEXT) | instid1(VALU_DEP_3)
	v_bfi_b32 v71, v1, 0, 0
	v_bfi_b32 v70, v0, 0, v2
	v_lshrrev_b64 v[0:1], v33, v[2:3]
	s_delay_alu instid0(VALU_DEP_1) | instskip(NEXT) | instid1(VALU_DEP_3)
	v_mov_b64_e32 v[2:3], v[0:1]
	v_cmpx_eq_u64_e64 v[70:71], v[68:69]
; %bb.9126:                             ;   in Loop: Header=BB6_8046 Depth=2
	v_bfe_u32 v2, v0, 21, 1
	v_mov_b32_e32 v3, v5
	s_delay_alu instid0(VALU_DEP_1) | instskip(NEXT) | instid1(VALU_DEP_1)
	v_add_nc_u64_e32 v[2:3], v[0:1], v[2:3]
	v_add_nc_u64_e32 v[2:3], -1, v[2:3]
; %bb.9127:                             ;   in Loop: Header=BB6_8046 Depth=2
	s_or_b32 exec_lo, exec_lo, s28
	v_add_nc_u32_e32 v1, 0xffffff81, v29
	s_delay_alu instid0(VALU_DEP_2) | instskip(SKIP_2) | instid1(VALU_DEP_3)
	v_and_b32_e32 v2, 0x1fffff, v2
	v_lshrrev_b32_e32 v3, 23, v0
	s_mov_b32 s7, exec_lo
	v_cndmask_b32_e64 v1, v1, 0xffffff82, vcc_lo
	s_delay_alu instid0(VALU_DEP_3) | instskip(NEXT) | instid1(VALU_DEP_2)
	v_add_nc_u32_e32 v4, v2, v0
                                        ; implicit-def: $vgpr2
	v_add3_u32 v3, v33, v1, v3
                                        ; implicit-def: $vgpr0_vgpr1
	s_delay_alu instid0(VALU_DEP_1) | instskip(NEXT) | instid1(VALU_DEP_1)
	v_add_nc_u32_e32 v29, 14, v3
	v_cmpx_ne_u32_e32 0, v29
	s_xor_b32 s7, exec_lo, s7
; %bb.9128:                             ;   in Loop: Header=BB6_8046 Depth=2
	v_cmp_lt_u64_e32 vcc_lo, 0xffffff, v[4:5]
	v_add_nc_u32_e32 v0, 15, v3
	s_delay_alu instid0(VALU_DEP_1) | instskip(SKIP_1) | instid1(VALU_DEP_1)
	v_cndmask_b32_e32 v2, v29, v0, vcc_lo
	v_cndmask_b32_e64 v0, 0, 1, vcc_lo
	v_lshrrev_b64 v[0:1], v0, v[4:5]
; %bb.9129:                             ;   in Loop: Header=BB6_8046 Depth=2
	s_and_not1_saveexec_b32 s7, s7
; %bb.9130:                             ;   in Loop: Header=BB6_8046 Depth=2
	v_mov_b64_e32 v[0:1], v[4:5]
	v_bfe_u32 v2, v4, 23, 1
; %bb.9131:                             ;   in Loop: Header=BB6_8046 Depth=2
	s_or_b32 exec_lo, exec_lo, s7
	s_delay_alu instid0(VALU_DEP_2) | instskip(NEXT) | instid1(VALU_DEP_2)
	v_lshrrev_b64 v[0:1], 21, v[0:1]
	v_cmp_gt_i32_e32 vcc_lo, 32, v2
	v_cmp_ne_u32_e64 s7, 0, v2
                                        ; implicit-def: $vgpr67
	s_delay_alu instid0(VALU_DEP_3) | instskip(NEXT) | instid1(VALU_DEP_1)
	v_dual_cndmask_b32 v1, 0, v1 :: v_dual_cndmask_b32 v0, 3, v0
	v_cmp_ne_u64_e32 vcc_lo, 0, v[0:1]
	s_or_b32 s7, s7, vcc_lo
	s_delay_alu instid0(SALU_CYCLE_1) | instskip(NEXT) | instid1(SALU_CYCLE_1)
	s_and_saveexec_b32 s28, s7
	s_xor_b32 s7, exec_lo, s28
; %bb.9132:                             ;   in Loop: Header=BB6_8046 Depth=2
	v_min_i32_e32 v1, 31, v2
	s_delay_alu instid0(VALU_DEP_1) | instskip(NEXT) | instid1(VALU_DEP_1)
	v_lshl_or_b32 v1, v1, 2, v27
                                        ; implicit-def: $vgpr27
	v_and_or_b32 v67, v0, 3, v1
; %bb.9133:                             ;   in Loop: Header=BB6_8046 Depth=2
	s_and_not1_saveexec_b32 s7, s7
; %bb.9134:                             ;   in Loop: Header=BB6_8046 Depth=2
	v_mov_b32_e32 v67, v27
; %bb.9135:                             ;   in Loop: Header=BB6_8046 Depth=2
	s_or_b32 exec_lo, exec_lo, s7
.LBB6_9136:                             ;   in Loop: Header=BB6_8046 Depth=2
	s_delay_alu instid0(SALU_CYCLE_1)
	s_or_b32 exec_lo, exec_lo, s27
                                        ; implicit-def: $vgpr27
.LBB6_9137:                             ;   in Loop: Header=BB6_8046 Depth=2
	s_and_not1_saveexec_b32 s7, s26
; %bb.9138:                             ;   in Loop: Header=BB6_8046 Depth=2
	v_or_b32_e32 v67, 0x7b, v27
; %bb.9139:                             ;   in Loop: Header=BB6_8046 Depth=2
	s_or_b32 exec_lo, exec_lo, s7
                                        ; implicit-def: $vgpr0
.LBB6_9140:                             ;   in Loop: Header=BB6_8046 Depth=2
	s_and_not1_saveexec_b32 s7, s25
	s_cbranch_execz .LBB6_9146
; %bb.9141:                             ;   in Loop: Header=BB6_8046 Depth=2
	s_mov_b32 s25, exec_lo
                                        ; implicit-def: $vgpr67
	v_cmpx_ne_u64_e32 0, v[4:5]
	s_xor_b32 s25, exec_lo, s25
; %bb.9142:                             ;   in Loop: Header=BB6_8046 Depth=2
	v_lshrrev_b32_e32 v0, 24, v0
	s_delay_alu instid0(VALU_DEP_1)
	v_or_b32_e32 v67, 0x7f, v0
                                        ; implicit-def: $vgpr0
; %bb.9143:                             ;   in Loop: Header=BB6_8046 Depth=2
	s_and_not1_saveexec_b32 s25, s25
; %bb.9144:                             ;   in Loop: Header=BB6_8046 Depth=2
	v_cmp_lt_i32_e32 vcc_lo, -1, v0
	v_cndmask_b32_e64 v67, -4, 0x7c, vcc_lo
; %bb.9145:                             ;   in Loop: Header=BB6_8046 Depth=2
	s_or_b32 exec_lo, exec_lo, s25
.LBB6_9146:                             ;   in Loop: Header=BB6_8046 Depth=2
	s_delay_alu instid0(SALU_CYCLE_1)
	s_or_b32 exec_lo, exec_lo, s7
	v_dual_mov_b32 v0, 0 :: v_dual_mov_b32 v1, 0
	s_mov_b32 s7, exec_lo
	v_cmpx_ne_u16_e32 0, v118
	s_cbranch_execz .LBB6_9156
; %bb.9147:                             ;   in Loop: Header=BB6_8046 Depth=2
	v_bfrev_b32_e32 v1, 1
	s_mov_b32 s25, exec_lo
	v_cmpx_ne_u16_e32 0xff80, v118
	s_cbranch_execz .LBB6_9155
; %bb.9148:                             ;   in Loop: Header=BB6_8046 Depth=2
	v_and_b32_e32 v1, 0x7c, v118
	v_and_b32_e32 v2, 3, v118
	s_delay_alu instid0(VALU_DEP_2) | instskip(SKIP_1) | instid1(SALU_CYCLE_1)
	v_cmp_ne_u32_e32 vcc_lo, 0x7c, v1
                                        ; implicit-def: $vgpr1
	s_and_saveexec_b32 s26, vcc_lo
	s_xor_b32 s26, exec_lo, s26
	s_cbranch_execz .LBB6_9152
; %bb.9149:                             ;   in Loop: Header=BB6_8046 Depth=2
	v_and_b32_e32 v1, 0xff, v118
	s_mov_b32 s27, exec_lo
	s_delay_alu instid0(VALU_DEP_1) | instskip(NEXT) | instid1(VALU_DEP_1)
	v_bfe_u32 v1, v1, 2, 5
	v_cmpx_eq_u32_e32 0, v1
	s_cbranch_execz .LBB6_9151
; %bb.9150:                             ;   in Loop: Header=BB6_8046 Depth=2
	v_clz_i32_u32_e32 v1, v2
	s_delay_alu instid0(VALU_DEP_1) | instskip(SKIP_1) | instid1(VALU_DEP_2)
	v_min_u32_e32 v1, 32, v1
	v_mov_b32_e32 v119, v5
	v_subrev_nc_u32_e32 v2, 29, v1
	v_sub_nc_u32_e32 v1, 30, v1
	s_delay_alu instid0(VALU_DEP_2) | instskip(NEXT) | instid1(VALU_DEP_1)
	v_lshlrev_b64_e32 v[2:3], v2, v[118:119]
	v_and_b32_e32 v2, 3, v2
.LBB6_9151:                             ;   in Loop: Header=BB6_8046 Depth=2
	s_or_b32 exec_lo, exec_lo, s27
	v_bfe_i32 v3, v118, 0, 16
                                        ; implicit-def: $vgpr118
	s_delay_alu instid0(VALU_DEP_1) | instskip(NEXT) | instid1(VALU_DEP_1)
	v_and_b32_e32 v3, 0x80000000, v3
	v_lshl_add_u32 v1, v1, 23, v3
	s_delay_alu instid0(VALU_DEP_1) | instskip(NEXT) | instid1(VALU_DEP_1)
	v_lshl_or_b32 v1, v2, 21, v1
                                        ; implicit-def: $vgpr2
	v_add_nc_u32_e32 v1, 0x38000000, v1
.LBB6_9152:                             ;   in Loop: Header=BB6_8046 Depth=2
	s_and_not1_saveexec_b32 s26, s26
; %bb.9153:                             ;   in Loop: Header=BB6_8046 Depth=2
	v_cmp_lt_i16_e32 vcc_lo, -1, v118
	v_cndmask_b32_e32 v1, 0xff800000, v105, vcc_lo
	v_cmp_eq_u32_e32 vcc_lo, 0, v2
	s_delay_alu instid0(VALU_DEP_2)
	v_cndmask_b32_e32 v1, 0x7f800001, v1, vcc_lo
; %bb.9154:                             ;   in Loop: Header=BB6_8046 Depth=2
	s_or_b32 exec_lo, exec_lo, s26
.LBB6_9155:                             ;   in Loop: Header=BB6_8046 Depth=2
	s_delay_alu instid0(SALU_CYCLE_1)
	s_or_b32 exec_lo, exec_lo, s25
.LBB6_9156:                             ;   in Loop: Header=BB6_8046 Depth=2
	s_delay_alu instid0(SALU_CYCLE_1) | instskip(NEXT) | instid1(SALU_CYCLE_1)
	s_or_b32 exec_lo, exec_lo, s7
	s_mov_b32 s7, exec_lo
	v_cmpx_ne_u16_e32 0, v50
	s_cbranch_execz .LBB6_9166
; %bb.9157:                             ;   in Loop: Header=BB6_8046 Depth=2
	v_bfrev_b32_e32 v0, 1
	s_mov_b32 s25, exec_lo
	v_cmpx_ne_u16_e32 0xff80, v50
	s_cbranch_execz .LBB6_9165
; %bb.9158:                             ;   in Loop: Header=BB6_8046 Depth=2
	v_and_b32_e32 v0, 0x7c, v50
	v_and_b32_e32 v2, 3, v50
	s_delay_alu instid0(VALU_DEP_2) | instskip(SKIP_1) | instid1(SALU_CYCLE_1)
	v_cmp_ne_u32_e32 vcc_lo, 0x7c, v0
                                        ; implicit-def: $vgpr0
	s_and_saveexec_b32 s26, vcc_lo
	s_xor_b32 s26, exec_lo, s26
	s_cbranch_execz .LBB6_9162
; %bb.9159:                             ;   in Loop: Header=BB6_8046 Depth=2
	v_and_b32_e32 v0, 0xff, v50
	s_mov_b32 s27, exec_lo
	s_delay_alu instid0(VALU_DEP_1) | instskip(NEXT) | instid1(VALU_DEP_1)
	v_bfe_u32 v0, v0, 2, 5
	v_cmpx_eq_u32_e32 0, v0
	s_cbranch_execz .LBB6_9161
; %bb.9160:                             ;   in Loop: Header=BB6_8046 Depth=2
	v_clz_i32_u32_e32 v0, v2
	s_delay_alu instid0(VALU_DEP_1) | instskip(SKIP_1) | instid1(VALU_DEP_2)
	v_min_u32_e32 v0, 32, v0
	v_mov_b32_e32 v51, v5
	v_subrev_nc_u32_e32 v2, 29, v0
	v_sub_nc_u32_e32 v0, 30, v0
	s_delay_alu instid0(VALU_DEP_2) | instskip(NEXT) | instid1(VALU_DEP_1)
	v_lshlrev_b64_e32 v[2:3], v2, v[50:51]
	v_and_b32_e32 v2, 3, v2
.LBB6_9161:                             ;   in Loop: Header=BB6_8046 Depth=2
	s_or_b32 exec_lo, exec_lo, s27
	v_bfe_i32 v3, v50, 0, 16
                                        ; implicit-def: $vgpr50
	s_delay_alu instid0(VALU_DEP_1) | instskip(NEXT) | instid1(VALU_DEP_1)
	v_and_b32_e32 v3, 0x80000000, v3
	v_lshl_add_u32 v0, v0, 23, v3
	s_delay_alu instid0(VALU_DEP_1) | instskip(NEXT) | instid1(VALU_DEP_1)
	v_lshl_or_b32 v0, v2, 21, v0
                                        ; implicit-def: $vgpr2
	v_add_nc_u32_e32 v0, 0x38000000, v0
.LBB6_9162:                             ;   in Loop: Header=BB6_8046 Depth=2
	s_and_not1_saveexec_b32 s26, s26
; %bb.9163:                             ;   in Loop: Header=BB6_8046 Depth=2
	v_cmp_lt_i16_e32 vcc_lo, -1, v50
	v_cndmask_b32_e32 v0, 0xff800000, v105, vcc_lo
	v_cmp_eq_u32_e32 vcc_lo, 0, v2
	s_delay_alu instid0(VALU_DEP_2)
	v_cndmask_b32_e32 v0, 0x7f800001, v0, vcc_lo
; %bb.9164:                             ;   in Loop: Header=BB6_8046 Depth=2
	s_or_b32 exec_lo, exec_lo, s26
.LBB6_9165:                             ;   in Loop: Header=BB6_8046 Depth=2
	s_delay_alu instid0(SALU_CYCLE_1)
	s_or_b32 exec_lo, exec_lo, s25
.LBB6_9166:                             ;   in Loop: Header=BB6_8046 Depth=2
	s_delay_alu instid0(SALU_CYCLE_1) | instskip(NEXT) | instid1(VALU_DEP_1)
	s_or_b32 exec_lo, exec_lo, s7
	v_mul_f32_e32 v0, v1, v0
	v_mov_b32_e32 v3, v5
                                        ; implicit-def: $vgpr50
	s_mov_b32 s7, exec_lo
	s_delay_alu instid0(VALU_DEP_2) | instskip(SKIP_1) | instid1(VALU_DEP_2)
	v_and_b32_e32 v2, 0x7f800000, v0
	v_and_b32_e32 v4, 0x7fffff, v0
	v_cmpx_ne_u64_e32 0x7f800000, v[2:3]
	s_xor_b32 s25, exec_lo, s7
	s_cbranch_execz .LBB6_9184
; %bb.9167:                             ;   in Loop: Header=BB6_8046 Depth=2
	v_dual_mov_b32 v3, v5 :: v_dual_lshrrev_b32 v1, 24, v0
	v_and_b32_e32 v2, 0x7fffffff, v0
                                        ; implicit-def: $vgpr50
	s_mov_b32 s7, exec_lo
	s_delay_alu instid0(VALU_DEP_2) | instskip(NEXT) | instid1(VALU_DEP_2)
	v_and_b32_e32 v27, 0x80, v1
	v_cmpx_gt_u64_e32 0x47600001, v[2:3]
	s_xor_b32 s26, exec_lo, s7
	s_cbranch_execz .LBB6_9181
; %bb.9168:                             ;   in Loop: Header=BB6_8046 Depth=2
	v_mov_b32_e32 v50, 0
	s_mov_b32 s27, exec_lo
	v_cmpx_ne_u32_e32 0, v0
	s_cbranch_execz .LBB6_9180
; %bb.9169:                             ;   in Loop: Header=BB6_8046 Depth=2
	v_bfe_u32 v29, v0, 23, 8
	v_or_b32_e32 v2, 0x800000, v4
	s_mov_b32 s28, exec_lo
	s_delay_alu instid0(VALU_DEP_2) | instskip(SKIP_1) | instid1(VALU_DEP_2)
	v_dual_mov_b32 v3, v5 :: v_dual_sub_nc_u32 v0, 0x71, v29
	v_cmp_gt_u32_e32 vcc_lo, 0x72, v29
	v_cndmask_b32_e32 v0, 0, v0, vcc_lo
	v_cmp_eq_u32_e32 vcc_lo, 0, v29
	s_delay_alu instid0(VALU_DEP_2) | instskip(NEXT) | instid1(VALU_DEP_1)
	v_cndmask_b32_e64 v33, v0, 0x70, vcc_lo
	v_dual_cndmask_b32 v2, v2, v4, vcc_lo :: v_dual_add_nc_u32 v0, 21, v33
	v_add_nc_u32_e32 v26, 20, v33
	s_delay_alu instid0(VALU_DEP_2) | instskip(NEXT) | instid1(VALU_DEP_2)
	v_lshlrev_b64_e64 v[0:1], v0, -1
	v_lshlrev_b64_e64 v[50:51], v26, 1
	s_delay_alu instid0(VALU_DEP_2) | instskip(NEXT) | instid1(VALU_DEP_3)
	v_bfi_b32 v69, v1, 0, 0
	v_bfi_b32 v68, v0, 0, v2
	v_lshrrev_b64 v[0:1], v33, v[2:3]
	s_delay_alu instid0(VALU_DEP_1) | instskip(NEXT) | instid1(VALU_DEP_3)
	v_mov_b64_e32 v[2:3], v[0:1]
	v_cmpx_eq_u64_e64 v[68:69], v[50:51]
; %bb.9170:                             ;   in Loop: Header=BB6_8046 Depth=2
	v_bfe_u32 v2, v0, 21, 1
	v_mov_b32_e32 v3, v5
	s_delay_alu instid0(VALU_DEP_1) | instskip(NEXT) | instid1(VALU_DEP_1)
	v_add_nc_u64_e32 v[2:3], v[0:1], v[2:3]
	v_add_nc_u64_e32 v[2:3], -1, v[2:3]
; %bb.9171:                             ;   in Loop: Header=BB6_8046 Depth=2
	s_or_b32 exec_lo, exec_lo, s28
	v_add_nc_u32_e32 v1, 0xffffff81, v29
	s_delay_alu instid0(VALU_DEP_2) | instskip(SKIP_2) | instid1(VALU_DEP_3)
	v_and_b32_e32 v2, 0x1fffff, v2
	v_lshrrev_b32_e32 v3, 23, v0
	s_mov_b32 s7, exec_lo
	v_cndmask_b32_e64 v1, v1, 0xffffff82, vcc_lo
	s_delay_alu instid0(VALU_DEP_3) | instskip(NEXT) | instid1(VALU_DEP_2)
	v_add_nc_u32_e32 v4, v2, v0
                                        ; implicit-def: $vgpr2
	v_add3_u32 v3, v33, v1, v3
                                        ; implicit-def: $vgpr0_vgpr1
	s_delay_alu instid0(VALU_DEP_1) | instskip(NEXT) | instid1(VALU_DEP_1)
	v_add_nc_u32_e32 v29, 14, v3
	v_cmpx_ne_u32_e32 0, v29
	s_xor_b32 s7, exec_lo, s7
; %bb.9172:                             ;   in Loop: Header=BB6_8046 Depth=2
	v_cmp_lt_u64_e32 vcc_lo, 0xffffff, v[4:5]
	v_add_nc_u32_e32 v0, 15, v3
	s_delay_alu instid0(VALU_DEP_1) | instskip(SKIP_1) | instid1(VALU_DEP_1)
	v_cndmask_b32_e32 v2, v29, v0, vcc_lo
	v_cndmask_b32_e64 v0, 0, 1, vcc_lo
	v_lshrrev_b64 v[0:1], v0, v[4:5]
; %bb.9173:                             ;   in Loop: Header=BB6_8046 Depth=2
	s_and_not1_saveexec_b32 s7, s7
; %bb.9174:                             ;   in Loop: Header=BB6_8046 Depth=2
	v_mov_b64_e32 v[0:1], v[4:5]
	v_bfe_u32 v2, v4, 23, 1
; %bb.9175:                             ;   in Loop: Header=BB6_8046 Depth=2
	s_or_b32 exec_lo, exec_lo, s7
	s_delay_alu instid0(VALU_DEP_2) | instskip(NEXT) | instid1(VALU_DEP_2)
	v_lshrrev_b64 v[0:1], 21, v[0:1]
	v_cmp_gt_i32_e32 vcc_lo, 32, v2
	v_cmp_ne_u32_e64 s7, 0, v2
                                        ; implicit-def: $vgpr50
	s_delay_alu instid0(VALU_DEP_3) | instskip(NEXT) | instid1(VALU_DEP_1)
	v_dual_cndmask_b32 v1, 0, v1 :: v_dual_cndmask_b32 v0, 3, v0
	v_cmp_ne_u64_e32 vcc_lo, 0, v[0:1]
	s_or_b32 s7, s7, vcc_lo
	s_delay_alu instid0(SALU_CYCLE_1) | instskip(NEXT) | instid1(SALU_CYCLE_1)
	s_and_saveexec_b32 s28, s7
	s_xor_b32 s7, exec_lo, s28
; %bb.9176:                             ;   in Loop: Header=BB6_8046 Depth=2
	v_min_i32_e32 v1, 31, v2
	s_delay_alu instid0(VALU_DEP_1) | instskip(NEXT) | instid1(VALU_DEP_1)
	v_lshl_or_b32 v1, v1, 2, v27
                                        ; implicit-def: $vgpr27
	v_and_or_b32 v50, v0, 3, v1
; %bb.9177:                             ;   in Loop: Header=BB6_8046 Depth=2
	s_and_not1_saveexec_b32 s7, s7
; %bb.9178:                             ;   in Loop: Header=BB6_8046 Depth=2
	v_mov_b32_e32 v50, v27
; %bb.9179:                             ;   in Loop: Header=BB6_8046 Depth=2
	s_or_b32 exec_lo, exec_lo, s7
.LBB6_9180:                             ;   in Loop: Header=BB6_8046 Depth=2
	s_delay_alu instid0(SALU_CYCLE_1)
	s_or_b32 exec_lo, exec_lo, s27
                                        ; implicit-def: $vgpr27
.LBB6_9181:                             ;   in Loop: Header=BB6_8046 Depth=2
	s_and_not1_saveexec_b32 s7, s26
; %bb.9182:                             ;   in Loop: Header=BB6_8046 Depth=2
	v_or_b32_e32 v50, 0x7b, v27
; %bb.9183:                             ;   in Loop: Header=BB6_8046 Depth=2
	s_or_b32 exec_lo, exec_lo, s7
                                        ; implicit-def: $vgpr0
.LBB6_9184:                             ;   in Loop: Header=BB6_8046 Depth=2
	s_and_not1_saveexec_b32 s7, s25
	s_cbranch_execz .LBB6_9190
; %bb.9185:                             ;   in Loop: Header=BB6_8046 Depth=2
	s_mov_b32 s25, exec_lo
                                        ; implicit-def: $vgpr50
	v_cmpx_ne_u64_e32 0, v[4:5]
	s_xor_b32 s25, exec_lo, s25
; %bb.9186:                             ;   in Loop: Header=BB6_8046 Depth=2
	v_lshrrev_b32_e32 v0, 24, v0
	s_delay_alu instid0(VALU_DEP_1)
	v_or_b32_e32 v50, 0x7f, v0
                                        ; implicit-def: $vgpr0
; %bb.9187:                             ;   in Loop: Header=BB6_8046 Depth=2
	s_and_not1_saveexec_b32 s25, s25
; %bb.9188:                             ;   in Loop: Header=BB6_8046 Depth=2
	v_cmp_lt_i32_e32 vcc_lo, -1, v0
	v_cndmask_b32_e64 v50, -4, 0x7c, vcc_lo
; %bb.9189:                             ;   in Loop: Header=BB6_8046 Depth=2
	s_or_b32 exec_lo, exec_lo, s25
.LBB6_9190:                             ;   in Loop: Header=BB6_8046 Depth=2
	s_delay_alu instid0(SALU_CYCLE_1)
	s_or_b32 exec_lo, exec_lo, s7
	v_dual_mov_b32 v0, 0 :: v_dual_mov_b32 v1, 0
	s_mov_b32 s7, exec_lo
	v_cmpx_ne_u16_e32 0, v48
	s_cbranch_execz .LBB6_9200
; %bb.9191:                             ;   in Loop: Header=BB6_8046 Depth=2
	v_bfrev_b32_e32 v1, 1
	s_mov_b32 s25, exec_lo
	v_cmpx_ne_u16_e32 0xff80, v48
	s_cbranch_execz .LBB6_9199
; %bb.9192:                             ;   in Loop: Header=BB6_8046 Depth=2
	v_and_b32_e32 v1, 0x7c, v48
	v_and_b32_e32 v2, 3, v48
	s_delay_alu instid0(VALU_DEP_2) | instskip(SKIP_1) | instid1(SALU_CYCLE_1)
	v_cmp_ne_u32_e32 vcc_lo, 0x7c, v1
                                        ; implicit-def: $vgpr1
	s_and_saveexec_b32 s26, vcc_lo
	s_xor_b32 s26, exec_lo, s26
	s_cbranch_execz .LBB6_9196
; %bb.9193:                             ;   in Loop: Header=BB6_8046 Depth=2
	v_and_b32_e32 v1, 0xff, v48
	s_mov_b32 s27, exec_lo
	s_delay_alu instid0(VALU_DEP_1) | instskip(NEXT) | instid1(VALU_DEP_1)
	v_bfe_u32 v1, v1, 2, 5
	v_cmpx_eq_u32_e32 0, v1
	s_cbranch_execz .LBB6_9195
; %bb.9194:                             ;   in Loop: Header=BB6_8046 Depth=2
	v_clz_i32_u32_e32 v1, v2
	s_delay_alu instid0(VALU_DEP_1) | instskip(SKIP_1) | instid1(VALU_DEP_2)
	v_min_u32_e32 v1, 32, v1
	v_mov_b32_e32 v49, v5
	v_subrev_nc_u32_e32 v2, 29, v1
	v_sub_nc_u32_e32 v1, 30, v1
	s_delay_alu instid0(VALU_DEP_2) | instskip(NEXT) | instid1(VALU_DEP_1)
	v_lshlrev_b64_e32 v[2:3], v2, v[48:49]
	v_and_b32_e32 v2, 3, v2
.LBB6_9195:                             ;   in Loop: Header=BB6_8046 Depth=2
	s_or_b32 exec_lo, exec_lo, s27
	v_bfe_i32 v3, v48, 0, 16
                                        ; implicit-def: $vgpr48
	s_delay_alu instid0(VALU_DEP_1) | instskip(NEXT) | instid1(VALU_DEP_1)
	v_and_b32_e32 v3, 0x80000000, v3
	v_lshl_add_u32 v1, v1, 23, v3
	s_delay_alu instid0(VALU_DEP_1) | instskip(NEXT) | instid1(VALU_DEP_1)
	v_lshl_or_b32 v1, v2, 21, v1
                                        ; implicit-def: $vgpr2
	v_add_nc_u32_e32 v1, 0x38000000, v1
.LBB6_9196:                             ;   in Loop: Header=BB6_8046 Depth=2
	s_and_not1_saveexec_b32 s26, s26
; %bb.9197:                             ;   in Loop: Header=BB6_8046 Depth=2
	v_cmp_lt_i16_e32 vcc_lo, -1, v48
	v_cndmask_b32_e32 v1, 0xff800000, v105, vcc_lo
	v_cmp_eq_u32_e32 vcc_lo, 0, v2
	s_delay_alu instid0(VALU_DEP_2)
	v_cndmask_b32_e32 v1, 0x7f800001, v1, vcc_lo
; %bb.9198:                             ;   in Loop: Header=BB6_8046 Depth=2
	s_or_b32 exec_lo, exec_lo, s26
.LBB6_9199:                             ;   in Loop: Header=BB6_8046 Depth=2
	s_delay_alu instid0(SALU_CYCLE_1)
	s_or_b32 exec_lo, exec_lo, s25
.LBB6_9200:                             ;   in Loop: Header=BB6_8046 Depth=2
	s_delay_alu instid0(SALU_CYCLE_1) | instskip(NEXT) | instid1(SALU_CYCLE_1)
	s_or_b32 exec_lo, exec_lo, s7
	s_mov_b32 s7, exec_lo
	v_cmpx_ne_u16_e32 0, v38
	s_cbranch_execz .LBB6_9210
; %bb.9201:                             ;   in Loop: Header=BB6_8046 Depth=2
	v_bfrev_b32_e32 v0, 1
	s_mov_b32 s25, exec_lo
	v_cmpx_ne_u16_e32 0xff80, v38
	s_cbranch_execz .LBB6_9209
; %bb.9202:                             ;   in Loop: Header=BB6_8046 Depth=2
	v_and_b32_e32 v0, 0x7c, v38
	v_and_b32_e32 v2, 3, v38
	s_delay_alu instid0(VALU_DEP_2) | instskip(SKIP_1) | instid1(SALU_CYCLE_1)
	v_cmp_ne_u32_e32 vcc_lo, 0x7c, v0
                                        ; implicit-def: $vgpr0
	s_and_saveexec_b32 s26, vcc_lo
	s_xor_b32 s26, exec_lo, s26
	s_cbranch_execz .LBB6_9206
; %bb.9203:                             ;   in Loop: Header=BB6_8046 Depth=2
	v_and_b32_e32 v0, 0xff, v38
	s_mov_b32 s27, exec_lo
	s_delay_alu instid0(VALU_DEP_1) | instskip(NEXT) | instid1(VALU_DEP_1)
	v_bfe_u32 v0, v0, 2, 5
	v_cmpx_eq_u32_e32 0, v0
	s_cbranch_execz .LBB6_9205
; %bb.9204:                             ;   in Loop: Header=BB6_8046 Depth=2
	v_clz_i32_u32_e32 v0, v2
	s_delay_alu instid0(VALU_DEP_1) | instskip(SKIP_1) | instid1(VALU_DEP_2)
	v_min_u32_e32 v0, 32, v0
	v_mov_b32_e32 v39, v5
	v_subrev_nc_u32_e32 v2, 29, v0
	v_sub_nc_u32_e32 v0, 30, v0
	s_delay_alu instid0(VALU_DEP_2) | instskip(NEXT) | instid1(VALU_DEP_1)
	v_lshlrev_b64_e32 v[2:3], v2, v[38:39]
	v_and_b32_e32 v2, 3, v2
.LBB6_9205:                             ;   in Loop: Header=BB6_8046 Depth=2
	s_or_b32 exec_lo, exec_lo, s27
	v_bfe_i32 v3, v38, 0, 16
                                        ; implicit-def: $vgpr38
	s_delay_alu instid0(VALU_DEP_1) | instskip(NEXT) | instid1(VALU_DEP_1)
	v_and_b32_e32 v3, 0x80000000, v3
	v_lshl_add_u32 v0, v0, 23, v3
	s_delay_alu instid0(VALU_DEP_1) | instskip(NEXT) | instid1(VALU_DEP_1)
	v_lshl_or_b32 v0, v2, 21, v0
                                        ; implicit-def: $vgpr2
	v_add_nc_u32_e32 v0, 0x38000000, v0
.LBB6_9206:                             ;   in Loop: Header=BB6_8046 Depth=2
	s_and_not1_saveexec_b32 s26, s26
; %bb.9207:                             ;   in Loop: Header=BB6_8046 Depth=2
	v_cmp_lt_i16_e32 vcc_lo, -1, v38
	v_cndmask_b32_e32 v0, 0xff800000, v105, vcc_lo
	v_cmp_eq_u32_e32 vcc_lo, 0, v2
	s_delay_alu instid0(VALU_DEP_2)
	v_cndmask_b32_e32 v0, 0x7f800001, v0, vcc_lo
; %bb.9208:                             ;   in Loop: Header=BB6_8046 Depth=2
	s_or_b32 exec_lo, exec_lo, s26
.LBB6_9209:                             ;   in Loop: Header=BB6_8046 Depth=2
	s_delay_alu instid0(SALU_CYCLE_1)
	s_or_b32 exec_lo, exec_lo, s25
.LBB6_9210:                             ;   in Loop: Header=BB6_8046 Depth=2
	s_delay_alu instid0(SALU_CYCLE_1) | instskip(NEXT) | instid1(VALU_DEP_1)
	s_or_b32 exec_lo, exec_lo, s7
	v_mul_f32_e32 v0, v1, v0
	v_mov_b32_e32 v3, v5
                                        ; implicit-def: $vgpr38
	s_mov_b32 s7, exec_lo
	s_delay_alu instid0(VALU_DEP_2) | instskip(SKIP_1) | instid1(VALU_DEP_2)
	v_and_b32_e32 v2, 0x7f800000, v0
	v_and_b32_e32 v4, 0x7fffff, v0
	v_cmpx_ne_u64_e32 0x7f800000, v[2:3]
	s_xor_b32 s25, exec_lo, s7
	s_cbranch_execz .LBB6_9228
; %bb.9211:                             ;   in Loop: Header=BB6_8046 Depth=2
	v_dual_mov_b32 v3, v5 :: v_dual_lshrrev_b32 v1, 24, v0
	v_and_b32_e32 v2, 0x7fffffff, v0
                                        ; implicit-def: $vgpr38
	s_mov_b32 s7, exec_lo
	s_delay_alu instid0(VALU_DEP_2) | instskip(NEXT) | instid1(VALU_DEP_2)
	v_and_b32_e32 v27, 0x80, v1
	v_cmpx_gt_u64_e32 0x47600001, v[2:3]
	s_xor_b32 s26, exec_lo, s7
	s_cbranch_execz .LBB6_9225
; %bb.9212:                             ;   in Loop: Header=BB6_8046 Depth=2
	v_mov_b32_e32 v38, 0
	s_mov_b32 s27, exec_lo
	v_cmpx_ne_u32_e32 0, v0
	s_cbranch_execz .LBB6_9224
; %bb.9213:                             ;   in Loop: Header=BB6_8046 Depth=2
	v_bfe_u32 v29, v0, 23, 8
	v_or_b32_e32 v2, 0x800000, v4
	s_mov_b32 s28, exec_lo
	s_delay_alu instid0(VALU_DEP_2) | instskip(SKIP_1) | instid1(VALU_DEP_2)
	v_dual_mov_b32 v3, v5 :: v_dual_sub_nc_u32 v0, 0x71, v29
	v_cmp_gt_u32_e32 vcc_lo, 0x72, v29
	v_cndmask_b32_e32 v0, 0, v0, vcc_lo
	v_cmp_eq_u32_e32 vcc_lo, 0, v29
	s_delay_alu instid0(VALU_DEP_2) | instskip(NEXT) | instid1(VALU_DEP_1)
	v_cndmask_b32_e64 v33, v0, 0x70, vcc_lo
	v_dual_cndmask_b32 v2, v2, v4, vcc_lo :: v_dual_add_nc_u32 v0, 21, v33
	v_add_nc_u32_e32 v26, 20, v33
	s_delay_alu instid0(VALU_DEP_2) | instskip(NEXT) | instid1(VALU_DEP_2)
	v_lshlrev_b64_e64 v[0:1], v0, -1
	v_lshlrev_b64_e64 v[38:39], v26, 1
	s_delay_alu instid0(VALU_DEP_2) | instskip(NEXT) | instid1(VALU_DEP_3)
	v_bfi_b32 v49, v1, 0, 0
	v_bfi_b32 v48, v0, 0, v2
	v_lshrrev_b64 v[0:1], v33, v[2:3]
	s_delay_alu instid0(VALU_DEP_1) | instskip(NEXT) | instid1(VALU_DEP_3)
	v_mov_b64_e32 v[2:3], v[0:1]
	v_cmpx_eq_u64_e64 v[48:49], v[38:39]
; %bb.9214:                             ;   in Loop: Header=BB6_8046 Depth=2
	v_bfe_u32 v2, v0, 21, 1
	v_mov_b32_e32 v3, v5
	s_delay_alu instid0(VALU_DEP_1) | instskip(NEXT) | instid1(VALU_DEP_1)
	v_add_nc_u64_e32 v[2:3], v[0:1], v[2:3]
	v_add_nc_u64_e32 v[2:3], -1, v[2:3]
; %bb.9215:                             ;   in Loop: Header=BB6_8046 Depth=2
	s_or_b32 exec_lo, exec_lo, s28
	v_add_nc_u32_e32 v1, 0xffffff81, v29
	s_delay_alu instid0(VALU_DEP_2) | instskip(SKIP_2) | instid1(VALU_DEP_3)
	v_and_b32_e32 v2, 0x1fffff, v2
	v_lshrrev_b32_e32 v3, 23, v0
	s_mov_b32 s7, exec_lo
	v_cndmask_b32_e64 v1, v1, 0xffffff82, vcc_lo
	s_delay_alu instid0(VALU_DEP_3) | instskip(NEXT) | instid1(VALU_DEP_2)
	v_add_nc_u32_e32 v4, v2, v0
                                        ; implicit-def: $vgpr2
	v_add3_u32 v3, v33, v1, v3
                                        ; implicit-def: $vgpr0_vgpr1
	s_delay_alu instid0(VALU_DEP_1) | instskip(NEXT) | instid1(VALU_DEP_1)
	v_add_nc_u32_e32 v29, 14, v3
	v_cmpx_ne_u32_e32 0, v29
	s_xor_b32 s7, exec_lo, s7
; %bb.9216:                             ;   in Loop: Header=BB6_8046 Depth=2
	v_cmp_lt_u64_e32 vcc_lo, 0xffffff, v[4:5]
	v_add_nc_u32_e32 v0, 15, v3
	s_delay_alu instid0(VALU_DEP_1) | instskip(SKIP_1) | instid1(VALU_DEP_1)
	v_cndmask_b32_e32 v2, v29, v0, vcc_lo
	v_cndmask_b32_e64 v0, 0, 1, vcc_lo
	v_lshrrev_b64 v[0:1], v0, v[4:5]
; %bb.9217:                             ;   in Loop: Header=BB6_8046 Depth=2
	s_and_not1_saveexec_b32 s7, s7
; %bb.9218:                             ;   in Loop: Header=BB6_8046 Depth=2
	v_mov_b64_e32 v[0:1], v[4:5]
	v_bfe_u32 v2, v4, 23, 1
; %bb.9219:                             ;   in Loop: Header=BB6_8046 Depth=2
	s_or_b32 exec_lo, exec_lo, s7
	s_delay_alu instid0(VALU_DEP_2) | instskip(NEXT) | instid1(VALU_DEP_2)
	v_lshrrev_b64 v[0:1], 21, v[0:1]
	v_cmp_gt_i32_e32 vcc_lo, 32, v2
	v_cmp_ne_u32_e64 s7, 0, v2
                                        ; implicit-def: $vgpr38
	s_delay_alu instid0(VALU_DEP_3) | instskip(NEXT) | instid1(VALU_DEP_1)
	v_dual_cndmask_b32 v1, 0, v1 :: v_dual_cndmask_b32 v0, 3, v0
	v_cmp_ne_u64_e32 vcc_lo, 0, v[0:1]
	s_or_b32 s7, s7, vcc_lo
	s_delay_alu instid0(SALU_CYCLE_1) | instskip(NEXT) | instid1(SALU_CYCLE_1)
	s_and_saveexec_b32 s28, s7
	s_xor_b32 s7, exec_lo, s28
; %bb.9220:                             ;   in Loop: Header=BB6_8046 Depth=2
	v_min_i32_e32 v1, 31, v2
	s_delay_alu instid0(VALU_DEP_1) | instskip(NEXT) | instid1(VALU_DEP_1)
	v_lshl_or_b32 v1, v1, 2, v27
                                        ; implicit-def: $vgpr27
	v_and_or_b32 v38, v0, 3, v1
; %bb.9221:                             ;   in Loop: Header=BB6_8046 Depth=2
	s_and_not1_saveexec_b32 s7, s7
; %bb.9222:                             ;   in Loop: Header=BB6_8046 Depth=2
	v_mov_b32_e32 v38, v27
; %bb.9223:                             ;   in Loop: Header=BB6_8046 Depth=2
	s_or_b32 exec_lo, exec_lo, s7
.LBB6_9224:                             ;   in Loop: Header=BB6_8046 Depth=2
	s_delay_alu instid0(SALU_CYCLE_1)
	s_or_b32 exec_lo, exec_lo, s27
                                        ; implicit-def: $vgpr27
.LBB6_9225:                             ;   in Loop: Header=BB6_8046 Depth=2
	s_and_not1_saveexec_b32 s7, s26
; %bb.9226:                             ;   in Loop: Header=BB6_8046 Depth=2
	v_or_b32_e32 v38, 0x7b, v27
; %bb.9227:                             ;   in Loop: Header=BB6_8046 Depth=2
	s_or_b32 exec_lo, exec_lo, s7
                                        ; implicit-def: $vgpr0
.LBB6_9228:                             ;   in Loop: Header=BB6_8046 Depth=2
	s_and_not1_saveexec_b32 s7, s25
	s_cbranch_execz .LBB6_9234
; %bb.9229:                             ;   in Loop: Header=BB6_8046 Depth=2
	s_mov_b32 s25, exec_lo
                                        ; implicit-def: $vgpr38
	v_cmpx_ne_u64_e32 0, v[4:5]
	s_xor_b32 s25, exec_lo, s25
; %bb.9230:                             ;   in Loop: Header=BB6_8046 Depth=2
	v_lshrrev_b32_e32 v0, 24, v0
	s_delay_alu instid0(VALU_DEP_1)
	v_or_b32_e32 v38, 0x7f, v0
                                        ; implicit-def: $vgpr0
; %bb.9231:                             ;   in Loop: Header=BB6_8046 Depth=2
	s_and_not1_saveexec_b32 s25, s25
; %bb.9232:                             ;   in Loop: Header=BB6_8046 Depth=2
	v_cmp_lt_i32_e32 vcc_lo, -1, v0
	v_cndmask_b32_e64 v38, -4, 0x7c, vcc_lo
; %bb.9233:                             ;   in Loop: Header=BB6_8046 Depth=2
	s_or_b32 exec_lo, exec_lo, s25
.LBB6_9234:                             ;   in Loop: Header=BB6_8046 Depth=2
	s_delay_alu instid0(SALU_CYCLE_1)
	s_or_b32 exec_lo, exec_lo, s7
	v_dual_mov_b32 v0, 0 :: v_dual_mov_b32 v1, 0
	s_mov_b32 s7, exec_lo
	v_cmpx_ne_u16_e32 0, v36
	s_cbranch_execz .LBB6_9244
; %bb.9235:                             ;   in Loop: Header=BB6_8046 Depth=2
	v_bfrev_b32_e32 v1, 1
	s_mov_b32 s25, exec_lo
	v_cmpx_ne_u16_e32 0xff80, v36
	s_cbranch_execz .LBB6_9243
; %bb.9236:                             ;   in Loop: Header=BB6_8046 Depth=2
	v_and_b32_e32 v1, 0x7c, v36
	v_and_b32_e32 v2, 3, v36
	s_delay_alu instid0(VALU_DEP_2) | instskip(SKIP_1) | instid1(SALU_CYCLE_1)
	v_cmp_ne_u32_e32 vcc_lo, 0x7c, v1
                                        ; implicit-def: $vgpr1
	s_and_saveexec_b32 s26, vcc_lo
	s_xor_b32 s26, exec_lo, s26
	s_cbranch_execz .LBB6_9240
; %bb.9237:                             ;   in Loop: Header=BB6_8046 Depth=2
	v_and_b32_e32 v1, 0xff, v36
	s_mov_b32 s27, exec_lo
	s_delay_alu instid0(VALU_DEP_1) | instskip(NEXT) | instid1(VALU_DEP_1)
	v_bfe_u32 v1, v1, 2, 5
	v_cmpx_eq_u32_e32 0, v1
	s_cbranch_execz .LBB6_9239
; %bb.9238:                             ;   in Loop: Header=BB6_8046 Depth=2
	v_clz_i32_u32_e32 v1, v2
	s_delay_alu instid0(VALU_DEP_1) | instskip(SKIP_1) | instid1(VALU_DEP_2)
	v_min_u32_e32 v1, 32, v1
	v_mov_b32_e32 v37, v5
	v_subrev_nc_u32_e32 v2, 29, v1
	v_sub_nc_u32_e32 v1, 30, v1
	s_delay_alu instid0(VALU_DEP_2) | instskip(NEXT) | instid1(VALU_DEP_1)
	v_lshlrev_b64_e32 v[2:3], v2, v[36:37]
	v_and_b32_e32 v2, 3, v2
.LBB6_9239:                             ;   in Loop: Header=BB6_8046 Depth=2
	s_or_b32 exec_lo, exec_lo, s27
	v_bfe_i32 v3, v36, 0, 16
                                        ; implicit-def: $vgpr36
	s_delay_alu instid0(VALU_DEP_1) | instskip(NEXT) | instid1(VALU_DEP_1)
	v_and_b32_e32 v3, 0x80000000, v3
	v_lshl_add_u32 v1, v1, 23, v3
	s_delay_alu instid0(VALU_DEP_1) | instskip(NEXT) | instid1(VALU_DEP_1)
	v_lshl_or_b32 v1, v2, 21, v1
                                        ; implicit-def: $vgpr2
	v_add_nc_u32_e32 v1, 0x38000000, v1
.LBB6_9240:                             ;   in Loop: Header=BB6_8046 Depth=2
	s_and_not1_saveexec_b32 s26, s26
; %bb.9241:                             ;   in Loop: Header=BB6_8046 Depth=2
	v_cmp_lt_i16_e32 vcc_lo, -1, v36
	v_cndmask_b32_e32 v1, 0xff800000, v105, vcc_lo
	v_cmp_eq_u32_e32 vcc_lo, 0, v2
	s_delay_alu instid0(VALU_DEP_2)
	v_cndmask_b32_e32 v1, 0x7f800001, v1, vcc_lo
; %bb.9242:                             ;   in Loop: Header=BB6_8046 Depth=2
	s_or_b32 exec_lo, exec_lo, s26
.LBB6_9243:                             ;   in Loop: Header=BB6_8046 Depth=2
	s_delay_alu instid0(SALU_CYCLE_1)
	s_or_b32 exec_lo, exec_lo, s25
.LBB6_9244:                             ;   in Loop: Header=BB6_8046 Depth=2
	s_delay_alu instid0(SALU_CYCLE_1) | instskip(NEXT) | instid1(SALU_CYCLE_1)
	s_or_b32 exec_lo, exec_lo, s7
	s_mov_b32 s7, exec_lo
	v_cmpx_ne_u16_e32 0, v34
	s_cbranch_execz .LBB6_9254
; %bb.9245:                             ;   in Loop: Header=BB6_8046 Depth=2
	v_bfrev_b32_e32 v0, 1
	s_mov_b32 s25, exec_lo
	v_cmpx_ne_u16_e32 0xff80, v34
	s_cbranch_execz .LBB6_9253
; %bb.9246:                             ;   in Loop: Header=BB6_8046 Depth=2
	v_and_b32_e32 v0, 0x7c, v34
	v_and_b32_e32 v2, 3, v34
	s_delay_alu instid0(VALU_DEP_2) | instskip(SKIP_1) | instid1(SALU_CYCLE_1)
	v_cmp_ne_u32_e32 vcc_lo, 0x7c, v0
                                        ; implicit-def: $vgpr0
	s_and_saveexec_b32 s26, vcc_lo
	s_xor_b32 s26, exec_lo, s26
	s_cbranch_execz .LBB6_9250
; %bb.9247:                             ;   in Loop: Header=BB6_8046 Depth=2
	v_and_b32_e32 v0, 0xff, v34
	s_mov_b32 s27, exec_lo
	s_delay_alu instid0(VALU_DEP_1) | instskip(NEXT) | instid1(VALU_DEP_1)
	v_bfe_u32 v0, v0, 2, 5
	v_cmpx_eq_u32_e32 0, v0
	s_cbranch_execz .LBB6_9249
; %bb.9248:                             ;   in Loop: Header=BB6_8046 Depth=2
	v_clz_i32_u32_e32 v0, v2
	s_delay_alu instid0(VALU_DEP_1) | instskip(SKIP_1) | instid1(VALU_DEP_2)
	v_min_u32_e32 v0, 32, v0
	v_mov_b32_e32 v35, v5
	v_subrev_nc_u32_e32 v2, 29, v0
	v_sub_nc_u32_e32 v0, 30, v0
	s_delay_alu instid0(VALU_DEP_2) | instskip(NEXT) | instid1(VALU_DEP_1)
	v_lshlrev_b64_e32 v[2:3], v2, v[34:35]
	v_and_b32_e32 v2, 3, v2
.LBB6_9249:                             ;   in Loop: Header=BB6_8046 Depth=2
	s_or_b32 exec_lo, exec_lo, s27
	v_bfe_i32 v3, v34, 0, 16
                                        ; implicit-def: $vgpr34
	s_delay_alu instid0(VALU_DEP_1) | instskip(NEXT) | instid1(VALU_DEP_1)
	v_and_b32_e32 v3, 0x80000000, v3
	v_lshl_add_u32 v0, v0, 23, v3
	s_delay_alu instid0(VALU_DEP_1) | instskip(NEXT) | instid1(VALU_DEP_1)
	v_lshl_or_b32 v0, v2, 21, v0
                                        ; implicit-def: $vgpr2
	v_add_nc_u32_e32 v0, 0x38000000, v0
.LBB6_9250:                             ;   in Loop: Header=BB6_8046 Depth=2
	s_and_not1_saveexec_b32 s26, s26
; %bb.9251:                             ;   in Loop: Header=BB6_8046 Depth=2
	v_cmp_lt_i16_e32 vcc_lo, -1, v34
	v_cndmask_b32_e32 v0, 0xff800000, v105, vcc_lo
	v_cmp_eq_u32_e32 vcc_lo, 0, v2
	s_delay_alu instid0(VALU_DEP_2)
	v_cndmask_b32_e32 v0, 0x7f800001, v0, vcc_lo
; %bb.9252:                             ;   in Loop: Header=BB6_8046 Depth=2
	s_or_b32 exec_lo, exec_lo, s26
.LBB6_9253:                             ;   in Loop: Header=BB6_8046 Depth=2
	s_delay_alu instid0(SALU_CYCLE_1)
	s_or_b32 exec_lo, exec_lo, s25
.LBB6_9254:                             ;   in Loop: Header=BB6_8046 Depth=2
	s_delay_alu instid0(SALU_CYCLE_1) | instskip(NEXT) | instid1(VALU_DEP_1)
	s_or_b32 exec_lo, exec_lo, s7
	v_mul_f32_e32 v0, v1, v0
	v_mov_b32_e32 v3, v5
                                        ; implicit-def: $vgpr34
	s_mov_b32 s7, exec_lo
	s_delay_alu instid0(VALU_DEP_2) | instskip(SKIP_1) | instid1(VALU_DEP_2)
	v_and_b32_e32 v2, 0x7f800000, v0
	v_and_b32_e32 v4, 0x7fffff, v0
	v_cmpx_ne_u64_e32 0x7f800000, v[2:3]
	s_xor_b32 s25, exec_lo, s7
	s_cbranch_execz .LBB6_9272
; %bb.9255:                             ;   in Loop: Header=BB6_8046 Depth=2
	v_dual_mov_b32 v3, v5 :: v_dual_lshrrev_b32 v1, 24, v0
	v_and_b32_e32 v2, 0x7fffffff, v0
                                        ; implicit-def: $vgpr34
	s_mov_b32 s7, exec_lo
	s_delay_alu instid0(VALU_DEP_2) | instskip(NEXT) | instid1(VALU_DEP_2)
	v_and_b32_e32 v27, 0x80, v1
	v_cmpx_gt_u64_e32 0x47600001, v[2:3]
	s_xor_b32 s26, exec_lo, s7
	s_cbranch_execz .LBB6_9269
; %bb.9256:                             ;   in Loop: Header=BB6_8046 Depth=2
	v_mov_b32_e32 v34, 0
	s_mov_b32 s27, exec_lo
	v_cmpx_ne_u32_e32 0, v0
	s_cbranch_execz .LBB6_9268
; %bb.9257:                             ;   in Loop: Header=BB6_8046 Depth=2
	v_bfe_u32 v29, v0, 23, 8
	v_or_b32_e32 v2, 0x800000, v4
	s_mov_b32 s28, exec_lo
	s_delay_alu instid0(VALU_DEP_2) | instskip(SKIP_1) | instid1(VALU_DEP_2)
	v_dual_mov_b32 v3, v5 :: v_dual_sub_nc_u32 v0, 0x71, v29
	v_cmp_gt_u32_e32 vcc_lo, 0x72, v29
	v_cndmask_b32_e32 v0, 0, v0, vcc_lo
	v_cmp_eq_u32_e32 vcc_lo, 0, v29
	s_delay_alu instid0(VALU_DEP_2) | instskip(NEXT) | instid1(VALU_DEP_1)
	v_cndmask_b32_e64 v33, v0, 0x70, vcc_lo
	v_dual_cndmask_b32 v2, v2, v4, vcc_lo :: v_dual_add_nc_u32 v0, 21, v33
	v_add_nc_u32_e32 v26, 20, v33
	s_delay_alu instid0(VALU_DEP_2) | instskip(NEXT) | instid1(VALU_DEP_2)
	v_lshlrev_b64_e64 v[0:1], v0, -1
	v_lshlrev_b64_e64 v[34:35], v26, 1
	s_delay_alu instid0(VALU_DEP_2) | instskip(NEXT) | instid1(VALU_DEP_3)
	v_bfi_b32 v37, v1, 0, 0
	v_bfi_b32 v36, v0, 0, v2
	v_lshrrev_b64 v[0:1], v33, v[2:3]
	s_delay_alu instid0(VALU_DEP_1) | instskip(NEXT) | instid1(VALU_DEP_3)
	v_mov_b64_e32 v[2:3], v[0:1]
	v_cmpx_eq_u64_e64 v[36:37], v[34:35]
; %bb.9258:                             ;   in Loop: Header=BB6_8046 Depth=2
	v_bfe_u32 v2, v0, 21, 1
	v_mov_b32_e32 v3, v5
	s_delay_alu instid0(VALU_DEP_1) | instskip(NEXT) | instid1(VALU_DEP_1)
	v_add_nc_u64_e32 v[2:3], v[0:1], v[2:3]
	v_add_nc_u64_e32 v[2:3], -1, v[2:3]
; %bb.9259:                             ;   in Loop: Header=BB6_8046 Depth=2
	s_or_b32 exec_lo, exec_lo, s28
	v_add_nc_u32_e32 v1, 0xffffff81, v29
	s_delay_alu instid0(VALU_DEP_2) | instskip(SKIP_2) | instid1(VALU_DEP_3)
	v_and_b32_e32 v2, 0x1fffff, v2
	v_lshrrev_b32_e32 v3, 23, v0
	s_mov_b32 s7, exec_lo
	v_cndmask_b32_e64 v1, v1, 0xffffff82, vcc_lo
	s_delay_alu instid0(VALU_DEP_3) | instskip(NEXT) | instid1(VALU_DEP_2)
	v_add_nc_u32_e32 v4, v2, v0
                                        ; implicit-def: $vgpr2
	v_add3_u32 v3, v33, v1, v3
                                        ; implicit-def: $vgpr0_vgpr1
	s_delay_alu instid0(VALU_DEP_1) | instskip(NEXT) | instid1(VALU_DEP_1)
	v_add_nc_u32_e32 v29, 14, v3
	v_cmpx_ne_u32_e32 0, v29
	s_xor_b32 s7, exec_lo, s7
; %bb.9260:                             ;   in Loop: Header=BB6_8046 Depth=2
	v_cmp_lt_u64_e32 vcc_lo, 0xffffff, v[4:5]
	v_add_nc_u32_e32 v0, 15, v3
	s_delay_alu instid0(VALU_DEP_1) | instskip(SKIP_1) | instid1(VALU_DEP_1)
	v_cndmask_b32_e32 v2, v29, v0, vcc_lo
	v_cndmask_b32_e64 v0, 0, 1, vcc_lo
	v_lshrrev_b64 v[0:1], v0, v[4:5]
; %bb.9261:                             ;   in Loop: Header=BB6_8046 Depth=2
	s_and_not1_saveexec_b32 s7, s7
; %bb.9262:                             ;   in Loop: Header=BB6_8046 Depth=2
	v_mov_b64_e32 v[0:1], v[4:5]
	v_bfe_u32 v2, v4, 23, 1
; %bb.9263:                             ;   in Loop: Header=BB6_8046 Depth=2
	s_or_b32 exec_lo, exec_lo, s7
	s_delay_alu instid0(VALU_DEP_2) | instskip(NEXT) | instid1(VALU_DEP_2)
	v_lshrrev_b64 v[0:1], 21, v[0:1]
	v_cmp_gt_i32_e32 vcc_lo, 32, v2
	v_cmp_ne_u32_e64 s7, 0, v2
                                        ; implicit-def: $vgpr34
	s_delay_alu instid0(VALU_DEP_3) | instskip(NEXT) | instid1(VALU_DEP_1)
	v_dual_cndmask_b32 v1, 0, v1 :: v_dual_cndmask_b32 v0, 3, v0
	v_cmp_ne_u64_e32 vcc_lo, 0, v[0:1]
	s_or_b32 s7, s7, vcc_lo
	s_delay_alu instid0(SALU_CYCLE_1) | instskip(NEXT) | instid1(SALU_CYCLE_1)
	s_and_saveexec_b32 s28, s7
	s_xor_b32 s7, exec_lo, s28
; %bb.9264:                             ;   in Loop: Header=BB6_8046 Depth=2
	v_min_i32_e32 v1, 31, v2
	s_delay_alu instid0(VALU_DEP_1) | instskip(NEXT) | instid1(VALU_DEP_1)
	v_lshl_or_b32 v1, v1, 2, v27
                                        ; implicit-def: $vgpr27
	v_and_or_b32 v34, v0, 3, v1
; %bb.9265:                             ;   in Loop: Header=BB6_8046 Depth=2
	s_and_not1_saveexec_b32 s7, s7
; %bb.9266:                             ;   in Loop: Header=BB6_8046 Depth=2
	v_mov_b32_e32 v34, v27
; %bb.9267:                             ;   in Loop: Header=BB6_8046 Depth=2
	s_or_b32 exec_lo, exec_lo, s7
.LBB6_9268:                             ;   in Loop: Header=BB6_8046 Depth=2
	s_delay_alu instid0(SALU_CYCLE_1)
	s_or_b32 exec_lo, exec_lo, s27
                                        ; implicit-def: $vgpr27
.LBB6_9269:                             ;   in Loop: Header=BB6_8046 Depth=2
	s_and_not1_saveexec_b32 s7, s26
; %bb.9270:                             ;   in Loop: Header=BB6_8046 Depth=2
	v_or_b32_e32 v34, 0x7b, v27
; %bb.9271:                             ;   in Loop: Header=BB6_8046 Depth=2
	s_or_b32 exec_lo, exec_lo, s7
                                        ; implicit-def: $vgpr0
.LBB6_9272:                             ;   in Loop: Header=BB6_8046 Depth=2
	s_and_not1_saveexec_b32 s7, s25
	s_cbranch_execz .LBB6_9278
; %bb.9273:                             ;   in Loop: Header=BB6_8046 Depth=2
	s_mov_b32 s25, exec_lo
                                        ; implicit-def: $vgpr34
	v_cmpx_ne_u64_e32 0, v[4:5]
	s_xor_b32 s25, exec_lo, s25
; %bb.9274:                             ;   in Loop: Header=BB6_8046 Depth=2
	v_lshrrev_b32_e32 v0, 24, v0
	s_delay_alu instid0(VALU_DEP_1)
	v_or_b32_e32 v34, 0x7f, v0
                                        ; implicit-def: $vgpr0
; %bb.9275:                             ;   in Loop: Header=BB6_8046 Depth=2
	s_and_not1_saveexec_b32 s25, s25
; %bb.9276:                             ;   in Loop: Header=BB6_8046 Depth=2
	v_cmp_lt_i32_e32 vcc_lo, -1, v0
	v_cndmask_b32_e64 v34, -4, 0x7c, vcc_lo
; %bb.9277:                             ;   in Loop: Header=BB6_8046 Depth=2
	s_or_b32 exec_lo, exec_lo, s25
.LBB6_9278:                             ;   in Loop: Header=BB6_8046 Depth=2
	s_delay_alu instid0(SALU_CYCLE_1)
	s_or_b32 exec_lo, exec_lo, s7
	v_dual_mov_b32 v0, 0 :: v_dual_mov_b32 v1, 0
	s_mov_b32 s7, exec_lo
	v_cmpx_ne_u16_e32 0, v32
	s_cbranch_execz .LBB6_9288
; %bb.9279:                             ;   in Loop: Header=BB6_8046 Depth=2
	v_bfrev_b32_e32 v1, 1
	s_mov_b32 s25, exec_lo
	v_cmpx_ne_u16_e32 0xff80, v32
	s_cbranch_execz .LBB6_9287
; %bb.9280:                             ;   in Loop: Header=BB6_8046 Depth=2
	v_and_b32_e32 v1, 0x7c, v32
	v_and_b32_e32 v2, 3, v32
	s_delay_alu instid0(VALU_DEP_2) | instskip(SKIP_1) | instid1(SALU_CYCLE_1)
	v_cmp_ne_u32_e32 vcc_lo, 0x7c, v1
                                        ; implicit-def: $vgpr1
	s_and_saveexec_b32 s26, vcc_lo
	s_xor_b32 s26, exec_lo, s26
	s_cbranch_execz .LBB6_9284
; %bb.9281:                             ;   in Loop: Header=BB6_8046 Depth=2
	v_and_b32_e32 v1, 0xff, v32
	s_mov_b32 s27, exec_lo
	s_delay_alu instid0(VALU_DEP_1) | instskip(NEXT) | instid1(VALU_DEP_1)
	v_bfe_u32 v1, v1, 2, 5
	v_cmpx_eq_u32_e32 0, v1
	s_cbranch_execz .LBB6_9283
; %bb.9282:                             ;   in Loop: Header=BB6_8046 Depth=2
	v_clz_i32_u32_e32 v1, v2
	s_delay_alu instid0(VALU_DEP_1) | instskip(SKIP_1) | instid1(VALU_DEP_2)
	v_min_u32_e32 v1, 32, v1
	v_mov_b32_e32 v33, v5
	v_subrev_nc_u32_e32 v2, 29, v1
	v_sub_nc_u32_e32 v1, 30, v1
	s_delay_alu instid0(VALU_DEP_2) | instskip(NEXT) | instid1(VALU_DEP_1)
	v_lshlrev_b64_e32 v[2:3], v2, v[32:33]
	v_and_b32_e32 v2, 3, v2
.LBB6_9283:                             ;   in Loop: Header=BB6_8046 Depth=2
	s_or_b32 exec_lo, exec_lo, s27
	v_bfe_i32 v3, v32, 0, 16
                                        ; implicit-def: $vgpr32
	s_delay_alu instid0(VALU_DEP_1) | instskip(NEXT) | instid1(VALU_DEP_1)
	v_and_b32_e32 v3, 0x80000000, v3
	v_lshl_add_u32 v1, v1, 23, v3
	s_delay_alu instid0(VALU_DEP_1) | instskip(NEXT) | instid1(VALU_DEP_1)
	v_lshl_or_b32 v1, v2, 21, v1
                                        ; implicit-def: $vgpr2
	v_add_nc_u32_e32 v1, 0x38000000, v1
.LBB6_9284:                             ;   in Loop: Header=BB6_8046 Depth=2
	s_and_not1_saveexec_b32 s26, s26
; %bb.9285:                             ;   in Loop: Header=BB6_8046 Depth=2
	v_cmp_lt_i16_e32 vcc_lo, -1, v32
	v_cndmask_b32_e32 v1, 0xff800000, v105, vcc_lo
	v_cmp_eq_u32_e32 vcc_lo, 0, v2
	s_delay_alu instid0(VALU_DEP_2)
	v_cndmask_b32_e32 v1, 0x7f800001, v1, vcc_lo
; %bb.9286:                             ;   in Loop: Header=BB6_8046 Depth=2
	s_or_b32 exec_lo, exec_lo, s26
.LBB6_9287:                             ;   in Loop: Header=BB6_8046 Depth=2
	s_delay_alu instid0(SALU_CYCLE_1)
	s_or_b32 exec_lo, exec_lo, s25
.LBB6_9288:                             ;   in Loop: Header=BB6_8046 Depth=2
	s_delay_alu instid0(SALU_CYCLE_1) | instskip(NEXT) | instid1(SALU_CYCLE_1)
	s_or_b32 exec_lo, exec_lo, s7
	s_mov_b32 s7, exec_lo
	v_cmpx_ne_u16_e32 0, v28
	s_cbranch_execz .LBB6_9298
; %bb.9289:                             ;   in Loop: Header=BB6_8046 Depth=2
	v_bfrev_b32_e32 v0, 1
	s_mov_b32 s25, exec_lo
	v_cmpx_ne_u16_e32 0xff80, v28
	s_cbranch_execz .LBB6_9297
; %bb.9290:                             ;   in Loop: Header=BB6_8046 Depth=2
	v_and_b32_e32 v0, 0x7c, v28
	v_and_b32_e32 v2, 3, v28
	s_delay_alu instid0(VALU_DEP_2) | instskip(SKIP_1) | instid1(SALU_CYCLE_1)
	v_cmp_ne_u32_e32 vcc_lo, 0x7c, v0
                                        ; implicit-def: $vgpr0
	s_and_saveexec_b32 s26, vcc_lo
	s_xor_b32 s26, exec_lo, s26
	s_cbranch_execz .LBB6_9294
; %bb.9291:                             ;   in Loop: Header=BB6_8046 Depth=2
	v_and_b32_e32 v0, 0xff, v28
	s_mov_b32 s27, exec_lo
	s_delay_alu instid0(VALU_DEP_1) | instskip(NEXT) | instid1(VALU_DEP_1)
	v_bfe_u32 v0, v0, 2, 5
	v_cmpx_eq_u32_e32 0, v0
	s_cbranch_execz .LBB6_9293
; %bb.9292:                             ;   in Loop: Header=BB6_8046 Depth=2
	v_clz_i32_u32_e32 v0, v2
	s_delay_alu instid0(VALU_DEP_1) | instskip(SKIP_1) | instid1(VALU_DEP_2)
	v_min_u32_e32 v0, 32, v0
	v_mov_b32_e32 v29, v5
	v_subrev_nc_u32_e32 v2, 29, v0
	v_sub_nc_u32_e32 v0, 30, v0
	s_delay_alu instid0(VALU_DEP_2) | instskip(NEXT) | instid1(VALU_DEP_1)
	v_lshlrev_b64_e32 v[2:3], v2, v[28:29]
	v_and_b32_e32 v2, 3, v2
.LBB6_9293:                             ;   in Loop: Header=BB6_8046 Depth=2
	s_or_b32 exec_lo, exec_lo, s27
	v_bfe_i32 v3, v28, 0, 16
                                        ; implicit-def: $vgpr28
	s_delay_alu instid0(VALU_DEP_1) | instskip(NEXT) | instid1(VALU_DEP_1)
	v_and_b32_e32 v3, 0x80000000, v3
	v_lshl_add_u32 v0, v0, 23, v3
	s_delay_alu instid0(VALU_DEP_1) | instskip(NEXT) | instid1(VALU_DEP_1)
	v_lshl_or_b32 v0, v2, 21, v0
                                        ; implicit-def: $vgpr2
	v_add_nc_u32_e32 v0, 0x38000000, v0
.LBB6_9294:                             ;   in Loop: Header=BB6_8046 Depth=2
	s_and_not1_saveexec_b32 s26, s26
; %bb.9295:                             ;   in Loop: Header=BB6_8046 Depth=2
	v_cmp_lt_i16_e32 vcc_lo, -1, v28
	v_cndmask_b32_e32 v0, 0xff800000, v105, vcc_lo
	v_cmp_eq_u32_e32 vcc_lo, 0, v2
	s_delay_alu instid0(VALU_DEP_2)
	v_cndmask_b32_e32 v0, 0x7f800001, v0, vcc_lo
; %bb.9296:                             ;   in Loop: Header=BB6_8046 Depth=2
	s_or_b32 exec_lo, exec_lo, s26
.LBB6_9297:                             ;   in Loop: Header=BB6_8046 Depth=2
	s_delay_alu instid0(SALU_CYCLE_1)
	s_or_b32 exec_lo, exec_lo, s25
.LBB6_9298:                             ;   in Loop: Header=BB6_8046 Depth=2
	s_delay_alu instid0(SALU_CYCLE_1) | instskip(NEXT) | instid1(VALU_DEP_1)
	s_or_b32 exec_lo, exec_lo, s7
	v_mul_f32_e32 v0, v1, v0
	v_mov_b32_e32 v3, v5
                                        ; implicit-def: $vgpr28
	s_mov_b32 s7, exec_lo
	s_delay_alu instid0(VALU_DEP_2) | instskip(SKIP_1) | instid1(VALU_DEP_2)
	v_and_b32_e32 v2, 0x7f800000, v0
	v_and_b32_e32 v4, 0x7fffff, v0
	v_cmpx_ne_u64_e32 0x7f800000, v[2:3]
	s_xor_b32 s25, exec_lo, s7
	s_cbranch_execz .LBB6_9316
; %bb.9299:                             ;   in Loop: Header=BB6_8046 Depth=2
	v_dual_mov_b32 v3, v5 :: v_dual_lshrrev_b32 v1, 24, v0
	v_and_b32_e32 v2, 0x7fffffff, v0
                                        ; implicit-def: $vgpr28
	s_mov_b32 s7, exec_lo
	s_delay_alu instid0(VALU_DEP_2) | instskip(NEXT) | instid1(VALU_DEP_2)
	v_and_b32_e32 v27, 0x80, v1
	v_cmpx_gt_u64_e32 0x47600001, v[2:3]
	s_xor_b32 s26, exec_lo, s7
	s_cbranch_execz .LBB6_9313
; %bb.9300:                             ;   in Loop: Header=BB6_8046 Depth=2
	v_mov_b32_e32 v28, 0
	s_mov_b32 s27, exec_lo
	v_cmpx_ne_u32_e32 0, v0
	s_cbranch_execz .LBB6_9312
; %bb.9301:                             ;   in Loop: Header=BB6_8046 Depth=2
	v_bfe_u32 v28, v0, 23, 8
	v_or_b32_e32 v2, 0x800000, v4
	s_mov_b32 s28, exec_lo
	s_delay_alu instid0(VALU_DEP_2) | instskip(SKIP_1) | instid1(VALU_DEP_2)
	v_dual_mov_b32 v3, v5 :: v_dual_sub_nc_u32 v0, 0x71, v28
	v_cmp_gt_u32_e32 vcc_lo, 0x72, v28
	v_cndmask_b32_e32 v0, 0, v0, vcc_lo
	v_cmp_eq_u32_e32 vcc_lo, 0, v28
	s_delay_alu instid0(VALU_DEP_2) | instskip(NEXT) | instid1(VALU_DEP_1)
	v_cndmask_b32_e64 v29, v0, 0x70, vcc_lo
	v_dual_cndmask_b32 v2, v2, v4, vcc_lo :: v_dual_add_nc_u32 v0, 21, v29
	v_add_nc_u32_e32 v26, 20, v29
	s_delay_alu instid0(VALU_DEP_2) | instskip(NEXT) | instid1(VALU_DEP_2)
	v_lshlrev_b64_e64 v[0:1], v0, -1
	v_lshlrev_b64_e64 v[32:33], v26, 1
	s_delay_alu instid0(VALU_DEP_2) | instskip(NEXT) | instid1(VALU_DEP_3)
	v_bfi_b32 v37, v1, 0, 0
	v_bfi_b32 v36, v0, 0, v2
	v_lshrrev_b64 v[0:1], v29, v[2:3]
	s_delay_alu instid0(VALU_DEP_1) | instskip(NEXT) | instid1(VALU_DEP_3)
	v_mov_b64_e32 v[2:3], v[0:1]
	v_cmpx_eq_u64_e64 v[36:37], v[32:33]
; %bb.9302:                             ;   in Loop: Header=BB6_8046 Depth=2
	v_bfe_u32 v2, v0, 21, 1
	v_mov_b32_e32 v3, v5
	s_delay_alu instid0(VALU_DEP_1) | instskip(NEXT) | instid1(VALU_DEP_1)
	v_add_nc_u64_e32 v[2:3], v[0:1], v[2:3]
	v_add_nc_u64_e32 v[2:3], -1, v[2:3]
; %bb.9303:                             ;   in Loop: Header=BB6_8046 Depth=2
	s_or_b32 exec_lo, exec_lo, s28
	v_add_nc_u32_e32 v1, 0xffffff81, v28
	s_delay_alu instid0(VALU_DEP_2) | instskip(SKIP_2) | instid1(VALU_DEP_3)
	v_and_b32_e32 v2, 0x1fffff, v2
	v_lshrrev_b32_e32 v3, 23, v0
	s_mov_b32 s7, exec_lo
	v_cndmask_b32_e64 v1, v1, 0xffffff82, vcc_lo
	s_delay_alu instid0(VALU_DEP_3) | instskip(NEXT) | instid1(VALU_DEP_2)
	v_add_nc_u32_e32 v4, v2, v0
                                        ; implicit-def: $vgpr2
	v_add3_u32 v3, v29, v1, v3
                                        ; implicit-def: $vgpr0_vgpr1
	s_delay_alu instid0(VALU_DEP_1) | instskip(NEXT) | instid1(VALU_DEP_1)
	v_add_nc_u32_e32 v28, 14, v3
	v_cmpx_ne_u32_e32 0, v28
	s_xor_b32 s7, exec_lo, s7
; %bb.9304:                             ;   in Loop: Header=BB6_8046 Depth=2
	v_cmp_lt_u64_e32 vcc_lo, 0xffffff, v[4:5]
	v_add_nc_u32_e32 v0, 15, v3
	s_delay_alu instid0(VALU_DEP_1) | instskip(SKIP_1) | instid1(VALU_DEP_1)
	v_cndmask_b32_e32 v2, v28, v0, vcc_lo
	v_cndmask_b32_e64 v0, 0, 1, vcc_lo
	v_lshrrev_b64 v[0:1], v0, v[4:5]
; %bb.9305:                             ;   in Loop: Header=BB6_8046 Depth=2
	s_and_not1_saveexec_b32 s7, s7
; %bb.9306:                             ;   in Loop: Header=BB6_8046 Depth=2
	v_mov_b64_e32 v[0:1], v[4:5]
	v_bfe_u32 v2, v4, 23, 1
; %bb.9307:                             ;   in Loop: Header=BB6_8046 Depth=2
	s_or_b32 exec_lo, exec_lo, s7
	s_delay_alu instid0(VALU_DEP_2) | instskip(NEXT) | instid1(VALU_DEP_2)
	v_lshrrev_b64 v[0:1], 21, v[0:1]
	v_cmp_gt_i32_e32 vcc_lo, 32, v2
	v_cmp_ne_u32_e64 s7, 0, v2
                                        ; implicit-def: $vgpr28
	s_delay_alu instid0(VALU_DEP_3) | instskip(NEXT) | instid1(VALU_DEP_1)
	v_dual_cndmask_b32 v1, 0, v1 :: v_dual_cndmask_b32 v0, 3, v0
	v_cmp_ne_u64_e32 vcc_lo, 0, v[0:1]
	s_or_b32 s7, s7, vcc_lo
	s_delay_alu instid0(SALU_CYCLE_1) | instskip(NEXT) | instid1(SALU_CYCLE_1)
	s_and_saveexec_b32 s28, s7
	s_xor_b32 s7, exec_lo, s28
; %bb.9308:                             ;   in Loop: Header=BB6_8046 Depth=2
	v_min_i32_e32 v1, 31, v2
	s_delay_alu instid0(VALU_DEP_1) | instskip(NEXT) | instid1(VALU_DEP_1)
	v_lshl_or_b32 v1, v1, 2, v27
                                        ; implicit-def: $vgpr27
	v_and_or_b32 v28, v0, 3, v1
; %bb.9309:                             ;   in Loop: Header=BB6_8046 Depth=2
	s_and_not1_saveexec_b32 s7, s7
; %bb.9310:                             ;   in Loop: Header=BB6_8046 Depth=2
	v_mov_b32_e32 v28, v27
; %bb.9311:                             ;   in Loop: Header=BB6_8046 Depth=2
	s_or_b32 exec_lo, exec_lo, s7
.LBB6_9312:                             ;   in Loop: Header=BB6_8046 Depth=2
	s_delay_alu instid0(SALU_CYCLE_1)
	s_or_b32 exec_lo, exec_lo, s27
                                        ; implicit-def: $vgpr27
.LBB6_9313:                             ;   in Loop: Header=BB6_8046 Depth=2
	s_and_not1_saveexec_b32 s7, s26
; %bb.9314:                             ;   in Loop: Header=BB6_8046 Depth=2
	v_or_b32_e32 v28, 0x7b, v27
; %bb.9315:                             ;   in Loop: Header=BB6_8046 Depth=2
	s_or_b32 exec_lo, exec_lo, s7
                                        ; implicit-def: $vgpr0
.LBB6_9316:                             ;   in Loop: Header=BB6_8046 Depth=2
	s_and_not1_saveexec_b32 s7, s25
	s_cbranch_execz .LBB6_9322
; %bb.9317:                             ;   in Loop: Header=BB6_8046 Depth=2
	s_mov_b32 s25, exec_lo
                                        ; implicit-def: $vgpr28
	v_cmpx_ne_u64_e32 0, v[4:5]
	s_xor_b32 s25, exec_lo, s25
; %bb.9318:                             ;   in Loop: Header=BB6_8046 Depth=2
	v_lshrrev_b32_e32 v0, 24, v0
	s_delay_alu instid0(VALU_DEP_1)
	v_or_b32_e32 v28, 0x7f, v0
                                        ; implicit-def: $vgpr0
; %bb.9319:                             ;   in Loop: Header=BB6_8046 Depth=2
	s_and_not1_saveexec_b32 s25, s25
; %bb.9320:                             ;   in Loop: Header=BB6_8046 Depth=2
	v_cmp_lt_i32_e32 vcc_lo, -1, v0
	v_cndmask_b32_e64 v28, -4, 0x7c, vcc_lo
; %bb.9321:                             ;   in Loop: Header=BB6_8046 Depth=2
	s_or_b32 exec_lo, exec_lo, s25
.LBB6_9322:                             ;   in Loop: Header=BB6_8046 Depth=2
	s_delay_alu instid0(SALU_CYCLE_1)
	s_or_b32 exec_lo, exec_lo, s7
	scratch_load_b64 v[2:3], off, s33 offset:228 ; 8-byte Folded Reload
	v_dual_mov_b32 v0, 0 :: v_dual_mov_b32 v1, 0
	s_mov_b32 s7, exec_lo
	s_wait_loadcnt 0x0
	s_wait_xcnt 0x0
	v_cmpx_ne_u16_e32 0, v2
	s_cbranch_execz .LBB6_9332
; %bb.9323:                             ;   in Loop: Header=BB6_8046 Depth=2
	v_bfrev_b32_e32 v1, 1
	s_mov_b32 s25, exec_lo
	v_cmpx_ne_u16_e32 0xff80, v2
	s_cbranch_execz .LBB6_9331
; %bb.9324:                             ;   in Loop: Header=BB6_8046 Depth=2
	v_and_b32_e32 v1, 0x7c, v2
	v_and_b32_e32 v2, 3, v2
	s_delay_alu instid0(VALU_DEP_2) | instskip(SKIP_1) | instid1(SALU_CYCLE_1)
	v_cmp_ne_u32_e32 vcc_lo, 0x7c, v1
                                        ; implicit-def: $vgpr1
	s_and_saveexec_b32 s26, vcc_lo
	s_xor_b32 s26, exec_lo, s26
	s_cbranch_execz .LBB6_9328
; %bb.9325:                             ;   in Loop: Header=BB6_8046 Depth=2
	scratch_load_b64 v[26:27], off, s33 offset:228 ; 8-byte Folded Reload
	s_mov_b32 s27, exec_lo
	s_wait_loadcnt 0x0
	v_and_b32_e32 v1, 0xff, v26
	s_delay_alu instid0(VALU_DEP_1) | instskip(SKIP_1) | instid1(VALU_DEP_1)
	v_bfe_u32 v1, v1, 2, 5
	s_wait_xcnt 0x0
	v_cmpx_eq_u32_e32 0, v1
	s_cbranch_execz .LBB6_9327
; %bb.9326:                             ;   in Loop: Header=BB6_8046 Depth=2
	v_clz_i32_u32_e32 v1, v2
	s_delay_alu instid0(VALU_DEP_1) | instskip(SKIP_1) | instid1(VALU_DEP_2)
	v_min_u32_e32 v1, 32, v1
	v_mov_b32_e32 v27, v5
	v_subrev_nc_u32_e32 v2, 29, v1
	v_sub_nc_u32_e32 v1, 30, v1
	s_delay_alu instid0(VALU_DEP_2) | instskip(NEXT) | instid1(VALU_DEP_1)
	v_lshlrev_b64_e32 v[2:3], v2, v[26:27]
	v_and_b32_e32 v2, 3, v2
.LBB6_9327:                             ;   in Loop: Header=BB6_8046 Depth=2
	s_or_b32 exec_lo, exec_lo, s27
	v_bfe_i32 v3, v26, 0, 16
                                        ; implicit-def: $vgpr4
	scratch_store_b64 off, v[4:5], s33 offset:228 ; 8-byte Folded Spill
	v_and_b32_e32 v3, 0x80000000, v3
	s_delay_alu instid0(VALU_DEP_1) | instskip(NEXT) | instid1(VALU_DEP_1)
	v_lshl_add_u32 v1, v1, 23, v3
	v_lshl_or_b32 v1, v2, 21, v1
                                        ; implicit-def: $vgpr2
	s_delay_alu instid0(VALU_DEP_1)
	v_add_nc_u32_e32 v1, 0x38000000, v1
.LBB6_9328:                             ;   in Loop: Header=BB6_8046 Depth=2
	s_wait_xcnt 0x0
	s_and_not1_saveexec_b32 s26, s26
	s_cbranch_execz .LBB6_9330
; %bb.9329:                             ;   in Loop: Header=BB6_8046 Depth=2
	scratch_load_b64 v[26:27], off, s33 offset:228 th:TH_LOAD_LU ; 8-byte Folded Reload
	s_wait_loadcnt 0x0
	v_cmp_lt_i16_e32 vcc_lo, -1, v26
	v_cndmask_b32_e32 v1, 0xff800000, v105, vcc_lo
	v_cmp_eq_u32_e32 vcc_lo, 0, v2
	s_delay_alu instid0(VALU_DEP_2)
	v_cndmask_b32_e32 v1, 0x7f800001, v1, vcc_lo
.LBB6_9330:                             ;   in Loop: Header=BB6_8046 Depth=2
	s_wait_xcnt 0x0
	s_or_b32 exec_lo, exec_lo, s26
.LBB6_9331:                             ;   in Loop: Header=BB6_8046 Depth=2
	s_delay_alu instid0(SALU_CYCLE_1)
	s_or_b32 exec_lo, exec_lo, s25
.LBB6_9332:                             ;   in Loop: Header=BB6_8046 Depth=2
	s_delay_alu instid0(SALU_CYCLE_1)
	s_or_b32 exec_lo, exec_lo, s7
	scratch_load_b64 v[2:3], off, s33 offset:220 ; 8-byte Folded Reload
	s_mov_b32 s7, exec_lo
	s_wait_loadcnt 0x0
	s_wait_xcnt 0x0
	v_cmpx_ne_u16_e32 0, v2
	s_cbranch_execz .LBB6_9342
; %bb.9333:                             ;   in Loop: Header=BB6_8046 Depth=2
	v_bfrev_b32_e32 v0, 1
	s_mov_b32 s25, exec_lo
	v_cmpx_ne_u16_e32 0xff80, v2
	s_cbranch_execz .LBB6_9341
; %bb.9334:                             ;   in Loop: Header=BB6_8046 Depth=2
	v_and_b32_e32 v0, 0x7c, v2
	v_and_b32_e32 v2, 3, v2
	s_delay_alu instid0(VALU_DEP_2) | instskip(SKIP_1) | instid1(SALU_CYCLE_1)
	v_cmp_ne_u32_e32 vcc_lo, 0x7c, v0
                                        ; implicit-def: $vgpr0
	s_and_saveexec_b32 s26, vcc_lo
	s_xor_b32 s26, exec_lo, s26
	s_cbranch_execz .LBB6_9338
; %bb.9335:                             ;   in Loop: Header=BB6_8046 Depth=2
	scratch_load_b64 v[26:27], off, s33 offset:220 ; 8-byte Folded Reload
	s_mov_b32 s27, exec_lo
	s_wait_loadcnt 0x0
	v_and_b32_e32 v0, 0xff, v26
	s_delay_alu instid0(VALU_DEP_1) | instskip(SKIP_1) | instid1(VALU_DEP_1)
	v_bfe_u32 v0, v0, 2, 5
	s_wait_xcnt 0x0
	v_cmpx_eq_u32_e32 0, v0
	s_cbranch_execz .LBB6_9337
; %bb.9336:                             ;   in Loop: Header=BB6_8046 Depth=2
	v_clz_i32_u32_e32 v0, v2
	s_delay_alu instid0(VALU_DEP_1) | instskip(SKIP_1) | instid1(VALU_DEP_2)
	v_min_u32_e32 v0, 32, v0
	v_mov_b32_e32 v27, v5
	v_subrev_nc_u32_e32 v2, 29, v0
	v_sub_nc_u32_e32 v0, 30, v0
	s_delay_alu instid0(VALU_DEP_2) | instskip(NEXT) | instid1(VALU_DEP_1)
	v_lshlrev_b64_e32 v[2:3], v2, v[26:27]
	v_and_b32_e32 v2, 3, v2
.LBB6_9337:                             ;   in Loop: Header=BB6_8046 Depth=2
	s_or_b32 exec_lo, exec_lo, s27
	v_bfe_i32 v3, v26, 0, 16
                                        ; implicit-def: $vgpr4
	scratch_store_b64 off, v[4:5], s33 offset:220 ; 8-byte Folded Spill
	v_and_b32_e32 v3, 0x80000000, v3
	s_delay_alu instid0(VALU_DEP_1) | instskip(NEXT) | instid1(VALU_DEP_1)
	v_lshl_add_u32 v0, v0, 23, v3
	v_lshl_or_b32 v0, v2, 21, v0
                                        ; implicit-def: $vgpr2
	s_delay_alu instid0(VALU_DEP_1)
	v_add_nc_u32_e32 v0, 0x38000000, v0
.LBB6_9338:                             ;   in Loop: Header=BB6_8046 Depth=2
	s_wait_xcnt 0x0
	s_and_not1_saveexec_b32 s26, s26
	s_cbranch_execz .LBB6_9340
; %bb.9339:                             ;   in Loop: Header=BB6_8046 Depth=2
	scratch_load_b64 v[26:27], off, s33 offset:220 th:TH_LOAD_LU ; 8-byte Folded Reload
	s_wait_loadcnt 0x0
	v_cmp_lt_i16_e32 vcc_lo, -1, v26
	v_cndmask_b32_e32 v0, 0xff800000, v105, vcc_lo
	v_cmp_eq_u32_e32 vcc_lo, 0, v2
	s_delay_alu instid0(VALU_DEP_2)
	v_cndmask_b32_e32 v0, 0x7f800001, v0, vcc_lo
.LBB6_9340:                             ;   in Loop: Header=BB6_8046 Depth=2
	s_wait_xcnt 0x0
	s_or_b32 exec_lo, exec_lo, s26
.LBB6_9341:                             ;   in Loop: Header=BB6_8046 Depth=2
	s_delay_alu instid0(SALU_CYCLE_1)
	s_or_b32 exec_lo, exec_lo, s25
.LBB6_9342:                             ;   in Loop: Header=BB6_8046 Depth=2
	s_delay_alu instid0(SALU_CYCLE_1) | instskip(SKIP_3) | instid1(VALU_DEP_2)
	s_or_b32 exec_lo, exec_lo, s7
	v_mul_f32_e32 v0, v1, v0
	v_mov_b32_e32 v3, v5
                                        ; implicit-def: $vgpr26
	s_mov_b32 s7, exec_lo
	v_and_b32_e32 v2, 0x7f800000, v0
	v_and_b32_e32 v4, 0x7fffff, v0
	s_delay_alu instid0(VALU_DEP_2)
	v_cmpx_ne_u64_e32 0x7f800000, v[2:3]
	s_xor_b32 s25, exec_lo, s7
	s_cbranch_execz .LBB6_9360
; %bb.9343:                             ;   in Loop: Header=BB6_8046 Depth=2
	v_dual_mov_b32 v3, v5 :: v_dual_lshrrev_b32 v1, 24, v0
	v_and_b32_e32 v2, 0x7fffffff, v0
                                        ; implicit-def: $vgpr26
	s_mov_b32 s7, exec_lo
	s_delay_alu instid0(VALU_DEP_2) | instskip(NEXT) | instid1(VALU_DEP_2)
	v_and_b32_e32 v27, 0x80, v1
	v_cmpx_gt_u64_e32 0x47600001, v[2:3]
	s_xor_b32 s26, exec_lo, s7
	s_cbranch_execz .LBB6_9357
; %bb.9344:                             ;   in Loop: Header=BB6_8046 Depth=2
	v_mov_b32_e32 v26, 0
	s_mov_b32 s27, exec_lo
	v_cmpx_ne_u32_e32 0, v0
	s_cbranch_execz .LBB6_9356
; %bb.9345:                             ;   in Loop: Header=BB6_8046 Depth=2
	v_bfe_u32 v26, v0, 23, 8
	v_or_b32_e32 v2, 0x800000, v4
	s_mov_b32 s28, exec_lo
	s_delay_alu instid0(VALU_DEP_2) | instskip(SKIP_1) | instid1(VALU_DEP_2)
	v_dual_mov_b32 v3, v5 :: v_dual_sub_nc_u32 v0, 0x71, v26
	v_cmp_gt_u32_e32 vcc_lo, 0x72, v26
	v_cndmask_b32_e32 v0, 0, v0, vcc_lo
	v_cmp_eq_u32_e32 vcc_lo, 0, v26
	s_delay_alu instid0(VALU_DEP_2) | instskip(NEXT) | instid1(VALU_DEP_1)
	v_cndmask_b32_e64 v29, v0, 0x70, vcc_lo
	v_dual_cndmask_b32 v2, v2, v4, vcc_lo :: v_dual_add_nc_u32 v0, 21, v29
	v_add_nc_u32_e32 v32, 20, v29
	s_delay_alu instid0(VALU_DEP_2) | instskip(NEXT) | instid1(VALU_DEP_2)
	v_lshlrev_b64_e64 v[0:1], v0, -1
	v_lshlrev_b64_e64 v[32:33], v32, 1
	s_delay_alu instid0(VALU_DEP_2) | instskip(NEXT) | instid1(VALU_DEP_3)
	v_bfi_b32 v37, v1, 0, 0
	v_bfi_b32 v36, v0, 0, v2
	v_lshrrev_b64 v[0:1], v29, v[2:3]
	s_delay_alu instid0(VALU_DEP_1) | instskip(NEXT) | instid1(VALU_DEP_3)
	v_mov_b64_e32 v[2:3], v[0:1]
	v_cmpx_eq_u64_e64 v[36:37], v[32:33]
; %bb.9346:                             ;   in Loop: Header=BB6_8046 Depth=2
	v_bfe_u32 v2, v0, 21, 1
	v_mov_b32_e32 v3, v5
	s_delay_alu instid0(VALU_DEP_1) | instskip(NEXT) | instid1(VALU_DEP_1)
	v_add_nc_u64_e32 v[2:3], v[0:1], v[2:3]
	v_add_nc_u64_e32 v[2:3], -1, v[2:3]
; %bb.9347:                             ;   in Loop: Header=BB6_8046 Depth=2
	s_or_b32 exec_lo, exec_lo, s28
	v_add_nc_u32_e32 v1, 0xffffff81, v26
	s_delay_alu instid0(VALU_DEP_2) | instskip(SKIP_2) | instid1(VALU_DEP_3)
	v_and_b32_e32 v2, 0x1fffff, v2
	v_lshrrev_b32_e32 v3, 23, v0
	s_mov_b32 s7, exec_lo
	v_cndmask_b32_e64 v1, v1, 0xffffff82, vcc_lo
	s_delay_alu instid0(VALU_DEP_3) | instskip(NEXT) | instid1(VALU_DEP_2)
	v_add_nc_u32_e32 v4, v2, v0
                                        ; implicit-def: $vgpr2
	v_add3_u32 v3, v29, v1, v3
                                        ; implicit-def: $vgpr0_vgpr1
	s_delay_alu instid0(VALU_DEP_1) | instskip(NEXT) | instid1(VALU_DEP_1)
	v_add_nc_u32_e32 v26, 14, v3
	v_cmpx_ne_u32_e32 0, v26
	s_xor_b32 s7, exec_lo, s7
; %bb.9348:                             ;   in Loop: Header=BB6_8046 Depth=2
	v_cmp_lt_u64_e32 vcc_lo, 0xffffff, v[4:5]
	v_add_nc_u32_e32 v0, 15, v3
	s_delay_alu instid0(VALU_DEP_1) | instskip(SKIP_1) | instid1(VALU_DEP_1)
	v_cndmask_b32_e32 v2, v26, v0, vcc_lo
	v_cndmask_b32_e64 v0, 0, 1, vcc_lo
	v_lshrrev_b64 v[0:1], v0, v[4:5]
; %bb.9349:                             ;   in Loop: Header=BB6_8046 Depth=2
	s_and_not1_saveexec_b32 s7, s7
; %bb.9350:                             ;   in Loop: Header=BB6_8046 Depth=2
	v_mov_b64_e32 v[0:1], v[4:5]
	v_bfe_u32 v2, v4, 23, 1
; %bb.9351:                             ;   in Loop: Header=BB6_8046 Depth=2
	s_or_b32 exec_lo, exec_lo, s7
	s_delay_alu instid0(VALU_DEP_2) | instskip(NEXT) | instid1(VALU_DEP_2)
	v_lshrrev_b64 v[0:1], 21, v[0:1]
	v_cmp_gt_i32_e32 vcc_lo, 32, v2
	v_cmp_ne_u32_e64 s7, 0, v2
                                        ; implicit-def: $vgpr26
	s_delay_alu instid0(VALU_DEP_3) | instskip(NEXT) | instid1(VALU_DEP_1)
	v_dual_cndmask_b32 v1, 0, v1 :: v_dual_cndmask_b32 v0, 3, v0
	v_cmp_ne_u64_e32 vcc_lo, 0, v[0:1]
	s_or_b32 s7, s7, vcc_lo
	s_delay_alu instid0(SALU_CYCLE_1) | instskip(NEXT) | instid1(SALU_CYCLE_1)
	s_and_saveexec_b32 s28, s7
	s_xor_b32 s7, exec_lo, s28
; %bb.9352:                             ;   in Loop: Header=BB6_8046 Depth=2
	v_min_i32_e32 v1, 31, v2
	s_delay_alu instid0(VALU_DEP_1) | instskip(NEXT) | instid1(VALU_DEP_1)
	v_lshl_or_b32 v1, v1, 2, v27
                                        ; implicit-def: $vgpr27
	v_and_or_b32 v26, v0, 3, v1
; %bb.9353:                             ;   in Loop: Header=BB6_8046 Depth=2
	s_and_not1_saveexec_b32 s7, s7
; %bb.9354:                             ;   in Loop: Header=BB6_8046 Depth=2
	v_mov_b32_e32 v26, v27
; %bb.9355:                             ;   in Loop: Header=BB6_8046 Depth=2
	s_or_b32 exec_lo, exec_lo, s7
.LBB6_9356:                             ;   in Loop: Header=BB6_8046 Depth=2
	s_delay_alu instid0(SALU_CYCLE_1)
	s_or_b32 exec_lo, exec_lo, s27
                                        ; implicit-def: $vgpr27
.LBB6_9357:                             ;   in Loop: Header=BB6_8046 Depth=2
	s_and_not1_saveexec_b32 s7, s26
; %bb.9358:                             ;   in Loop: Header=BB6_8046 Depth=2
	v_or_b32_e32 v26, 0x7b, v27
; %bb.9359:                             ;   in Loop: Header=BB6_8046 Depth=2
	s_or_b32 exec_lo, exec_lo, s7
                                        ; implicit-def: $vgpr0
.LBB6_9360:                             ;   in Loop: Header=BB6_8046 Depth=2
	s_and_not1_saveexec_b32 s7, s25
	s_cbranch_execz .LBB6_9366
; %bb.9361:                             ;   in Loop: Header=BB6_8046 Depth=2
	s_mov_b32 s25, exec_lo
                                        ; implicit-def: $vgpr26
	v_cmpx_ne_u64_e32 0, v[4:5]
	s_xor_b32 s25, exec_lo, s25
; %bb.9362:                             ;   in Loop: Header=BB6_8046 Depth=2
	v_lshrrev_b32_e32 v0, 24, v0
	s_delay_alu instid0(VALU_DEP_1)
	v_or_b32_e32 v26, 0x7f, v0
                                        ; implicit-def: $vgpr0
; %bb.9363:                             ;   in Loop: Header=BB6_8046 Depth=2
	s_and_not1_saveexec_b32 s25, s25
; %bb.9364:                             ;   in Loop: Header=BB6_8046 Depth=2
	v_cmp_lt_i32_e32 vcc_lo, -1, v0
	v_cndmask_b32_e64 v26, -4, 0x7c, vcc_lo
; %bb.9365:                             ;   in Loop: Header=BB6_8046 Depth=2
	s_or_b32 exec_lo, exec_lo, s25
.LBB6_9366:                             ;   in Loop: Header=BB6_8046 Depth=2
	s_delay_alu instid0(SALU_CYCLE_1)
	s_or_b32 exec_lo, exec_lo, s7
	scratch_load_b64 v[2:3], off, s33 offset:212 ; 8-byte Folded Reload
	v_dual_mov_b32 v0, 0 :: v_dual_mov_b32 v1, 0
	s_mov_b32 s7, exec_lo
	s_wait_loadcnt 0x0
	s_wait_xcnt 0x0
	v_cmpx_ne_u16_e32 0, v2
	s_cbranch_execz .LBB6_9376
; %bb.9367:                             ;   in Loop: Header=BB6_8046 Depth=2
	v_bfrev_b32_e32 v1, 1
	s_mov_b32 s25, exec_lo
	v_cmpx_ne_u16_e32 0xff80, v2
	s_cbranch_execz .LBB6_9375
; %bb.9368:                             ;   in Loop: Header=BB6_8046 Depth=2
	v_and_b32_e32 v1, 0x7c, v2
	v_and_b32_e32 v2, 3, v2
	s_delay_alu instid0(VALU_DEP_2) | instskip(SKIP_1) | instid1(SALU_CYCLE_1)
	v_cmp_ne_u32_e32 vcc_lo, 0x7c, v1
                                        ; implicit-def: $vgpr1
	s_and_saveexec_b32 s26, vcc_lo
	s_xor_b32 s26, exec_lo, s26
	s_cbranch_execz .LBB6_9372
; %bb.9369:                             ;   in Loop: Header=BB6_8046 Depth=2
	scratch_load_b64 v[32:33], off, s33 offset:212 ; 8-byte Folded Reload
	s_mov_b32 s27, exec_lo
	s_wait_loadcnt 0x0
	v_and_b32_e32 v1, 0xff, v32
	s_delay_alu instid0(VALU_DEP_1) | instskip(SKIP_1) | instid1(VALU_DEP_1)
	v_bfe_u32 v1, v1, 2, 5
	s_wait_xcnt 0x0
	v_cmpx_eq_u32_e32 0, v1
	s_cbranch_execz .LBB6_9371
; %bb.9370:                             ;   in Loop: Header=BB6_8046 Depth=2
	v_clz_i32_u32_e32 v1, v2
	s_delay_alu instid0(VALU_DEP_1) | instskip(SKIP_1) | instid1(VALU_DEP_2)
	v_min_u32_e32 v1, 32, v1
	v_mov_b32_e32 v33, v5
	v_subrev_nc_u32_e32 v2, 29, v1
	v_sub_nc_u32_e32 v1, 30, v1
	s_delay_alu instid0(VALU_DEP_2) | instskip(NEXT) | instid1(VALU_DEP_1)
	v_lshlrev_b64_e32 v[2:3], v2, v[32:33]
	v_and_b32_e32 v2, 3, v2
.LBB6_9371:                             ;   in Loop: Header=BB6_8046 Depth=2
	s_or_b32 exec_lo, exec_lo, s27
	v_bfe_i32 v3, v32, 0, 16
                                        ; implicit-def: $vgpr4
	scratch_store_b64 off, v[4:5], s33 offset:212 ; 8-byte Folded Spill
	v_and_b32_e32 v3, 0x80000000, v3
	s_delay_alu instid0(VALU_DEP_1) | instskip(NEXT) | instid1(VALU_DEP_1)
	v_lshl_add_u32 v1, v1, 23, v3
	v_lshl_or_b32 v1, v2, 21, v1
                                        ; implicit-def: $vgpr2
	s_delay_alu instid0(VALU_DEP_1)
	v_add_nc_u32_e32 v1, 0x38000000, v1
.LBB6_9372:                             ;   in Loop: Header=BB6_8046 Depth=2
	s_wait_xcnt 0x0
	s_and_not1_saveexec_b32 s26, s26
	s_cbranch_execz .LBB6_9374
; %bb.9373:                             ;   in Loop: Header=BB6_8046 Depth=2
	scratch_load_b64 v[32:33], off, s33 offset:212 th:TH_LOAD_LU ; 8-byte Folded Reload
	s_wait_loadcnt 0x0
	v_cmp_lt_i16_e32 vcc_lo, -1, v32
	v_cndmask_b32_e32 v1, 0xff800000, v105, vcc_lo
	v_cmp_eq_u32_e32 vcc_lo, 0, v2
	s_delay_alu instid0(VALU_DEP_2)
	v_cndmask_b32_e32 v1, 0x7f800001, v1, vcc_lo
.LBB6_9374:                             ;   in Loop: Header=BB6_8046 Depth=2
	s_wait_xcnt 0x0
	s_or_b32 exec_lo, exec_lo, s26
.LBB6_9375:                             ;   in Loop: Header=BB6_8046 Depth=2
	s_delay_alu instid0(SALU_CYCLE_1)
	s_or_b32 exec_lo, exec_lo, s25
.LBB6_9376:                             ;   in Loop: Header=BB6_8046 Depth=2
	s_delay_alu instid0(SALU_CYCLE_1)
	s_or_b32 exec_lo, exec_lo, s7
	scratch_load_b64 v[2:3], off, s33 offset:204 ; 8-byte Folded Reload
	s_mov_b32 s7, exec_lo
	s_wait_loadcnt 0x0
	s_wait_xcnt 0x0
	v_cmpx_ne_u16_e32 0, v2
	s_cbranch_execz .LBB6_9386
; %bb.9377:                             ;   in Loop: Header=BB6_8046 Depth=2
	v_bfrev_b32_e32 v0, 1
	s_mov_b32 s25, exec_lo
	v_cmpx_ne_u16_e32 0xff80, v2
	s_cbranch_execz .LBB6_9385
; %bb.9378:                             ;   in Loop: Header=BB6_8046 Depth=2
	v_and_b32_e32 v0, 0x7c, v2
	v_and_b32_e32 v2, 3, v2
	s_delay_alu instid0(VALU_DEP_2) | instskip(SKIP_1) | instid1(SALU_CYCLE_1)
	v_cmp_ne_u32_e32 vcc_lo, 0x7c, v0
                                        ; implicit-def: $vgpr0
	s_and_saveexec_b32 s26, vcc_lo
	s_xor_b32 s26, exec_lo, s26
	s_cbranch_execz .LBB6_9382
; %bb.9379:                             ;   in Loop: Header=BB6_8046 Depth=2
	scratch_load_b64 v[32:33], off, s33 offset:204 ; 8-byte Folded Reload
	s_mov_b32 s27, exec_lo
	s_wait_loadcnt 0x0
	v_and_b32_e32 v0, 0xff, v32
	s_delay_alu instid0(VALU_DEP_1) | instskip(SKIP_1) | instid1(VALU_DEP_1)
	v_bfe_u32 v0, v0, 2, 5
	s_wait_xcnt 0x0
	v_cmpx_eq_u32_e32 0, v0
	s_cbranch_execz .LBB6_9381
; %bb.9380:                             ;   in Loop: Header=BB6_8046 Depth=2
	v_clz_i32_u32_e32 v0, v2
	s_delay_alu instid0(VALU_DEP_1) | instskip(SKIP_1) | instid1(VALU_DEP_2)
	v_min_u32_e32 v0, 32, v0
	v_mov_b32_e32 v33, v5
	v_subrev_nc_u32_e32 v2, 29, v0
	v_sub_nc_u32_e32 v0, 30, v0
	s_delay_alu instid0(VALU_DEP_2) | instskip(NEXT) | instid1(VALU_DEP_1)
	v_lshlrev_b64_e32 v[2:3], v2, v[32:33]
	v_and_b32_e32 v2, 3, v2
.LBB6_9381:                             ;   in Loop: Header=BB6_8046 Depth=2
	s_or_b32 exec_lo, exec_lo, s27
	v_bfe_i32 v3, v32, 0, 16
                                        ; implicit-def: $vgpr4
	scratch_store_b64 off, v[4:5], s33 offset:204 ; 8-byte Folded Spill
	v_and_b32_e32 v3, 0x80000000, v3
	s_delay_alu instid0(VALU_DEP_1) | instskip(NEXT) | instid1(VALU_DEP_1)
	v_lshl_add_u32 v0, v0, 23, v3
	v_lshl_or_b32 v0, v2, 21, v0
                                        ; implicit-def: $vgpr2
	s_delay_alu instid0(VALU_DEP_1)
	v_add_nc_u32_e32 v0, 0x38000000, v0
.LBB6_9382:                             ;   in Loop: Header=BB6_8046 Depth=2
	s_wait_xcnt 0x0
	s_and_not1_saveexec_b32 s26, s26
	s_cbranch_execz .LBB6_9384
; %bb.9383:                             ;   in Loop: Header=BB6_8046 Depth=2
	scratch_load_b64 v[32:33], off, s33 offset:204 th:TH_LOAD_LU ; 8-byte Folded Reload
	s_wait_loadcnt 0x0
	v_cmp_lt_i16_e32 vcc_lo, -1, v32
	v_cndmask_b32_e32 v0, 0xff800000, v105, vcc_lo
	v_cmp_eq_u32_e32 vcc_lo, 0, v2
	s_delay_alu instid0(VALU_DEP_2)
	v_cndmask_b32_e32 v0, 0x7f800001, v0, vcc_lo
.LBB6_9384:                             ;   in Loop: Header=BB6_8046 Depth=2
	s_wait_xcnt 0x0
	s_or_b32 exec_lo, exec_lo, s26
.LBB6_9385:                             ;   in Loop: Header=BB6_8046 Depth=2
	s_delay_alu instid0(SALU_CYCLE_1)
	s_or_b32 exec_lo, exec_lo, s25
.LBB6_9386:                             ;   in Loop: Header=BB6_8046 Depth=2
	s_delay_alu instid0(SALU_CYCLE_1) | instskip(SKIP_3) | instid1(VALU_DEP_2)
	s_or_b32 exec_lo, exec_lo, s7
	v_mul_f32_e32 v0, v1, v0
	v_mov_b32_e32 v3, v5
                                        ; implicit-def: $vgpr27
	s_mov_b32 s7, exec_lo
	v_and_b32_e32 v2, 0x7f800000, v0
	v_and_b32_e32 v4, 0x7fffff, v0
	s_delay_alu instid0(VALU_DEP_2)
	v_cmpx_ne_u64_e32 0x7f800000, v[2:3]
	s_xor_b32 s25, exec_lo, s7
	s_cbranch_execz .LBB6_9404
; %bb.9387:                             ;   in Loop: Header=BB6_8046 Depth=2
	v_dual_mov_b32 v3, v5 :: v_dual_lshrrev_b32 v1, 24, v0
	v_and_b32_e32 v2, 0x7fffffff, v0
                                        ; implicit-def: $vgpr27
	s_mov_b32 s7, exec_lo
	s_delay_alu instid0(VALU_DEP_2) | instskip(NEXT) | instid1(VALU_DEP_2)
	v_and_b32_e32 v29, 0x80, v1
	v_cmpx_gt_u64_e32 0x47600001, v[2:3]
	s_xor_b32 s26, exec_lo, s7
	s_cbranch_execz .LBB6_9401
; %bb.9388:                             ;   in Loop: Header=BB6_8046 Depth=2
	v_mov_b32_e32 v27, 0
	s_mov_b32 s27, exec_lo
	v_cmpx_ne_u32_e32 0, v0
	s_cbranch_execz .LBB6_9400
; %bb.9389:                             ;   in Loop: Header=BB6_8046 Depth=2
	v_bfe_u32 v27, v0, 23, 8
	v_or_b32_e32 v2, 0x800000, v4
	s_mov_b32 s28, exec_lo
	s_delay_alu instid0(VALU_DEP_2) | instskip(SKIP_1) | instid1(VALU_DEP_2)
	v_dual_mov_b32 v3, v5 :: v_dual_sub_nc_u32 v0, 0x71, v27
	v_cmp_gt_u32_e32 vcc_lo, 0x72, v27
	v_cndmask_b32_e32 v0, 0, v0, vcc_lo
	v_cmp_eq_u32_e32 vcc_lo, 0, v27
	s_delay_alu instid0(VALU_DEP_2) | instskip(SKIP_1) | instid1(VALU_DEP_2)
	v_cndmask_b32_e64 v32, v0, 0x70, vcc_lo
	v_cndmask_b32_e32 v2, v2, v4, vcc_lo
	v_dual_add_nc_u32 v0, 21, v32 :: v_dual_add_nc_u32 v33, 20, v32
	s_delay_alu instid0(VALU_DEP_1) | instskip(NEXT) | instid1(VALU_DEP_2)
	v_lshlrev_b64_e64 v[0:1], v0, -1
	v_lshlrev_b64_e64 v[36:37], v33, 1
	s_delay_alu instid0(VALU_DEP_2) | instskip(NEXT) | instid1(VALU_DEP_3)
	v_bfi_b32 v49, v1, 0, 0
	v_bfi_b32 v48, v0, 0, v2
	v_lshrrev_b64 v[0:1], v32, v[2:3]
	s_delay_alu instid0(VALU_DEP_1) | instskip(NEXT) | instid1(VALU_DEP_3)
	v_mov_b64_e32 v[2:3], v[0:1]
	v_cmpx_eq_u64_e64 v[48:49], v[36:37]
; %bb.9390:                             ;   in Loop: Header=BB6_8046 Depth=2
	v_bfe_u32 v2, v0, 21, 1
	v_mov_b32_e32 v3, v5
	s_delay_alu instid0(VALU_DEP_1) | instskip(NEXT) | instid1(VALU_DEP_1)
	v_add_nc_u64_e32 v[2:3], v[0:1], v[2:3]
	v_add_nc_u64_e32 v[2:3], -1, v[2:3]
; %bb.9391:                             ;   in Loop: Header=BB6_8046 Depth=2
	s_or_b32 exec_lo, exec_lo, s28
	v_add_nc_u32_e32 v1, 0xffffff81, v27
	s_delay_alu instid0(VALU_DEP_2) | instskip(SKIP_2) | instid1(VALU_DEP_3)
	v_and_b32_e32 v2, 0x1fffff, v2
	v_lshrrev_b32_e32 v3, 23, v0
	s_mov_b32 s7, exec_lo
	v_cndmask_b32_e64 v1, v1, 0xffffff82, vcc_lo
	s_delay_alu instid0(VALU_DEP_3) | instskip(NEXT) | instid1(VALU_DEP_2)
	v_add_nc_u32_e32 v4, v2, v0
                                        ; implicit-def: $vgpr2
	v_add3_u32 v3, v32, v1, v3
                                        ; implicit-def: $vgpr0_vgpr1
	s_delay_alu instid0(VALU_DEP_1) | instskip(NEXT) | instid1(VALU_DEP_1)
	v_add_nc_u32_e32 v27, 14, v3
	v_cmpx_ne_u32_e32 0, v27
	s_xor_b32 s7, exec_lo, s7
; %bb.9392:                             ;   in Loop: Header=BB6_8046 Depth=2
	v_cmp_lt_u64_e32 vcc_lo, 0xffffff, v[4:5]
	v_add_nc_u32_e32 v0, 15, v3
	s_delay_alu instid0(VALU_DEP_1) | instskip(SKIP_1) | instid1(VALU_DEP_1)
	v_cndmask_b32_e32 v2, v27, v0, vcc_lo
	v_cndmask_b32_e64 v0, 0, 1, vcc_lo
	v_lshrrev_b64 v[0:1], v0, v[4:5]
; %bb.9393:                             ;   in Loop: Header=BB6_8046 Depth=2
	s_and_not1_saveexec_b32 s7, s7
; %bb.9394:                             ;   in Loop: Header=BB6_8046 Depth=2
	v_mov_b64_e32 v[0:1], v[4:5]
	v_bfe_u32 v2, v4, 23, 1
; %bb.9395:                             ;   in Loop: Header=BB6_8046 Depth=2
	s_or_b32 exec_lo, exec_lo, s7
	s_delay_alu instid0(VALU_DEP_2) | instskip(NEXT) | instid1(VALU_DEP_2)
	v_lshrrev_b64 v[0:1], 21, v[0:1]
	v_cmp_gt_i32_e32 vcc_lo, 32, v2
	v_cmp_ne_u32_e64 s7, 0, v2
                                        ; implicit-def: $vgpr27
	s_delay_alu instid0(VALU_DEP_3) | instskip(NEXT) | instid1(VALU_DEP_1)
	v_dual_cndmask_b32 v1, 0, v1 :: v_dual_cndmask_b32 v0, 3, v0
	v_cmp_ne_u64_e32 vcc_lo, 0, v[0:1]
	s_or_b32 s7, s7, vcc_lo
	s_delay_alu instid0(SALU_CYCLE_1) | instskip(NEXT) | instid1(SALU_CYCLE_1)
	s_and_saveexec_b32 s28, s7
	s_xor_b32 s7, exec_lo, s28
; %bb.9396:                             ;   in Loop: Header=BB6_8046 Depth=2
	v_min_i32_e32 v1, 31, v2
	s_delay_alu instid0(VALU_DEP_1) | instskip(NEXT) | instid1(VALU_DEP_1)
	v_lshl_or_b32 v1, v1, 2, v29
                                        ; implicit-def: $vgpr29
	v_and_or_b32 v27, v0, 3, v1
; %bb.9397:                             ;   in Loop: Header=BB6_8046 Depth=2
	s_and_not1_saveexec_b32 s7, s7
; %bb.9398:                             ;   in Loop: Header=BB6_8046 Depth=2
	v_mov_b32_e32 v27, v29
; %bb.9399:                             ;   in Loop: Header=BB6_8046 Depth=2
	s_or_b32 exec_lo, exec_lo, s7
.LBB6_9400:                             ;   in Loop: Header=BB6_8046 Depth=2
	s_delay_alu instid0(SALU_CYCLE_1)
	s_or_b32 exec_lo, exec_lo, s27
                                        ; implicit-def: $vgpr29
.LBB6_9401:                             ;   in Loop: Header=BB6_8046 Depth=2
	s_and_not1_saveexec_b32 s7, s26
; %bb.9402:                             ;   in Loop: Header=BB6_8046 Depth=2
	v_or_b32_e32 v27, 0x7b, v29
; %bb.9403:                             ;   in Loop: Header=BB6_8046 Depth=2
	s_or_b32 exec_lo, exec_lo, s7
                                        ; implicit-def: $vgpr0
.LBB6_9404:                             ;   in Loop: Header=BB6_8046 Depth=2
	s_and_not1_saveexec_b32 s7, s25
	s_cbranch_execz .LBB6_9410
; %bb.9405:                             ;   in Loop: Header=BB6_8046 Depth=2
	s_mov_b32 s25, exec_lo
                                        ; implicit-def: $vgpr27
	v_cmpx_ne_u64_e32 0, v[4:5]
	s_xor_b32 s25, exec_lo, s25
; %bb.9406:                             ;   in Loop: Header=BB6_8046 Depth=2
	v_lshrrev_b32_e32 v0, 24, v0
	s_delay_alu instid0(VALU_DEP_1)
	v_or_b32_e32 v27, 0x7f, v0
                                        ; implicit-def: $vgpr0
; %bb.9407:                             ;   in Loop: Header=BB6_8046 Depth=2
	s_and_not1_saveexec_b32 s25, s25
; %bb.9408:                             ;   in Loop: Header=BB6_8046 Depth=2
	v_cmp_lt_i32_e32 vcc_lo, -1, v0
	v_cndmask_b32_e64 v27, -4, 0x7c, vcc_lo
; %bb.9409:                             ;   in Loop: Header=BB6_8046 Depth=2
	s_or_b32 exec_lo, exec_lo, s25
.LBB6_9410:                             ;   in Loop: Header=BB6_8046 Depth=2
	s_delay_alu instid0(SALU_CYCLE_1)
	s_or_b32 exec_lo, exec_lo, s7
	scratch_load_b64 v[2:3], off, s33 offset:196 ; 8-byte Folded Reload
	v_dual_mov_b32 v0, 0 :: v_dual_mov_b32 v1, 0
	s_mov_b32 s7, exec_lo
	s_wait_loadcnt 0x0
	s_wait_xcnt 0x0
	v_cmpx_ne_u16_e32 0, v2
	s_cbranch_execz .LBB6_9420
; %bb.9411:                             ;   in Loop: Header=BB6_8046 Depth=2
	v_bfrev_b32_e32 v1, 1
	s_mov_b32 s25, exec_lo
	v_cmpx_ne_u16_e32 0xff80, v2
	s_cbranch_execz .LBB6_9419
; %bb.9412:                             ;   in Loop: Header=BB6_8046 Depth=2
	v_and_b32_e32 v1, 0x7c, v2
	v_and_b32_e32 v2, 3, v2
	s_delay_alu instid0(VALU_DEP_2) | instskip(SKIP_1) | instid1(SALU_CYCLE_1)
	v_cmp_ne_u32_e32 vcc_lo, 0x7c, v1
                                        ; implicit-def: $vgpr1
	s_and_saveexec_b32 s26, vcc_lo
	s_xor_b32 s26, exec_lo, s26
	s_cbranch_execz .LBB6_9416
; %bb.9413:                             ;   in Loop: Header=BB6_8046 Depth=2
	scratch_load_b64 v[32:33], off, s33 offset:196 ; 8-byte Folded Reload
	s_mov_b32 s27, exec_lo
	s_wait_loadcnt 0x0
	v_and_b32_e32 v1, 0xff, v32
	s_delay_alu instid0(VALU_DEP_1) | instskip(SKIP_1) | instid1(VALU_DEP_1)
	v_bfe_u32 v1, v1, 2, 5
	s_wait_xcnt 0x0
	v_cmpx_eq_u32_e32 0, v1
	s_cbranch_execz .LBB6_9415
; %bb.9414:                             ;   in Loop: Header=BB6_8046 Depth=2
	v_clz_i32_u32_e32 v1, v2
	s_delay_alu instid0(VALU_DEP_1) | instskip(SKIP_1) | instid1(VALU_DEP_2)
	v_min_u32_e32 v1, 32, v1
	v_mov_b32_e32 v33, v5
	v_subrev_nc_u32_e32 v2, 29, v1
	v_sub_nc_u32_e32 v1, 30, v1
	s_delay_alu instid0(VALU_DEP_2) | instskip(NEXT) | instid1(VALU_DEP_1)
	v_lshlrev_b64_e32 v[2:3], v2, v[32:33]
	v_and_b32_e32 v2, 3, v2
.LBB6_9415:                             ;   in Loop: Header=BB6_8046 Depth=2
	s_or_b32 exec_lo, exec_lo, s27
	v_bfe_i32 v3, v32, 0, 16
                                        ; implicit-def: $vgpr4
	scratch_store_b64 off, v[4:5], s33 offset:196 ; 8-byte Folded Spill
	v_and_b32_e32 v3, 0x80000000, v3
	s_delay_alu instid0(VALU_DEP_1) | instskip(NEXT) | instid1(VALU_DEP_1)
	v_lshl_add_u32 v1, v1, 23, v3
	v_lshl_or_b32 v1, v2, 21, v1
                                        ; implicit-def: $vgpr2
	s_delay_alu instid0(VALU_DEP_1)
	v_add_nc_u32_e32 v1, 0x38000000, v1
.LBB6_9416:                             ;   in Loop: Header=BB6_8046 Depth=2
	s_wait_xcnt 0x0
	s_and_not1_saveexec_b32 s26, s26
	s_cbranch_execz .LBB6_9418
; %bb.9417:                             ;   in Loop: Header=BB6_8046 Depth=2
	scratch_load_b64 v[32:33], off, s33 offset:196 th:TH_LOAD_LU ; 8-byte Folded Reload
	s_wait_loadcnt 0x0
	v_cmp_lt_i16_e32 vcc_lo, -1, v32
	v_cndmask_b32_e32 v1, 0xff800000, v105, vcc_lo
	v_cmp_eq_u32_e32 vcc_lo, 0, v2
	s_delay_alu instid0(VALU_DEP_2)
	v_cndmask_b32_e32 v1, 0x7f800001, v1, vcc_lo
.LBB6_9418:                             ;   in Loop: Header=BB6_8046 Depth=2
	s_wait_xcnt 0x0
	s_or_b32 exec_lo, exec_lo, s26
.LBB6_9419:                             ;   in Loop: Header=BB6_8046 Depth=2
	s_delay_alu instid0(SALU_CYCLE_1)
	s_or_b32 exec_lo, exec_lo, s25
.LBB6_9420:                             ;   in Loop: Header=BB6_8046 Depth=2
	s_delay_alu instid0(SALU_CYCLE_1)
	s_or_b32 exec_lo, exec_lo, s7
	scratch_load_b64 v[2:3], off, s33 offset:188 ; 8-byte Folded Reload
	s_mov_b32 s7, exec_lo
	s_wait_loadcnt 0x0
	s_wait_xcnt 0x0
	v_cmpx_ne_u16_e32 0, v2
	s_cbranch_execz .LBB6_9430
; %bb.9421:                             ;   in Loop: Header=BB6_8046 Depth=2
	v_bfrev_b32_e32 v0, 1
	s_mov_b32 s25, exec_lo
	v_cmpx_ne_u16_e32 0xff80, v2
	s_cbranch_execz .LBB6_9429
; %bb.9422:                             ;   in Loop: Header=BB6_8046 Depth=2
	v_and_b32_e32 v0, 0x7c, v2
	v_and_b32_e32 v2, 3, v2
	s_delay_alu instid0(VALU_DEP_2) | instskip(SKIP_1) | instid1(SALU_CYCLE_1)
	v_cmp_ne_u32_e32 vcc_lo, 0x7c, v0
                                        ; implicit-def: $vgpr0
	s_and_saveexec_b32 s26, vcc_lo
	s_xor_b32 s26, exec_lo, s26
	s_cbranch_execz .LBB6_9426
; %bb.9423:                             ;   in Loop: Header=BB6_8046 Depth=2
	scratch_load_b64 v[32:33], off, s33 offset:188 ; 8-byte Folded Reload
	s_mov_b32 s27, exec_lo
	s_wait_loadcnt 0x0
	v_and_b32_e32 v0, 0xff, v32
	s_delay_alu instid0(VALU_DEP_1) | instskip(SKIP_1) | instid1(VALU_DEP_1)
	v_bfe_u32 v0, v0, 2, 5
	s_wait_xcnt 0x0
	v_cmpx_eq_u32_e32 0, v0
	s_cbranch_execz .LBB6_9425
; %bb.9424:                             ;   in Loop: Header=BB6_8046 Depth=2
	v_clz_i32_u32_e32 v0, v2
	s_delay_alu instid0(VALU_DEP_1) | instskip(SKIP_1) | instid1(VALU_DEP_2)
	v_min_u32_e32 v0, 32, v0
	v_mov_b32_e32 v33, v5
	v_subrev_nc_u32_e32 v2, 29, v0
	v_sub_nc_u32_e32 v0, 30, v0
	s_delay_alu instid0(VALU_DEP_2) | instskip(NEXT) | instid1(VALU_DEP_1)
	v_lshlrev_b64_e32 v[2:3], v2, v[32:33]
	v_and_b32_e32 v2, 3, v2
.LBB6_9425:                             ;   in Loop: Header=BB6_8046 Depth=2
	s_or_b32 exec_lo, exec_lo, s27
	v_bfe_i32 v3, v32, 0, 16
                                        ; implicit-def: $vgpr4
	scratch_store_b64 off, v[4:5], s33 offset:188 ; 8-byte Folded Spill
	v_and_b32_e32 v3, 0x80000000, v3
	s_delay_alu instid0(VALU_DEP_1) | instskip(NEXT) | instid1(VALU_DEP_1)
	v_lshl_add_u32 v0, v0, 23, v3
	v_lshl_or_b32 v0, v2, 21, v0
                                        ; implicit-def: $vgpr2
	s_delay_alu instid0(VALU_DEP_1)
	v_add_nc_u32_e32 v0, 0x38000000, v0
.LBB6_9426:                             ;   in Loop: Header=BB6_8046 Depth=2
	s_wait_xcnt 0x0
	s_and_not1_saveexec_b32 s26, s26
	s_cbranch_execz .LBB6_9428
; %bb.9427:                             ;   in Loop: Header=BB6_8046 Depth=2
	scratch_load_b64 v[32:33], off, s33 offset:188 th:TH_LOAD_LU ; 8-byte Folded Reload
	s_wait_loadcnt 0x0
	v_cmp_lt_i16_e32 vcc_lo, -1, v32
	v_cndmask_b32_e32 v0, 0xff800000, v105, vcc_lo
	v_cmp_eq_u32_e32 vcc_lo, 0, v2
	s_delay_alu instid0(VALU_DEP_2)
	v_cndmask_b32_e32 v0, 0x7f800001, v0, vcc_lo
.LBB6_9428:                             ;   in Loop: Header=BB6_8046 Depth=2
	s_wait_xcnt 0x0
	s_or_b32 exec_lo, exec_lo, s26
.LBB6_9429:                             ;   in Loop: Header=BB6_8046 Depth=2
	s_delay_alu instid0(SALU_CYCLE_1)
	s_or_b32 exec_lo, exec_lo, s25
.LBB6_9430:                             ;   in Loop: Header=BB6_8046 Depth=2
	s_delay_alu instid0(SALU_CYCLE_1) | instskip(SKIP_3) | instid1(VALU_DEP_2)
	s_or_b32 exec_lo, exec_lo, s7
	v_mul_f32_e32 v0, v1, v0
	v_mov_b32_e32 v3, v5
                                        ; implicit-def: $vgpr1
	s_mov_b32 s7, exec_lo
	v_and_b32_e32 v2, 0x7f800000, v0
	v_and_b32_e32 v4, 0x7fffff, v0
	s_delay_alu instid0(VALU_DEP_2)
	v_cmpx_ne_u64_e32 0x7f800000, v[2:3]
	s_xor_b32 s25, exec_lo, s7
	s_cbranch_execz .LBB6_9448
; %bb.9431:                             ;   in Loop: Header=BB6_8046 Depth=2
	v_dual_mov_b32 v3, v5 :: v_dual_lshrrev_b32 v1, 24, v0
	v_and_b32_e32 v2, 0x7fffffff, v0
	s_mov_b32 s7, exec_lo
	s_delay_alu instid0(VALU_DEP_2) | instskip(NEXT) | instid1(VALU_DEP_2)
	v_and_b32_e32 v29, 0x80, v1
                                        ; implicit-def: $vgpr1
	v_cmpx_gt_u64_e32 0x47600001, v[2:3]
	s_xor_b32 s26, exec_lo, s7
	s_cbranch_execz .LBB6_9445
; %bb.9432:                             ;   in Loop: Header=BB6_8046 Depth=2
	v_mov_b32_e32 v1, 0
	s_mov_b32 s27, exec_lo
	v_cmpx_ne_u32_e32 0, v0
	s_cbranch_execz .LBB6_9444
; %bb.9433:                             ;   in Loop: Header=BB6_8046 Depth=2
	v_bfe_u32 v32, v0, 23, 8
	v_or_b32_e32 v2, 0x800000, v4
	s_mov_b32 s28, exec_lo
	s_delay_alu instid0(VALU_DEP_2) | instskip(SKIP_1) | instid1(VALU_DEP_2)
	v_dual_mov_b32 v3, v5 :: v_dual_sub_nc_u32 v0, 0x71, v32
	v_cmp_gt_u32_e32 vcc_lo, 0x72, v32
	v_cndmask_b32_e32 v0, 0, v0, vcc_lo
	v_cmp_eq_u32_e32 vcc_lo, 0, v32
	s_delay_alu instid0(VALU_DEP_2) | instskip(NEXT) | instid1(VALU_DEP_1)
	v_cndmask_b32_e64 v33, v0, 0x70, vcc_lo
	v_dual_cndmask_b32 v2, v2, v4, vcc_lo :: v_dual_add_nc_u32 v0, 21, v33
	v_add_nc_u32_e32 v35, 20, v33
	s_delay_alu instid0(VALU_DEP_2) | instskip(NEXT) | instid1(VALU_DEP_2)
	v_lshlrev_b64_e64 v[0:1], v0, -1
	v_lshlrev_b64_e64 v[36:37], v35, 1
	s_delay_alu instid0(VALU_DEP_2) | instskip(NEXT) | instid1(VALU_DEP_3)
	v_bfi_b32 v49, v1, 0, 0
	v_bfi_b32 v48, v0, 0, v2
	v_lshrrev_b64 v[0:1], v33, v[2:3]
	s_delay_alu instid0(VALU_DEP_1) | instskip(NEXT) | instid1(VALU_DEP_3)
	v_mov_b64_e32 v[2:3], v[0:1]
	v_cmpx_eq_u64_e64 v[48:49], v[36:37]
; %bb.9434:                             ;   in Loop: Header=BB6_8046 Depth=2
	v_bfe_u32 v2, v0, 21, 1
	v_mov_b32_e32 v3, v5
	s_delay_alu instid0(VALU_DEP_1) | instskip(NEXT) | instid1(VALU_DEP_1)
	v_add_nc_u64_e32 v[2:3], v[0:1], v[2:3]
	v_add_nc_u64_e32 v[2:3], -1, v[2:3]
; %bb.9435:                             ;   in Loop: Header=BB6_8046 Depth=2
	s_or_b32 exec_lo, exec_lo, s28
	v_add_nc_u32_e32 v1, 0xffffff81, v32
	s_delay_alu instid0(VALU_DEP_2) | instskip(SKIP_2) | instid1(VALU_DEP_3)
	v_and_b32_e32 v2, 0x1fffff, v2
	v_lshrrev_b32_e32 v3, 23, v0
	s_mov_b32 s7, exec_lo
	v_cndmask_b32_e64 v1, v1, 0xffffff82, vcc_lo
	s_delay_alu instid0(VALU_DEP_3) | instskip(NEXT) | instid1(VALU_DEP_2)
	v_add_nc_u32_e32 v4, v2, v0
                                        ; implicit-def: $vgpr2
	v_add3_u32 v3, v33, v1, v3
                                        ; implicit-def: $vgpr0_vgpr1
	s_delay_alu instid0(VALU_DEP_1) | instskip(NEXT) | instid1(VALU_DEP_1)
	v_add_nc_u32_e32 v32, 14, v3
	v_cmpx_ne_u32_e32 0, v32
	s_xor_b32 s7, exec_lo, s7
; %bb.9436:                             ;   in Loop: Header=BB6_8046 Depth=2
	v_cmp_lt_u64_e32 vcc_lo, 0xffffff, v[4:5]
	v_add_nc_u32_e32 v0, 15, v3
	s_delay_alu instid0(VALU_DEP_1) | instskip(SKIP_1) | instid1(VALU_DEP_1)
	v_cndmask_b32_e32 v2, v32, v0, vcc_lo
	v_cndmask_b32_e64 v0, 0, 1, vcc_lo
	v_lshrrev_b64 v[0:1], v0, v[4:5]
; %bb.9437:                             ;   in Loop: Header=BB6_8046 Depth=2
	s_and_not1_saveexec_b32 s7, s7
; %bb.9438:                             ;   in Loop: Header=BB6_8046 Depth=2
	v_mov_b64_e32 v[0:1], v[4:5]
	v_bfe_u32 v2, v4, 23, 1
; %bb.9439:                             ;   in Loop: Header=BB6_8046 Depth=2
	s_or_b32 exec_lo, exec_lo, s7
	s_delay_alu instid0(VALU_DEP_2) | instskip(NEXT) | instid1(VALU_DEP_2)
	v_lshrrev_b64 v[0:1], 21, v[0:1]
	v_cmp_gt_i32_e32 vcc_lo, 32, v2
	v_cmp_ne_u32_e64 s7, 0, v2
	s_delay_alu instid0(VALU_DEP_3) | instskip(NEXT) | instid1(VALU_DEP_1)
	v_dual_cndmask_b32 v1, 0, v1 :: v_dual_cndmask_b32 v0, 3, v0
	v_cmp_ne_u64_e32 vcc_lo, 0, v[0:1]
                                        ; implicit-def: $vgpr1
	s_or_b32 s7, s7, vcc_lo
	s_delay_alu instid0(SALU_CYCLE_1) | instskip(NEXT) | instid1(SALU_CYCLE_1)
	s_and_saveexec_b32 s28, s7
	s_xor_b32 s7, exec_lo, s28
; %bb.9440:                             ;   in Loop: Header=BB6_8046 Depth=2
	v_min_i32_e32 v1, 31, v2
	s_delay_alu instid0(VALU_DEP_1) | instskip(NEXT) | instid1(VALU_DEP_1)
	v_lshl_or_b32 v1, v1, 2, v29
                                        ; implicit-def: $vgpr29
	v_and_or_b32 v1, v0, 3, v1
; %bb.9441:                             ;   in Loop: Header=BB6_8046 Depth=2
	s_and_not1_saveexec_b32 s7, s7
; %bb.9442:                             ;   in Loop: Header=BB6_8046 Depth=2
	v_mov_b32_e32 v1, v29
; %bb.9443:                             ;   in Loop: Header=BB6_8046 Depth=2
	s_or_b32 exec_lo, exec_lo, s7
.LBB6_9444:                             ;   in Loop: Header=BB6_8046 Depth=2
	s_delay_alu instid0(SALU_CYCLE_1)
	s_or_b32 exec_lo, exec_lo, s27
                                        ; implicit-def: $vgpr29
.LBB6_9445:                             ;   in Loop: Header=BB6_8046 Depth=2
	s_and_not1_saveexec_b32 s7, s26
; %bb.9446:                             ;   in Loop: Header=BB6_8046 Depth=2
	v_or_b32_e32 v1, 0x7b, v29
; %bb.9447:                             ;   in Loop: Header=BB6_8046 Depth=2
	s_or_b32 exec_lo, exec_lo, s7
                                        ; implicit-def: $vgpr0
.LBB6_9448:                             ;   in Loop: Header=BB6_8046 Depth=2
	s_and_not1_saveexec_b32 s7, s25
	s_cbranch_execz .LBB6_8045
; %bb.9449:                             ;   in Loop: Header=BB6_8046 Depth=2
	s_mov_b32 s25, exec_lo
                                        ; implicit-def: $vgpr1
	v_cmpx_ne_u64_e32 0, v[4:5]
	s_xor_b32 s25, exec_lo, s25
; %bb.9450:                             ;   in Loop: Header=BB6_8046 Depth=2
	v_lshrrev_b32_e32 v0, 24, v0
	s_delay_alu instid0(VALU_DEP_1)
	v_or_b32_e32 v1, 0x7f, v0
                                        ; implicit-def: $vgpr0
; %bb.9451:                             ;   in Loop: Header=BB6_8046 Depth=2
	s_and_not1_saveexec_b32 s25, s25
	s_cbranch_execz .LBB6_8044
; %bb.9452:                             ;   in Loop: Header=BB6_8046 Depth=2
	v_cmp_lt_i32_e32 vcc_lo, -1, v0
	v_cndmask_b32_e64 v1, -4, 0x7c, vcc_lo
	s_branch .LBB6_8044
.LBB6_9453:                             ;   in Loop: Header=BB6_4821 Depth=1
	s_or_b32 exec_lo, exec_lo, s24
	s_clause 0xd
	scratch_load_b32 v56, off, s33 offset:348
	scratch_load_b32 v57, off, s33 offset:352
	;; [unrolled: 1-line block ×4, first 2 shown]
	scratch_load_b64 v[100:101], off, s33 offset:308
	scratch_load_b128 v[112:115], off, s33 offset:284
	scratch_load_b128 v[60:63], off, s33 offset:252
	scratch_load_b64 v[72:73], off, s33 offset:356
	scratch_load_b32 v74, off, s33 offset:364
	scratch_load_b64 v[102:103], off, s33 offset:316
	scratch_load_b64 v[116:117], off, s33 offset:324
	;; [unrolled: 1-line block ×5, first 2 shown]
	s_wait_loadcnt 0x8
	s_clause 0x6
	scratch_load_b64 v[114:115], off, s33 offset:300
	scratch_load_b64 v[88:89], off, s33 offset:420
	scratch_load_b32 v75, off, s33 offset:428
	scratch_load_b64 v[90:91], off, s33 offset:436
	scratch_load_b64 v[92:93], off, s33 offset:444
	;; [unrolled: 1-line block ×4, first 2 shown]
	s_wait_loadcnt 0x0
	s_clause 0x5
	scratch_load_b32 v107, off, s33 offset:392
	scratch_load_b32 v108, off, s33 offset:400
	scratch_load_b32 v4, off, s33 offset:404
	scratch_load_b32 v3, off, s33 offset:408
	scratch_load_b32 v7, off, s33 offset:412
	scratch_load_b32 v1, off, s33 offset:416
	v_mov_b32_e32 v104, 0x7c
.LBB6_9454:                             ;   in Loop: Header=BB6_4821 Depth=1
	s_wait_xcnt 0x0
	s_or_b32 exec_lo, exec_lo, s23
	s_wait_loadcnt 0x2
	v_and_b32_e32 v0, 0xfffffc00, v3
	s_delay_alu instid0(VALU_DEP_1)
	v_cmp_ne_u32_e32 vcc_lo, v3, v0
	s_and_b32 exec_lo, exec_lo, vcc_lo
	s_cbranch_execz .LBB6_9502
; %bb.9455:                             ;   in Loop: Header=BB6_4821 Depth=1
	s_wait_loadcnt 0x0
	v_dual_add_nc_u32 v1, v7, v1 :: v_dual_lshlrev_b32 v2, 5, v126
	s_delay_alu instid0(VALU_DEP_1) | instskip(NEXT) | instid1(VALU_DEP_1)
	v_and_b32_e32 v1, 0xffffffe0, v1
	v_sub_nc_u32_e32 v1, v7, v1
	s_delay_alu instid0(VALU_DEP_1) | instskip(SKIP_1) | instid1(VALU_DEP_1)
	v_sub_nc_u32_e32 v1, v1, v2
	v_and_b32_e32 v2, 0x3ff, v3
	v_sub_nc_u32_e32 v12, v2, v1
	s_delay_alu instid0(VALU_DEP_1)
	v_cmp_lt_i32_e32 vcc_lo, 0, v12
	s_and_b32 exec_lo, exec_lo, vcc_lo
	s_cbranch_execz .LBB6_9502
; %bb.9456:                             ;   in Loop: Header=BB6_4821 Depth=1
	s_trap 2
	ds_load_b128 v[6:9], v0
	ds_load_b64 v[10:11], v0
	v_add3_u32 v0, v0, v4, v1
	s_mov_b32 s23, 0
	s_delay_alu instid0(VALU_DEP_1) | instskip(SKIP_1) | instid1(VALU_DEP_1)
	v_ashrrev_i32_e32 v1, 31, v0
	s_wait_dscnt 0x1
	v_add_nc_u64_e32 v[6:7], v[6:7], v[0:1]
	v_add_nc_u64_e32 v[2:3], v[8:9], v[0:1]
	s_wait_dscnt 0x0
	v_add_nc_u64_e32 v[0:1], v[10:11], v[0:1]
	s_branch .LBB6_9459
.LBB6_9457:                             ;   in Loop: Header=BB6_9459 Depth=2
	s_or_b32 exec_lo, exec_lo, s24
.LBB6_9458:                             ;   in Loop: Header=BB6_9459 Depth=2
	s_delay_alu instid0(SALU_CYCLE_1)
	s_or_b32 exec_lo, exec_lo, s7
	v_sub_nc_u32_e32 v12, v12, v88
	flat_store_b8 v[0:1], v9 th:TH_STORE_NT
	v_add_nc_u64_e32 v[6:7], v[6:7], v[88:89]
	v_add_nc_u64_e32 v[2:3], v[2:3], v[88:89]
	s_wait_xcnt 0x0
	v_add_nc_u64_e32 v[0:1], v[0:1], v[88:89]
	v_cmp_gt_i32_e32 vcc_lo, 1, v12
	s_or_b32 s23, vcc_lo, s23
	s_delay_alu instid0(SALU_CYCLE_1)
	s_and_not1_b32 exec_lo, exec_lo, s23
	s_cbranch_execz .LBB6_9502
.LBB6_9459:                             ;   Parent Loop BB6_4821 Depth=1
                                        ; =>  This Inner Loop Header: Depth=2
	flat_load_i8 v10, v[6:7] th:TH_LOAD_NT
	flat_load_i8 v8, v[2:3] th:TH_LOAD_NT
	v_dual_mov_b32 v4, 0 :: v_dual_mov_b32 v11, 0
	s_mov_b32 s7, exec_lo
	s_wait_loadcnt_dscnt 0x101
	s_wait_xcnt 0x0
	v_cmpx_ne_u16_e32 0, v10
	s_cbranch_execz .LBB6_9469
; %bb.9460:                             ;   in Loop: Header=BB6_9459 Depth=2
	v_bfrev_b32_e32 v11, 1
	s_mov_b32 s24, exec_lo
	v_cmpx_ne_u16_e32 0xff80, v10
	s_cbranch_execz .LBB6_9468
; %bb.9461:                             ;   in Loop: Header=BB6_9459 Depth=2
	v_and_b32_e32 v11, 0x7c, v10
	v_and_b32_e32 v9, 3, v10
	s_delay_alu instid0(VALU_DEP_2) | instskip(SKIP_1) | instid1(SALU_CYCLE_1)
	v_cmp_ne_u32_e32 vcc_lo, 0x7c, v11
                                        ; implicit-def: $vgpr11
	s_and_saveexec_b32 s25, vcc_lo
	s_xor_b32 s25, exec_lo, s25
	s_cbranch_execz .LBB6_9465
; %bb.9462:                             ;   in Loop: Header=BB6_9459 Depth=2
	v_and_b32_e32 v11, 0xff, v10
	s_mov_b32 s26, exec_lo
	s_delay_alu instid0(VALU_DEP_1) | instskip(NEXT) | instid1(VALU_DEP_1)
	v_bfe_u32 v11, v11, 2, 5
	v_cmpx_eq_u32_e32 0, v11
; %bb.9463:                             ;   in Loop: Header=BB6_9459 Depth=2
	v_clz_i32_u32_e32 v9, v9
	v_mov_b32_e32 v11, v5
	s_delay_alu instid0(VALU_DEP_2) | instskip(NEXT) | instid1(VALU_DEP_1)
	v_min_u32_e32 v9, 32, v9
	v_subrev_nc_u32_e32 v13, 29, v9
	s_delay_alu instid0(VALU_DEP_1) | instskip(NEXT) | instid1(VALU_DEP_1)
	v_lshlrev_b64_e32 v[14:15], v13, v[10:11]
	v_dual_sub_nc_u32 v11, 30, v9 :: v_dual_bitop2_b32 v9, 3, v14 bitop3:0x40
; %bb.9464:                             ;   in Loop: Header=BB6_9459 Depth=2
	s_or_b32 exec_lo, exec_lo, s26
	v_bfe_i32 v10, v10, 0, 16
	s_delay_alu instid0(VALU_DEP_1) | instskip(NEXT) | instid1(VALU_DEP_1)
	v_and_b32_e32 v10, 0x80000000, v10
	v_lshl_add_u32 v10, v11, 23, v10
	s_delay_alu instid0(VALU_DEP_1) | instskip(NEXT) | instid1(VALU_DEP_1)
	v_lshl_or_b32 v9, v9, 21, v10
                                        ; implicit-def: $vgpr10
	v_add_nc_u32_e32 v11, 0x38000000, v9
                                        ; implicit-def: $vgpr9
.LBB6_9465:                             ;   in Loop: Header=BB6_9459 Depth=2
	s_and_not1_saveexec_b32 s25, s25
; %bb.9466:                             ;   in Loop: Header=BB6_9459 Depth=2
	v_cmp_lt_i16_e32 vcc_lo, -1, v10
	v_cndmask_b32_e32 v10, 0xff800000, v105, vcc_lo
	v_cmp_eq_u32_e32 vcc_lo, 0, v9
	s_delay_alu instid0(VALU_DEP_2)
	v_cndmask_b32_e32 v11, 0x7f800001, v10, vcc_lo
; %bb.9467:                             ;   in Loop: Header=BB6_9459 Depth=2
	s_or_b32 exec_lo, exec_lo, s25
.LBB6_9468:                             ;   in Loop: Header=BB6_9459 Depth=2
	s_delay_alu instid0(SALU_CYCLE_1)
	s_or_b32 exec_lo, exec_lo, s24
.LBB6_9469:                             ;   in Loop: Header=BB6_9459 Depth=2
	s_delay_alu instid0(SALU_CYCLE_1) | instskip(NEXT) | instid1(SALU_CYCLE_1)
	s_or_b32 exec_lo, exec_lo, s7
	s_mov_b32 s7, exec_lo
	s_wait_loadcnt_dscnt 0x0
	v_cmpx_ne_u16_e32 0, v8
	s_cbranch_execz .LBB6_9479
; %bb.9470:                             ;   in Loop: Header=BB6_9459 Depth=2
	v_bfrev_b32_e32 v4, 1
	s_mov_b32 s24, exec_lo
	v_cmpx_ne_u16_e32 0xff80, v8
	s_cbranch_execz .LBB6_9478
; %bb.9471:                             ;   in Loop: Header=BB6_9459 Depth=2
	v_and_b32_e32 v4, 0x7c, v8
	v_and_b32_e32 v9, 3, v8
	s_delay_alu instid0(VALU_DEP_2) | instskip(SKIP_1) | instid1(SALU_CYCLE_1)
	v_cmp_ne_u32_e32 vcc_lo, 0x7c, v4
                                        ; implicit-def: $vgpr4
	s_and_saveexec_b32 s25, vcc_lo
	s_xor_b32 s25, exec_lo, s25
	s_cbranch_execz .LBB6_9475
; %bb.9472:                             ;   in Loop: Header=BB6_9459 Depth=2
	v_and_b32_e32 v4, 0xff, v8
	s_mov_b32 s26, exec_lo
	s_delay_alu instid0(VALU_DEP_1) | instskip(NEXT) | instid1(VALU_DEP_1)
	v_bfe_u32 v4, v4, 2, 5
	v_cmpx_eq_u32_e32 0, v4
	s_cbranch_execz .LBB6_9474
; %bb.9473:                             ;   in Loop: Header=BB6_9459 Depth=2
	v_clz_i32_u32_e32 v4, v9
	s_delay_alu instid0(VALU_DEP_1) | instskip(SKIP_1) | instid1(VALU_DEP_2)
	v_min_u32_e32 v4, 32, v4
	v_mov_b32_e32 v9, v5
	v_subrev_nc_u32_e32 v10, 29, v4
	v_sub_nc_u32_e32 v4, 30, v4
	s_delay_alu instid0(VALU_DEP_2) | instskip(NEXT) | instid1(VALU_DEP_1)
	v_lshlrev_b64_e32 v[14:15], v10, v[8:9]
	v_and_b32_e32 v9, 3, v14
.LBB6_9474:                             ;   in Loop: Header=BB6_9459 Depth=2
	s_or_b32 exec_lo, exec_lo, s26
	v_bfe_i32 v8, v8, 0, 16
	s_delay_alu instid0(VALU_DEP_1) | instskip(NEXT) | instid1(VALU_DEP_1)
	v_and_b32_e32 v8, 0x80000000, v8
	v_lshl_add_u32 v4, v4, 23, v8
                                        ; implicit-def: $vgpr8
	s_delay_alu instid0(VALU_DEP_1) | instskip(NEXT) | instid1(VALU_DEP_1)
	v_lshl_or_b32 v4, v9, 21, v4
                                        ; implicit-def: $vgpr9
	v_add_nc_u32_e32 v4, 0x38000000, v4
.LBB6_9475:                             ;   in Loop: Header=BB6_9459 Depth=2
	s_and_not1_saveexec_b32 s25, s25
; %bb.9476:                             ;   in Loop: Header=BB6_9459 Depth=2
	v_cmp_lt_i16_e32 vcc_lo, -1, v8
	v_cndmask_b32_e32 v4, 0xff800000, v105, vcc_lo
	v_cmp_eq_u32_e32 vcc_lo, 0, v9
	s_delay_alu instid0(VALU_DEP_2)
	v_cndmask_b32_e32 v4, 0x7f800001, v4, vcc_lo
; %bb.9477:                             ;   in Loop: Header=BB6_9459 Depth=2
	s_or_b32 exec_lo, exec_lo, s25
.LBB6_9478:                             ;   in Loop: Header=BB6_9459 Depth=2
	s_delay_alu instid0(SALU_CYCLE_1)
	s_or_b32 exec_lo, exec_lo, s24
.LBB6_9479:                             ;   in Loop: Header=BB6_9459 Depth=2
	s_delay_alu instid0(SALU_CYCLE_1) | instskip(NEXT) | instid1(VALU_DEP_1)
	s_or_b32 exec_lo, exec_lo, s7
	v_dual_mul_f32 v8, v11, v4 :: v_dual_mov_b32 v11, v5
                                        ; implicit-def: $vgpr9
	s_mov_b32 s7, exec_lo
	s_delay_alu instid0(VALU_DEP_1) | instskip(SKIP_1) | instid1(VALU_DEP_2)
	v_and_b32_e32 v10, 0x7f800000, v8
	v_and_b32_e32 v4, 0x7fffff, v8
	v_cmpx_ne_u64_e32 0x7f800000, v[10:11]
	s_xor_b32 s24, exec_lo, s7
	s_cbranch_execz .LBB6_9497
; %bb.9480:                             ;   in Loop: Header=BB6_9459 Depth=2
	v_dual_mov_b32 v11, v5 :: v_dual_lshrrev_b32 v9, 24, v8
	v_and_b32_e32 v10, 0x7fffffff, v8
	s_mov_b32 s7, exec_lo
	s_delay_alu instid0(VALU_DEP_2) | instskip(NEXT) | instid1(VALU_DEP_2)
	v_and_b32_e32 v13, 0x80, v9
                                        ; implicit-def: $vgpr9
	v_cmpx_gt_u64_e32 0x47600001, v[10:11]
	s_xor_b32 s25, exec_lo, s7
	s_cbranch_execz .LBB6_9494
; %bb.9481:                             ;   in Loop: Header=BB6_9459 Depth=2
	v_mov_b32_e32 v9, 0
	s_mov_b32 s26, exec_lo
	v_cmpx_ne_u32_e32 0, v8
	s_cbranch_execz .LBB6_9493
; %bb.9482:                             ;   in Loop: Header=BB6_9459 Depth=2
	v_bfe_u32 v14, v8, 23, 8
	v_or_b32_e32 v10, 0x800000, v4
	s_mov_b32 s27, exec_lo
	s_delay_alu instid0(VALU_DEP_2) | instskip(SKIP_1) | instid1(VALU_DEP_2)
	v_dual_mov_b32 v11, v5 :: v_dual_sub_nc_u32 v8, 0x71, v14
	v_cmp_gt_u32_e32 vcc_lo, 0x72, v14
	v_cndmask_b32_e32 v8, 0, v8, vcc_lo
	v_cmp_eq_u32_e32 vcc_lo, 0, v14
	s_delay_alu instid0(VALU_DEP_2) | instskip(NEXT) | instid1(VALU_DEP_1)
	v_cndmask_b32_e64 v15, v8, 0x70, vcc_lo
	v_dual_cndmask_b32 v10, v10, v4, vcc_lo :: v_dual_add_nc_u32 v8, 21, v15
	v_add_nc_u32_e32 v16, 20, v15
	s_delay_alu instid0(VALU_DEP_2) | instskip(NEXT) | instid1(VALU_DEP_2)
	v_lshlrev_b64_e64 v[8:9], v8, -1
	v_lshlrev_b64_e64 v[16:17], v16, 1
	s_delay_alu instid0(VALU_DEP_2) | instskip(NEXT) | instid1(VALU_DEP_3)
	v_bfi_b32 v19, v9, 0, 0
	v_bfi_b32 v18, v8, 0, v10
	v_lshrrev_b64 v[8:9], v15, v[10:11]
	s_delay_alu instid0(VALU_DEP_1) | instskip(NEXT) | instid1(VALU_DEP_3)
	v_mov_b64_e32 v[10:11], v[8:9]
	v_cmpx_eq_u64_e64 v[18:19], v[16:17]
; %bb.9483:                             ;   in Loop: Header=BB6_9459 Depth=2
	v_bfe_u32 v10, v8, 21, 1
	v_mov_b32_e32 v11, v5
	s_delay_alu instid0(VALU_DEP_1) | instskip(NEXT) | instid1(VALU_DEP_1)
	v_add_nc_u64_e32 v[10:11], v[8:9], v[10:11]
	v_add_nc_u64_e32 v[10:11], -1, v[10:11]
; %bb.9484:                             ;   in Loop: Header=BB6_9459 Depth=2
	s_or_b32 exec_lo, exec_lo, s27
	v_add_nc_u32_e32 v4, 0xffffff81, v14
	s_delay_alu instid0(VALU_DEP_2) | instskip(SKIP_2) | instid1(VALU_DEP_3)
	v_and_b32_e32 v10, 0x1fffff, v10
	v_lshrrev_b32_e32 v9, 23, v8
	s_mov_b32 s7, exec_lo
	v_cndmask_b32_e64 v4, v4, 0xffffff82, vcc_lo
	s_delay_alu instid0(VALU_DEP_1) | instskip(SKIP_1) | instid1(VALU_DEP_2)
	v_add3_u32 v11, v15, v4, v9
	v_add_nc_u32_e32 v4, v10, v8
                                        ; implicit-def: $vgpr8_vgpr9
                                        ; implicit-def: $vgpr10
	v_add_nc_u32_e32 v14, 14, v11
	s_delay_alu instid0(VALU_DEP_1)
	v_cmpx_ne_u32_e32 0, v14
	s_xor_b32 s7, exec_lo, s7
; %bb.9485:                             ;   in Loop: Header=BB6_9459 Depth=2
	s_delay_alu instid0(VALU_DEP_3) | instskip(SKIP_1) | instid1(VALU_DEP_1)
	v_cmp_lt_u64_e32 vcc_lo, 0xffffff, v[4:5]
	v_add_nc_u32_e32 v8, 15, v11
	v_cndmask_b32_e32 v10, v14, v8, vcc_lo
	v_cndmask_b32_e64 v8, 0, 1, vcc_lo
	s_delay_alu instid0(VALU_DEP_1)
	v_lshrrev_b64 v[8:9], v8, v[4:5]
; %bb.9486:                             ;   in Loop: Header=BB6_9459 Depth=2
	s_and_not1_saveexec_b32 s7, s7
; %bb.9487:                             ;   in Loop: Header=BB6_9459 Depth=2
	v_mov_b64_e32 v[8:9], v[4:5]
	v_bfe_u32 v10, v4, 23, 1
; %bb.9488:                             ;   in Loop: Header=BB6_9459 Depth=2
	s_or_b32 exec_lo, exec_lo, s7
	s_delay_alu instid0(VALU_DEP_2) | instskip(NEXT) | instid1(VALU_DEP_2)
	v_lshrrev_b64 v[8:9], 21, v[8:9]
	v_cmp_gt_i32_e32 vcc_lo, 32, v10
	v_cmp_ne_u32_e64 s7, 0, v10
	s_delay_alu instid0(VALU_DEP_3) | instskip(NEXT) | instid1(VALU_DEP_1)
	v_dual_cndmask_b32 v9, 0, v9 :: v_dual_cndmask_b32 v8, 3, v8
	v_cmp_ne_u64_e32 vcc_lo, 0, v[8:9]
                                        ; implicit-def: $vgpr9
	s_or_b32 s7, s7, vcc_lo
	s_delay_alu instid0(SALU_CYCLE_1) | instskip(NEXT) | instid1(SALU_CYCLE_1)
	s_and_saveexec_b32 s27, s7
	s_xor_b32 s7, exec_lo, s27
; %bb.9489:                             ;   in Loop: Header=BB6_9459 Depth=2
	v_min_i32_e32 v4, 31, v10
	s_delay_alu instid0(VALU_DEP_1) | instskip(NEXT) | instid1(VALU_DEP_1)
	v_lshl_or_b32 v4, v4, 2, v13
                                        ; implicit-def: $vgpr13
	v_and_or_b32 v9, v8, 3, v4
; %bb.9490:                             ;   in Loop: Header=BB6_9459 Depth=2
	s_and_not1_saveexec_b32 s7, s7
; %bb.9491:                             ;   in Loop: Header=BB6_9459 Depth=2
	v_mov_b32_e32 v9, v13
; %bb.9492:                             ;   in Loop: Header=BB6_9459 Depth=2
	s_or_b32 exec_lo, exec_lo, s7
.LBB6_9493:                             ;   in Loop: Header=BB6_9459 Depth=2
	s_delay_alu instid0(SALU_CYCLE_1)
	s_or_b32 exec_lo, exec_lo, s26
                                        ; implicit-def: $vgpr13
.LBB6_9494:                             ;   in Loop: Header=BB6_9459 Depth=2
	s_and_not1_saveexec_b32 s7, s25
; %bb.9495:                             ;   in Loop: Header=BB6_9459 Depth=2
	v_or_b32_e32 v9, 0x7b, v13
; %bb.9496:                             ;   in Loop: Header=BB6_9459 Depth=2
	s_or_b32 exec_lo, exec_lo, s7
                                        ; implicit-def: $vgpr8
.LBB6_9497:                             ;   in Loop: Header=BB6_9459 Depth=2
	s_and_not1_saveexec_b32 s7, s24
	s_cbranch_execz .LBB6_9458
; %bb.9498:                             ;   in Loop: Header=BB6_9459 Depth=2
	s_mov_b32 s24, exec_lo
                                        ; implicit-def: $vgpr9
	v_cmpx_ne_u64_e32 0, v[4:5]
	s_xor_b32 s24, exec_lo, s24
; %bb.9499:                             ;   in Loop: Header=BB6_9459 Depth=2
	v_lshrrev_b32_e32 v4, 24, v8
                                        ; implicit-def: $vgpr8
	s_delay_alu instid0(VALU_DEP_1)
	v_or_b32_e32 v9, 0x7f, v4
; %bb.9500:                             ;   in Loop: Header=BB6_9459 Depth=2
	s_and_not1_saveexec_b32 s24, s24
	s_cbranch_execz .LBB6_9457
; %bb.9501:                             ;   in Loop: Header=BB6_9459 Depth=2
	v_cmp_lt_i32_e32 vcc_lo, -1, v8
	v_cndmask_b32_e64 v9, -4, 0x7c, vcc_lo
	s_branch .LBB6_9457
.LBB6_9502:                             ;   in Loop: Header=BB6_4821 Depth=1
	s_or_b32 exec_lo, exec_lo, s10
	v_cmp_ne_u32_e64 s7, 0, v108
	s_and_saveexec_b32 s10, s2
	s_cbranch_execz .LBB6_9521
.LBB6_9503:                             ;   in Loop: Header=BB6_4821 Depth=1
	s_and_saveexec_b32 s23, s3
	s_delay_alu instid0(SALU_CYCLE_1)
	s_xor_b32 s23, exec_lo, s23
	s_cbranch_execz .LBB6_9518
; %bb.9504:                             ;   in Loop: Header=BB6_4821 Depth=1
	s_and_saveexec_b32 s24, s4
	s_cbranch_execz .LBB6_9517
; %bb.9505:                             ;   in Loop: Header=BB6_4821 Depth=1
	s_mov_b32 s26, exec_lo
	s_mov_b32 s25, exec_lo
	v_mbcnt_lo_u32_b32 v0, s26, 0
	global_wb scope:SCOPE_DEV
	s_wait_storecnt 0x0
	s_wait_loadcnt_dscnt 0x0
	global_inv scope:SCOPE_DEV
	v_cmpx_eq_u32_e32 0, v0
	s_cbranch_execz .LBB6_9507
; %bb.9506:                             ;   in Loop: Header=BB6_4821 Depth=1
	s_bcnt1_i32_b32 s26, s26
	s_delay_alu instid0(SALU_CYCLE_1)
	v_dual_mov_b32 v1, v5 :: v_dual_mov_b32 v0, s26
	s_wait_loadcnt 0x0
	ds_add_u64 v0, v[0:1]
	s_trap 2
.LBB6_9507:                             ;   in Loop: Header=BB6_4821 Depth=1
	s_or_b32 exec_lo, exec_lo, s25
	s_trap 2
	ds_load_b64 v[0:1], v0
	s_wait_dscnt 0x0
	scratch_load_b64 v[2:3], off, s33 offset:236 ; 8-byte Folded Reload
	s_mov_b32 s25, exec_lo
	s_wait_loadcnt 0x0
	v_add_nc_u64_e32 v[78:79], v[78:79], v[2:3]
	s_delay_alu instid0(VALU_DEP_1)
	v_cmpx_lt_u64_e64 v[0:1], v[78:79]
	s_cbranch_execz .LBB6_9516
; %bb.9508:                             ;   in Loop: Header=BB6_4821 Depth=1
	s_mov_b32 s26, 0
	s_mov_b32 s29, 0
                                        ; implicit-def: $sgpr27
                                        ; implicit-def: $sgpr28
	s_branch .LBB6_9510
.LBB6_9509:                             ;   in Loop: Header=BB6_9510 Depth=2
	s_or_b32 exec_lo, exec_lo, s41
	s_delay_alu instid0(SALU_CYCLE_1) | instskip(NEXT) | instid1(SALU_CYCLE_1)
	s_and_b32 s40, exec_lo, s42
	s_or_b32 s26, s40, s26
	s_and_not1_b32 s27, s27, exec_lo
	s_and_b32 s40, s28, exec_lo
	s_delay_alu instid0(SALU_CYCLE_1)
	s_or_b32 s27, s27, s40
	s_and_not1_b32 exec_lo, exec_lo, s26
	s_cbranch_execz .LBB6_9514
.LBB6_9510:                             ;   Parent Loop BB6_4821 Depth=1
                                        ; =>  This Inner Loop Header: Depth=2
	s_add_co_i32 s29, s29, 1
	s_delay_alu instid0(SALU_CYCLE_1) | instskip(SKIP_1) | instid1(SALU_CYCLE_1)
	s_cmp_lg_u32 s29, 0x2710
	s_cselect_b32 s40, -1, 0
	s_and_b32 vcc_lo, exec_lo, s40
	s_cbranch_vccz .LBB6_9512
; %bb.9511:                             ;   in Loop: Header=BB6_9510 Depth=2
	s_mov_b32 s42, -1
	s_or_b32 s28, s28, exec_lo
	s_and_saveexec_b32 s41, s40
	s_cbranch_execz .LBB6_9509
	s_branch .LBB6_9513
.LBB6_9512:                             ;   in Loop: Header=BB6_9510 Depth=2
	s_trap 2
	ds_load_b64 v[0:1], v0
	s_and_not1_b32 s40, s40, exec_lo
	s_mov_b32 s29, 0
	s_wait_dscnt 0x0
	flat_load_b32 v0, v[0:1] scope:SCOPE_SYS
	s_wait_loadcnt_dscnt 0x0
	global_inv scope:SCOPE_SYS
	v_cmp_eq_u32_e32 vcc_lo, 0, v0
	s_and_b32 s41, vcc_lo, exec_lo
	s_delay_alu instid0(SALU_CYCLE_1)
	s_or_b32 s40, s40, s41
	s_mov_b32 s42, -1
	s_or_b32 s28, s28, exec_lo
	s_wait_xcnt 0x0
	s_and_saveexec_b32 s41, s40
	s_cbranch_execz .LBB6_9509
.LBB6_9513:                             ;   in Loop: Header=BB6_9510 Depth=2
	s_sleep 1
	s_trap 2
	ds_load_b64 v[0:1], v0
	s_wait_dscnt 0x0
	s_and_not1_b32 s28, s28, exec_lo
	v_cmp_ge_u64_e32 vcc_lo, v[0:1], v[78:79]
	s_or_not1_b32 s42, vcc_lo, exec_lo
	s_branch .LBB6_9509
.LBB6_9514:                             ;   in Loop: Header=BB6_4821 Depth=1
	s_or_b32 exec_lo, exec_lo, s26
	s_and_saveexec_b32 s26, s27
	s_delay_alu instid0(SALU_CYCLE_1)
	s_xor_b32 s26, exec_lo, s26
	s_cbranch_execz .LBB6_9516
; %bb.9515:                             ;   in Loop: Header=BB6_4821 Depth=1
	v_mov_b32_e32 v0, 1
	ds_store_b32 v0, v0
	s_trap 2
.LBB6_9516:                             ;   in Loop: Header=BB6_4821 Depth=1
	s_or_b32 exec_lo, exec_lo, s25
	;;#ASMSTART
	s_wakeup
	;;#ASMEND
.LBB6_9517:                             ;   in Loop: Header=BB6_4821 Depth=1
	s_or_b32 exec_lo, exec_lo, s24
.LBB6_9518:                             ;   in Loop: Header=BB6_4821 Depth=1
	s_and_not1_saveexec_b32 s23, s23
	s_cbranch_execz .LBB6_9520
; %bb.9519:                             ;   in Loop: Header=BB6_4821 Depth=1
	global_wb scope:SCOPE_DEV
	s_wait_storecnt 0x0
	s_wait_loadcnt_dscnt 0x0
	global_inv scope:SCOPE_DEV
	s_barrier_signal -1
	s_barrier_wait -1
.LBB6_9520:                             ;   in Loop: Header=BB6_4821 Depth=1
	s_or_b32 exec_lo, exec_lo, s23
.LBB6_9521:                             ;   in Loop: Header=BB6_4821 Depth=1
	s_delay_alu instid0(SALU_CYCLE_1) | instskip(SKIP_1) | instid1(VALU_DEP_1)
	s_or_b32 exec_lo, exec_lo, s10
	v_and_b32_e32 v0, 16, v59
	v_cmp_ne_u32_e32 vcc_lo, 0, v0
	s_and_b32 s10, vcc_lo, s7
	s_delay_alu instid0(SALU_CYCLE_1)
	s_and_saveexec_b32 s7, s10
	s_cbranch_execz .LBB6_9523
; %bb.9522:                             ;   in Loop: Header=BB6_4821 Depth=1
	global_wb scope:SCOPE_SYS
	s_wait_storecnt 0x0
	s_wait_loadcnt_dscnt 0x0
	global_inv scope:SCOPE_SYS
.LBB6_9523:                             ;   in Loop: Header=BB6_4821 Depth=1
	s_or_b32 exec_lo, exec_lo, s7
	v_and_b32_e32 v0, 32, v59
	s_mov_b32 s7, exec_lo
	s_delay_alu instid0(VALU_DEP_1)
	v_cmpx_ne_u32_e32 0, v0
	s_cbranch_execz .LBB6_9525
; %bb.9524:                             ;   in Loop: Header=BB6_4821 Depth=1
	v_add_nc_u64_e32 v[62:63], 1, v[62:63]
	global_wb scope:SCOPE_SYS
	s_wait_storecnt 0x0
	s_wait_loadcnt_dscnt 0x0
	flat_store_b64 v[102:103], v[62:63] scope:SCOPE_SYS
.LBB6_9525:                             ;   in Loop: Header=BB6_4821 Depth=1
	s_wait_xcnt 0x0
	s_or_b32 exec_lo, exec_lo, s7
	v_mov_b32_e32 v4, v107
.LBB6_9526:                             ;   in Loop: Header=BB6_4821 Depth=1
	s_or_b32 exec_lo, exec_lo, s22
	s_and_saveexec_b32 s10, s21
	s_cbranch_execnz .LBB6_9527
; %bb.9816:                             ;   in Loop: Header=BB6_4821 Depth=1
	s_add_pc_i64 .LBB6_4820-.Lpost_addpc17
.Lpost_addpc17:
.LBB6_9527:                             ;   in Loop: Header=BB6_4821 Depth=1
	v_and_b32_e32 v0, 4, v59
	s_mov_b32 s21, exec_lo
	s_delay_alu instid0(VALU_DEP_1)
	v_cmpx_ne_u32_e32 0, v0
	s_cbranch_execz .LBB6_9549
; %bb.9528:                             ;   in Loop: Header=BB6_4821 Depth=1
	v_add_nc_u64_e32 v[2:3], 1, v[62:63]
	s_mov_b32 s22, exec_lo
	s_wait_loadcnt 0x0
	s_delay_alu instid0(VALU_DEP_1)
	v_cmpx_lt_u64_e64 v[76:77], v[2:3]
	s_cbranch_execz .LBB6_9540
; %bb.9529:                             ;   in Loop: Header=BB6_4821 Depth=1
	v_and_b32_e32 v0, 64, v59
	s_mov_b32 s23, 0
	s_mov_b32 s27, 0
                                        ; implicit-def: $sgpr24
                                        ; implicit-def: $sgpr25
                                        ; implicit-def: $sgpr26
	s_delay_alu instid0(VALU_DEP_1)
	v_cmp_eq_u32_e32 vcc_lo, 0, v0
	s_branch .LBB6_9533
.LBB6_9530:                             ;   in Loop: Header=BB6_9533 Depth=2
	s_wait_loadcnt_dscnt 0x0
	v_cmp_ge_u64_e64 s7, v[76:77], v[2:3]
	s_or_b32 s40, s40, exec_lo
	s_or_not1_b32 s29, s7, exec_lo
.LBB6_9531:                             ;   in Loop: Header=BB6_9533 Depth=2
	s_or_b32 exec_lo, exec_lo, s42
	s_delay_alu instid0(SALU_CYCLE_1)
	s_and_not1_b32 s7, s26, exec_lo
	s_and_b32 s26, s40, exec_lo
	s_and_not1_b32 s25, s25, exec_lo
	s_and_b32 s29, s29, exec_lo
	s_or_b32 s26, s7, s26
	s_or_b32 s25, s25, s29
.LBB6_9532:                             ;   in Loop: Header=BB6_9533 Depth=2
	s_or_b32 exec_lo, exec_lo, s28
	s_delay_alu instid0(SALU_CYCLE_1) | instskip(NEXT) | instid1(SALU_CYCLE_1)
	s_and_b32 s7, exec_lo, s25
	s_or_b32 s23, s7, s23
	s_and_not1_b32 s7, s24, exec_lo
	s_and_b32 s24, s26, exec_lo
	s_delay_alu instid0(SALU_CYCLE_1)
	s_or_b32 s24, s7, s24
	s_and_not1_b32 exec_lo, exec_lo, s23
	s_cbranch_execz .LBB6_9537
.LBB6_9533:                             ;   Parent Loop BB6_4821 Depth=1
                                        ; =>  This Inner Loop Header: Depth=2
	s_sleep 1
	s_wait_loadcnt_dscnt 0x0
	flat_load_b64 v[76:77], v[102:103] scope:SCOPE_SYS
	s_or_b32 s26, s26, exec_lo
	s_or_b32 s25, s25, exec_lo
                                        ; implicit-def: $vgpr0
	s_wait_xcnt 0x0
	s_and_saveexec_b32 s28, vcc_lo
	s_cbranch_execz .LBB6_9532
; %bb.9534:                             ;   in Loop: Header=BB6_9533 Depth=2
	s_cmp_lt_i32 s27, 0x270f
	s_mov_b32 s29, -1
	s_cselect_b32 s41, -1, 0
	s_cmp_gt_i32 s27, 0x270e
	s_cbranch_scc0 .LBB6_9536
; %bb.9535:                             ;   in Loop: Header=BB6_9533 Depth=2
	s_trap 2
	ds_load_b64 v[0:1], v0
	s_and_not1_b32 s27, s41, exec_lo
	s_mov_b32 s40, 0
	s_wait_storecnt 0x0
	s_wait_loadcnt_dscnt 0x0
	flat_load_b32 v0, v[0:1] scope:SCOPE_SYS
	s_wait_loadcnt_dscnt 0x0
	global_inv scope:SCOPE_SYS
	v_cmp_eq_u32_e64 s7, 0, v0
	s_and_b32 s7, s7, exec_lo
	s_delay_alu instid0(SALU_CYCLE_1)
	s_or_b32 s41, s27, s7
	s_mov_b32 s27, 0
	s_and_saveexec_b32 s42, s41
	s_cbranch_execz .LBB6_9531
	s_branch .LBB6_9530
.LBB6_9536:                             ;   in Loop: Header=BB6_9533 Depth=2
	s_add_co_i32 s27, s27, 1
	s_mov_b32 s40, -1
                                        ; implicit-def: $vgpr0
	s_and_saveexec_b32 s42, s41
	s_cbranch_execz .LBB6_9531
	s_branch .LBB6_9530
.LBB6_9537:                             ;   in Loop: Header=BB6_4821 Depth=1
	s_or_b32 exec_lo, exec_lo, s23
	s_xor_b32 s7, s24, -1
	s_delay_alu instid0(SALU_CYCLE_1) | instskip(NEXT) | instid1(SALU_CYCLE_1)
	s_and_saveexec_b32 s23, s7
	s_xor_b32 s7, exec_lo, s23
	s_cbranch_execz .LBB6_9539
; %bb.9538:                             ;   in Loop: Header=BB6_4821 Depth=1
	v_or_b32_e32 v59, 64, v59
	s_wait_storecnt 0x0
	s_wait_loadcnt_dscnt 0x0
	ds_store_b32 v0, v0
	s_trap 2
.LBB6_9539:                             ;   in Loop: Header=BB6_4821 Depth=1
	s_or_b32 exec_lo, exec_lo, s7
.LBB6_9540:                             ;   in Loop: Header=BB6_4821 Depth=1
	s_delay_alu instid0(SALU_CYCLE_1) | instskip(SKIP_4) | instid1(VALU_DEP_2)
	s_or_b32 exec_lo, exec_lo, s22
	v_and_b32_e32 v1, 0x100, v59
	v_and_b32_e32 v0, 7, v62
	s_mov_b32 s7, -1
	;;#ASMSTART
	s_wakeup
	;;#ASMEND
                                        ; implicit-def: $vgpr6_vgpr7
	v_cmp_ne_u32_e32 vcc_lo, 0, v1
	v_mov_b32_e32 v1, v5
	s_and_saveexec_b32 s22, vcc_lo
	s_cbranch_execz .LBB6_9544
; %bb.9541:                             ;   in Loop: Header=BB6_4821 Depth=1
	v_mad_nc_u64_u32 v[8:9], v0, 24, v[60:61]
	flat_load_b32 v6, v[8:9]
	s_wait_loadcnt_dscnt 0x0
	v_cmp_eq_u32_e64 s7, 1, v6
	v_cmp_ne_u32_e32 vcc_lo, 1, v6
                                        ; implicit-def: $vgpr6_vgpr7
	s_wait_xcnt 0x0
	s_and_saveexec_b32 s23, s7
	s_cbranch_execz .LBB6_9543
; %bb.9542:                             ;   in Loop: Header=BB6_4821 Depth=1
	flat_load_b32 v6, v[8:9] offset:4 scope:SCOPE_SYS
	s_wait_loadcnt_dscnt 0x0
	v_ashrrev_i32_e32 v7, 31, v6
.LBB6_9543:                             ;   in Loop: Header=BB6_4821 Depth=1
	s_wait_xcnt 0x0
	s_or_b32 exec_lo, exec_lo, s23
	s_delay_alu instid0(SALU_CYCLE_1)
	s_or_not1_b32 s7, vcc_lo, exec_lo
.LBB6_9544:                             ;   in Loop: Header=BB6_4821 Depth=1
	s_or_b32 exec_lo, exec_lo, s22
	s_and_saveexec_b32 s22, s7
; %bb.9545:                             ;   in Loop: Header=BB6_4821 Depth=1
	v_mul_u64_e32 v[6:7], v[0:1], v[116:117]
; %bb.9546:                             ;   in Loop: Header=BB6_4821 Depth=1
	s_or_b32 exec_lo, exec_lo, s22
	s_delay_alu instid0(VALU_DEP_1)
	v_add_nc_u64_e32 v[0:1], v[46:47], v[6:7]
	v_and_b32_e32 v8, 0x2000, v59
	s_mov_b32 s7, exec_lo
	ds_store_b64 v0, v[0:1] offset:728
	v_cmpx_ne_u32_e32 0, v8
	s_cbranch_execz .LBB6_9548
; %bb.9547:                             ;   in Loop: Header=BB6_4821 Depth=1
	ds_load_b64 v[0:1], v0 offset:872
	s_wait_dscnt 0x0
	v_add_nc_u64_e32 v[0:1], 1, v[0:1]
	ds_store_b64 v0, v[0:1] offset:872
.LBB6_9548:                             ;   in Loop: Header=BB6_4821 Depth=1
	s_or_b32 exec_lo, exec_lo, s7
	v_mov_b64_e32 v[62:63], v[2:3]
.LBB6_9549:                             ;   in Loop: Header=BB6_4821 Depth=1
	s_or_b32 exec_lo, exec_lo, s21
	s_and_saveexec_b32 s7, s2
	s_cbranch_execz .LBB6_9568
; %bb.9550:                             ;   in Loop: Header=BB6_4821 Depth=1
	s_and_saveexec_b32 s21, s3
	s_delay_alu instid0(SALU_CYCLE_1)
	s_xor_b32 s21, exec_lo, s21
	s_cbranch_execz .LBB6_9565
; %bb.9551:                             ;   in Loop: Header=BB6_4821 Depth=1
	s_and_saveexec_b32 s22, s4
	s_cbranch_execz .LBB6_9564
; %bb.9552:                             ;   in Loop: Header=BB6_4821 Depth=1
	s_mov_b32 s24, exec_lo
	s_mov_b32 s23, exec_lo
	v_mbcnt_lo_u32_b32 v0, s24, 0
	global_wb scope:SCOPE_DEV
	s_wait_storecnt 0x0
	s_wait_loadcnt_dscnt 0x0
	global_inv scope:SCOPE_DEV
	v_cmpx_eq_u32_e32 0, v0
	s_cbranch_execz .LBB6_9554
; %bb.9553:                             ;   in Loop: Header=BB6_4821 Depth=1
	s_bcnt1_i32_b32 s24, s24
	s_delay_alu instid0(SALU_CYCLE_1)
	v_dual_mov_b32 v1, v5 :: v_dual_mov_b32 v0, s24
	s_wait_loadcnt 0x0
	ds_add_u64 v0, v[0:1]
	s_trap 2
.LBB6_9554:                             ;   in Loop: Header=BB6_4821 Depth=1
	s_or_b32 exec_lo, exec_lo, s23
	s_trap 2
	ds_load_b64 v[0:1], v0
	s_wait_dscnt 0x0
	scratch_load_b64 v[2:3], off, s33 offset:236 ; 8-byte Folded Reload
	s_mov_b32 s23, exec_lo
	s_wait_loadcnt 0x0
	v_add_nc_u64_e32 v[78:79], v[78:79], v[2:3]
	s_delay_alu instid0(VALU_DEP_1)
	v_cmpx_lt_u64_e64 v[0:1], v[78:79]
	s_cbranch_execz .LBB6_9563
; %bb.9555:                             ;   in Loop: Header=BB6_4821 Depth=1
	s_mov_b32 s24, 0
	s_mov_b32 s27, 0
                                        ; implicit-def: $sgpr25
                                        ; implicit-def: $sgpr26
	s_branch .LBB6_9557
.LBB6_9556:                             ;   in Loop: Header=BB6_9557 Depth=2
	s_or_b32 exec_lo, exec_lo, s29
	s_delay_alu instid0(SALU_CYCLE_1) | instskip(NEXT) | instid1(SALU_CYCLE_1)
	s_and_b32 s28, exec_lo, s40
	s_or_b32 s24, s28, s24
	s_and_not1_b32 s25, s25, exec_lo
	s_and_b32 s28, s26, exec_lo
	s_delay_alu instid0(SALU_CYCLE_1)
	s_or_b32 s25, s25, s28
	s_and_not1_b32 exec_lo, exec_lo, s24
	s_cbranch_execz .LBB6_9561
.LBB6_9557:                             ;   Parent Loop BB6_4821 Depth=1
                                        ; =>  This Inner Loop Header: Depth=2
	s_add_co_i32 s27, s27, 1
	s_delay_alu instid0(SALU_CYCLE_1) | instskip(SKIP_1) | instid1(SALU_CYCLE_1)
	s_cmp_lg_u32 s27, 0x2710
	s_cselect_b32 s28, -1, 0
	s_and_b32 vcc_lo, exec_lo, s28
	s_cbranch_vccz .LBB6_9559
; %bb.9558:                             ;   in Loop: Header=BB6_9557 Depth=2
	s_mov_b32 s40, -1
	s_or_b32 s26, s26, exec_lo
	s_and_saveexec_b32 s29, s28
	s_cbranch_execz .LBB6_9556
	s_branch .LBB6_9560
.LBB6_9559:                             ;   in Loop: Header=BB6_9557 Depth=2
	s_trap 2
	ds_load_b64 v[0:1], v0
	s_and_not1_b32 s28, s28, exec_lo
	s_mov_b32 s27, 0
	s_wait_dscnt 0x0
	flat_load_b32 v0, v[0:1] scope:SCOPE_SYS
	s_wait_loadcnt_dscnt 0x0
	global_inv scope:SCOPE_SYS
	v_cmp_eq_u32_e32 vcc_lo, 0, v0
	s_and_b32 s29, vcc_lo, exec_lo
	s_delay_alu instid0(SALU_CYCLE_1)
	s_or_b32 s28, s28, s29
	s_mov_b32 s40, -1
	s_or_b32 s26, s26, exec_lo
	s_wait_xcnt 0x0
	s_and_saveexec_b32 s29, s28
	s_cbranch_execz .LBB6_9556
.LBB6_9560:                             ;   in Loop: Header=BB6_9557 Depth=2
	s_sleep 1
	s_trap 2
	ds_load_b64 v[0:1], v0
	s_wait_dscnt 0x0
	s_and_not1_b32 s26, s26, exec_lo
	v_cmp_ge_u64_e32 vcc_lo, v[0:1], v[78:79]
	s_or_not1_b32 s40, vcc_lo, exec_lo
	s_branch .LBB6_9556
.LBB6_9561:                             ;   in Loop: Header=BB6_4821 Depth=1
	s_or_b32 exec_lo, exec_lo, s24
	s_and_saveexec_b32 s24, s25
	s_delay_alu instid0(SALU_CYCLE_1)
	s_xor_b32 s24, exec_lo, s24
	s_cbranch_execz .LBB6_9563
; %bb.9562:                             ;   in Loop: Header=BB6_4821 Depth=1
	v_mov_b32_e32 v0, 1
	ds_store_b32 v0, v0
	s_trap 2
.LBB6_9563:                             ;   in Loop: Header=BB6_4821 Depth=1
	s_or_b32 exec_lo, exec_lo, s23
	;;#ASMSTART
	s_wakeup
	;;#ASMEND
.LBB6_9564:                             ;   in Loop: Header=BB6_4821 Depth=1
	s_or_b32 exec_lo, exec_lo, s22
.LBB6_9565:                             ;   in Loop: Header=BB6_4821 Depth=1
	s_and_not1_saveexec_b32 s21, s21
	s_cbranch_execz .LBB6_9567
; %bb.9566:                             ;   in Loop: Header=BB6_4821 Depth=1
	global_wb scope:SCOPE_DEV
	s_wait_storecnt 0x0
	s_wait_loadcnt_dscnt 0x0
	global_inv scope:SCOPE_DEV
	s_barrier_signal -1
	s_barrier_wait -1
.LBB6_9567:                             ;   in Loop: Header=BB6_4821 Depth=1
	s_or_b32 exec_lo, exec_lo, s21
.LBB6_9568:                             ;   in Loop: Header=BB6_4821 Depth=1
	s_delay_alu instid0(SALU_CYCLE_1)
	s_or_b32 exec_lo, exec_lo, s7
	s_trap 2
	ds_load_b32 v0, v0
	s_wait_loadcnt 0x0
	v_sub_nc_u32_e32 v1, v106, v4
	s_wait_dscnt 0x0
	v_readfirstlane_b32 s7, v0
	v_and_b32_e32 v0, 16, v59
	s_delay_alu instid0(VALU_DEP_3) | instskip(SKIP_1) | instid1(VALU_DEP_2)
	v_min_i32_e32 v1, v107, v1
	s_cmp_eq_u32 s7, 0
	v_cmp_ne_u32_e64 s7, 0, v0
	s_delay_alu instid0(VALU_DEP_2) | instskip(SKIP_1) | instid1(SALU_CYCLE_1)
	v_cmp_lt_i32_e32 vcc_lo, 0, v1
	s_cselect_b32 s21, -1, 0
	s_and_b32 s21, vcc_lo, s21
	s_delay_alu instid0(SALU_CYCLE_1) | instskip(NEXT) | instid1(SALU_CYCLE_1)
	s_and_b32 s21, s7, s21
	s_and_saveexec_b32 s7, s21
	s_cbranch_execz .LBB6_9570
; %bb.9569:                             ;   in Loop: Header=BB6_4821 Depth=1
	global_wb scope:SCOPE_SYS
	s_wait_storecnt 0x0
	global_inv scope:SCOPE_SYS
.LBB6_9570:                             ;   in Loop: Header=BB6_4821 Depth=1
	s_or_b32 exec_lo, exec_lo, s7
	v_and_b32_e32 v0, 32, v59
	s_mov_b32 s7, exec_lo
	s_delay_alu instid0(VALU_DEP_1)
	v_cmpx_ne_u32_e32 0, v0
	s_cbranch_execnz .LBB6_9571
; %bb.9818:                             ;   in Loop: Header=BB6_4821 Depth=1
	s_add_pc_i64 .LBB6_4819-.Lpost_addpc18
.Lpost_addpc18:
.LBB6_9571:                             ;   in Loop: Header=BB6_4821 Depth=1
	v_add_nc_u64_e32 v[62:63], 1, v[62:63]
	global_wb scope:SCOPE_SYS
	s_wait_loadcnt 0x0
	s_wait_storecnt 0x0
	flat_store_b64 v[102:103], v[62:63] scope:SCOPE_SYS
; %bb.9790:                             ;   in Loop: Header=BB6_4821 Depth=1
	s_add_pc_i64 .LBB6_4819-.Lpost_addpc4
.Lpost_addpc4:
.LBB6_9572:
	s_or_b32 exec_lo, exec_lo, s18
.LBB6_9573:
	s_delay_alu instid0(SALU_CYCLE_1)
	s_or_b32 exec_lo, exec_lo, s17
.LBB6_9574:
	s_delay_alu instid0(SALU_CYCLE_1)
	s_or_b32 exec_lo, exec_lo, s11
                                        ; implicit-def: $vgpr100_vgpr101
                                        ; implicit-def: $vgpr112_vgpr113
                                        ; implicit-def: $vgpr88_vgpr89
                                        ; implicit-def: $vgpr116
                                        ; implicit-def: $vgpr76_vgpr77
                                        ; implicit-def: $vgpr46_vgpr47
                                        ; implicit-def: $vgpr102_vgpr103
                                        ; implicit-def: $vgpr58
                                        ; implicit-def: $vgpr14
                                        ; implicit-def: $vgpr114_vgpr115
.LBB6_9575:
	s_and_not1_saveexec_b32 s11, s16
	s_cbranch_execz .LBB6_9749
; %bb.9576:
	v_mov_b64_e32 v[78:79], 0
	s_mov_b32 s12, exec_lo
	v_cmpx_ne_u64_e32 0, v[112:113]
	s_cbranch_execz .LBB6_9748
; %bb.9577:
	s_wait_dscnt 0x1
	v_dual_ashrrev_i32 v0, 31, v58 :: v_dual_ashrrev_i32 v117, 31, v116
	s_ashr_i32 s4, s15, 31
	v_cmp_eq_u32_e32 vcc_lo, 32, v56
	s_lshr_b32 s4, s4, 24
	s_delay_alu instid0(VALU_DEP_2) | instskip(SKIP_3) | instid1(VALU_DEP_3)
	v_dual_lshrrev_b32 v0, 27, v0 :: v_dual_bitop2_b32 v1, 31, v57 bitop3:0x40
	s_add_co_i32 s15, s15, s4
	v_cmp_ne_u64_e64 s7, 0, v[88:89]
	v_mov_b64_e32 v[16:17], 0
	v_dual_mov_b32 v3, 0 :: v_dual_add_nc_u32 v2, v58, v0
	v_lshrrev_b32_e32 v0, 5, v56
	v_cmp_eq_u32_e64 s4, 0, v1
	v_mov_b64_e32 v[78:79], 0
	s_delay_alu instid0(VALU_DEP_4) | instskip(SKIP_3) | instid1(VALU_DEP_3)
	v_and_b32_e32 v5, 0xffffffe0, v2
	v_dual_mov_b32 v1, v3 :: v_dual_ashrrev_i32 v30, 5, v2
	v_cmp_ge_i32_e64 s1, v58, v56
	v_cmp_ne_u32_e64 s2, 32, v56
	v_dual_sub_nc_u32 v31, v58, v5 :: v_dual_lshlrev_b32 v2, 12, v30
	v_lshlrev_b32_e32 v6, 12, v0
	v_cmp_ne_u32_e64 s3, v56, v74
	v_and_b32_e32 v4, 0x1fe0, v56
	s_delay_alu instid0(VALU_DEP_4)
	v_cmp_lt_i32_e64 s6, v31, v14
	v_lshl_add_u32 v10, v31, 4, v2
	v_mov_b64_e32 v[14:15], 0
	s_wait_dscnt 0x0
	v_dual_mov_b32 v7, v3 :: v_dual_lshlrev_b32 v8, 9, v0
	v_dual_mov_b32 v9, v3 :: v_dual_lshlrev_b32 v12, 10, v0
	v_dual_mov_b32 v13, v3 :: v_dual_ashrrev_i32 v11, 31, v10
	v_cmp_gt_i32_e64 s5, 1, v31
	v_dual_mov_b32 v5, v3 :: v_dual_mov_b32 v32, 1
	s_ashr_i32 s15, s15, 8
	s_mov_b32 s13, 0
	s_xor_b32 s16, vcc_lo, -1
	s_trap 2
	s_branch .LBB6_9581
.LBB6_9578:                             ;   in Loop: Header=BB6_9581 Depth=1
	s_wait_xcnt 0x0
	s_or_b32 exec_lo, exec_lo, s17
	v_add_nc_u64_e32 v[62:63], 1, v[62:63]
	global_wb scope:SCOPE_SYS
	s_wait_storecnt 0x0
	s_wait_loadcnt_dscnt 0x0
	flat_store_b64 v[102:103], v[62:63] scope:SCOPE_SYS
.LBB6_9579:                             ;   in Loop: Header=BB6_9581 Depth=1
	s_wait_xcnt 0x0
	s_or_b32 exec_lo, exec_lo, s10
.LBB6_9580:                             ;   in Loop: Header=BB6_9581 Depth=1
	s_delay_alu instid0(SALU_CYCLE_1) | instskip(SKIP_1) | instid1(VALU_DEP_1)
	s_or_b32 exec_lo, exec_lo, s18
	v_add_nc_u64_e32 v[16:17], v[16:17], v[114:115]
	v_cmp_ge_u64_e32 vcc_lo, v[16:17], v[112:113]
	s_or_b32 s13, vcc_lo, s13
	s_delay_alu instid0(SALU_CYCLE_1)
	s_and_not1_b32 exec_lo, exec_lo, s13
	s_cbranch_execz .LBB6_9747
.LBB6_9581:                             ; =>This Loop Header: Depth=1
                                        ;     Child Loop BB6_9590 Depth 2
                                        ;     Child Loop BB6_9614 Depth 2
	;; [unrolled: 1-line block ×10, first 2 shown]
	v_sub_nc_u64_e32 v[18:19], v[112:113], v[16:17]
	s_delay_alu instid0(VALU_DEP_1) | instskip(NEXT) | instid1(VALU_DEP_1)
	v_min_u64 v[18:19], v[114:115], v[18:19]
	v_add_nc_u32_e32 v2, 15, v18
	s_delay_alu instid0(VALU_DEP_2) | instskip(NEXT) | instid1(VALU_DEP_2)
	v_cmp_eq_u64_e32 vcc_lo, 0, v[18:19]
	v_and_b32_e32 v2, 0x7ffffff0, v2
	s_or_b32 s17, s1, vcc_lo
	s_delay_alu instid0(SALU_CYCLE_1) | instskip(NEXT) | instid1(VALU_DEP_1)
	s_xor_b32 s10, s17, -1
	v_dual_mov_b32 v2, 0 :: v_dual_max_i32 v20, s15, v2
	s_and_saveexec_b32 s18, s10
	s_cbranch_execz .LBB6_9700
; %bb.9582:                             ;   in Loop: Header=BB6_9581 Depth=1
	s_and_saveexec_b32 s10, s0
	s_cbranch_execz .LBB6_9584
; %bb.9583:                             ;   in Loop: Header=BB6_9581 Depth=1
	s_trap 2
	ds_load_b64 v[22:23], v0
	s_wait_dscnt 0x0
	v_add_nc_u64_e32 v[22:23], v[22:23], v[100:101]
	s_delay_alu instid0(VALU_DEP_1)
	v_add_nc_u64_e32 v[22:23], v[22:23], v[16:17]
	ds_store_b64 v0, v[22:23]
	ds_store_b64 v0, v[14:15]
.LBB6_9584:                             ;   in Loop: Header=BB6_9581 Depth=1
	s_or_b32 exec_lo, exec_lo, s10
	v_and_b32_e32 v2, 8, v59
	v_min_u32_e32 v20, v20, v18
	s_mov_b32 s19, exec_lo
	s_delay_alu instid0(VALU_DEP_2)
	v_cmpx_ne_u32_e32 0, v2
	s_cbranch_execz .LBB6_9606
; %bb.9585:                             ;   in Loop: Header=BB6_9581 Depth=1
	s_wait_loadcnt 0x0
	v_add_nc_u64_e32 v[24:25], 8, v[76:77]
	v_add_nc_u64_e32 v[22:23], 1, v[62:63]
	s_mov_b32 s20, exec_lo
	s_delay_alu instid0(VALU_DEP_1)
	v_cmpx_lt_u64_e64 v[24:25], v[22:23]
	s_cbranch_execz .LBB6_9597
; %bb.9586:                             ;   in Loop: Header=BB6_9581 Depth=1
	v_and_b32_e32 v2, 64, v59
	s_mov_b32 s21, 0
	s_mov_b32 s25, 0
                                        ; implicit-def: $sgpr22
                                        ; implicit-def: $sgpr23
                                        ; implicit-def: $sgpr24
	s_delay_alu instid0(VALU_DEP_1)
	v_cmp_eq_u32_e32 vcc_lo, 0, v2
	s_branch .LBB6_9590
.LBB6_9587:                             ;   in Loop: Header=BB6_9590 Depth=2
	s_wait_loadcnt_dscnt 0x0
	v_add_nc_u64_e32 v[24:25], 8, v[76:77]
	s_or_b32 s28, s28, exec_lo
	s_delay_alu instid0(VALU_DEP_1)
	v_cmp_ge_u64_e64 s10, v[24:25], v[22:23]
	s_or_not1_b32 s27, s10, exec_lo
.LBB6_9588:                             ;   in Loop: Header=BB6_9590 Depth=2
	s_or_b32 exec_lo, exec_lo, s40
	s_delay_alu instid0(SALU_CYCLE_1)
	s_and_not1_b32 s10, s24, exec_lo
	s_and_b32 s24, s28, exec_lo
	s_and_not1_b32 s23, s23, exec_lo
	s_and_b32 s27, s27, exec_lo
	s_or_b32 s24, s10, s24
	s_or_b32 s23, s23, s27
.LBB6_9589:                             ;   in Loop: Header=BB6_9590 Depth=2
	s_or_b32 exec_lo, exec_lo, s26
	s_delay_alu instid0(SALU_CYCLE_1) | instskip(NEXT) | instid1(SALU_CYCLE_1)
	s_and_b32 s10, exec_lo, s23
	s_or_b32 s21, s10, s21
	s_and_not1_b32 s10, s22, exec_lo
	s_and_b32 s22, s24, exec_lo
	s_delay_alu instid0(SALU_CYCLE_1)
	s_or_b32 s22, s10, s22
	s_and_not1_b32 exec_lo, exec_lo, s21
	s_cbranch_execz .LBB6_9594
.LBB6_9590:                             ;   Parent Loop BB6_9581 Depth=1
                                        ; =>  This Inner Loop Header: Depth=2
	s_sleep 1
	s_wait_loadcnt_dscnt 0x0
	flat_load_b64 v[76:77], v[102:103] scope:SCOPE_SYS
	s_or_b32 s24, s24, exec_lo
	s_or_b32 s23, s23, exec_lo
                                        ; implicit-def: $vgpr2
	s_wait_xcnt 0x0
	s_and_saveexec_b32 s26, vcc_lo
	s_cbranch_execz .LBB6_9589
; %bb.9591:                             ;   in Loop: Header=BB6_9590 Depth=2
	s_cmp_lt_i32 s25, 0x270f
	s_mov_b32 s27, -1
	s_cselect_b32 s29, -1, 0
	s_cmp_gt_i32 s25, 0x270e
	s_cbranch_scc0 .LBB6_9593
; %bb.9592:                             ;   in Loop: Header=BB6_9590 Depth=2
	s_trap 2
	ds_load_b64 v[24:25], v0
	s_and_not1_b32 s25, s29, exec_lo
	s_mov_b32 s28, 0
	s_wait_storecnt 0x0
	s_wait_loadcnt_dscnt 0x0
	flat_load_b32 v2, v[24:25] scope:SCOPE_SYS
	s_wait_loadcnt_dscnt 0x0
	global_inv scope:SCOPE_SYS
	v_cmp_eq_u32_e64 s10, 0, v2
	s_and_b32 s10, s10, exec_lo
	s_delay_alu instid0(SALU_CYCLE_1)
	s_or_b32 s29, s25, s10
	s_mov_b32 s25, 0
	s_and_saveexec_b32 s40, s29
	s_cbranch_execz .LBB6_9588
	s_branch .LBB6_9587
.LBB6_9593:                             ;   in Loop: Header=BB6_9590 Depth=2
	s_add_co_i32 s25, s25, 1
	s_mov_b32 s28, -1
                                        ; implicit-def: $vgpr2
	s_and_saveexec_b32 s40, s29
	s_cbranch_execz .LBB6_9588
	s_branch .LBB6_9587
.LBB6_9594:                             ;   in Loop: Header=BB6_9581 Depth=1
	s_or_b32 exec_lo, exec_lo, s21
	s_xor_b32 s10, s22, -1
	s_delay_alu instid0(SALU_CYCLE_1) | instskip(NEXT) | instid1(SALU_CYCLE_1)
	s_and_saveexec_b32 s21, s10
	s_xor_b32 s10, exec_lo, s21
	s_cbranch_execz .LBB6_9596
; %bb.9595:                             ;   in Loop: Header=BB6_9581 Depth=1
	v_or_b32_e32 v59, 64, v59
	s_wait_storecnt 0x0
	s_wait_loadcnt_dscnt 0x0
	ds_store_b32 v0, v2
	s_trap 2
.LBB6_9596:                             ;   in Loop: Header=BB6_9581 Depth=1
	s_or_b32 exec_lo, exec_lo, s10
.LBB6_9597:                             ;   in Loop: Header=BB6_9581 Depth=1
	s_delay_alu instid0(SALU_CYCLE_1) | instskip(SKIP_3) | instid1(VALU_DEP_1)
	s_or_b32 exec_lo, exec_lo, s20
	v_and_b32_e32 v2, 0x100, v59
	s_mov_b32 s10, -1
	;;#ASMSTART
	s_wakeup
	;;#ASMEND
                                        ; implicit-def: $vgpr24_vgpr25
	v_cmp_ne_u32_e32 vcc_lo, 0, v2
	v_and_b32_e32 v2, 7, v62
	s_and_saveexec_b32 s20, vcc_lo
	s_cbranch_execz .LBB6_9601
; %bb.9598:                             ;   in Loop: Header=BB6_9581 Depth=1
	s_delay_alu instid0(VALU_DEP_1)
	v_mad_nc_u64_u32 v[26:27], v2, 24, v[60:61]
	v_mov_b32_e32 v21, v3
	s_mov_b32 s21, exec_lo
                                        ; implicit-def: $vgpr24_vgpr25
	s_clause 0x1
	flat_load_b32 v19, v[26:27]
	flat_store_b64 v[26:27], v[20:21] offset:8
	s_wait_loadcnt_dscnt 0x1
	v_cmp_ne_u32_e32 vcc_lo, 1, v19
	s_wait_xcnt 0x0
	v_cmpx_eq_u32_e32 1, v19
	s_cbranch_execz .LBB6_9600
; %bb.9599:                             ;   in Loop: Header=BB6_9581 Depth=1
	flat_load_b32 v24, v[26:27] offset:4 scope:SCOPE_SYS
	s_wait_loadcnt_dscnt 0x0
	v_ashrrev_i32_e32 v25, 31, v24
.LBB6_9600:                             ;   in Loop: Header=BB6_9581 Depth=1
	s_wait_xcnt 0x0
	s_or_b32 exec_lo, exec_lo, s21
	s_delay_alu instid0(SALU_CYCLE_1)
	s_or_not1_b32 s10, vcc_lo, exec_lo
.LBB6_9601:                             ;   in Loop: Header=BB6_9581 Depth=1
	s_or_b32 exec_lo, exec_lo, s20
	s_and_saveexec_b32 s20, s10
; %bb.9602:                             ;   in Loop: Header=BB6_9581 Depth=1
	v_mul_u64_e32 v[24:25], v[2:3], v[116:117]
; %bb.9603:                             ;   in Loop: Header=BB6_9581 Depth=1
	s_or_b32 exec_lo, exec_lo, s20
	s_delay_alu instid0(VALU_DEP_1)
	v_add_nc_u64_e32 v[24:25], v[46:47], v[24:25]
	v_and_b32_e32 v2, 0x2000, v59
	s_mov_b32 s10, exec_lo
	ds_store_b64 v0, v[24:25] offset:784
	v_cmpx_ne_u32_e32 0, v2
	s_cbranch_execz .LBB6_9605
; %bb.9604:                             ;   in Loop: Header=BB6_9581 Depth=1
	ds_load_b64 v[24:25], v0 offset:872
	s_wait_dscnt 0x0
	v_add_nc_u64_e32 v[24:25], 1, v[24:25]
	ds_store_b64 v0, v[24:25] offset:872
.LBB6_9605:                             ;   in Loop: Header=BB6_9581 Depth=1
	s_or_b32 exec_lo, exec_lo, s10
	v_mov_b64_e32 v[62:63], v[22:23]
.LBB6_9606:                             ;   in Loop: Header=BB6_9581 Depth=1
	s_or_b32 exec_lo, exec_lo, s19
	s_and_saveexec_b32 s10, s2
	s_cbranch_execz .LBB6_9625
; %bb.9607:                             ;   in Loop: Header=BB6_9581 Depth=1
	s_and_saveexec_b32 s19, s3
	s_delay_alu instid0(SALU_CYCLE_1)
	s_xor_b32 s19, exec_lo, s19
	s_cbranch_execz .LBB6_9622
; %bb.9608:                             ;   in Loop: Header=BB6_9581 Depth=1
	s_and_saveexec_b32 s20, s4
	s_cbranch_execz .LBB6_9621
; %bb.9609:                             ;   in Loop: Header=BB6_9581 Depth=1
	s_mov_b32 s22, exec_lo
	s_mov_b32 s21, exec_lo
	v_mbcnt_lo_u32_b32 v2, s22, 0
	global_wb scope:SCOPE_DEV
	s_wait_storecnt 0x0
	s_wait_loadcnt_dscnt 0x0
	global_inv scope:SCOPE_DEV
	v_cmpx_eq_u32_e32 0, v2
	s_cbranch_execz .LBB6_9611
; %bb.9610:                             ;   in Loop: Header=BB6_9581 Depth=1
	s_bcnt1_i32_b32 s22, s22
	s_delay_alu instid0(SALU_CYCLE_1)
	v_mov_b32_e32 v2, s22
	s_wait_loadcnt 0x0
	ds_add_u64 v0, v[2:3]
	s_trap 2
.LBB6_9611:                             ;   in Loop: Header=BB6_9581 Depth=1
	s_or_b32 exec_lo, exec_lo, s21
	s_trap 2
	ds_load_b64 v[22:23], v0
	s_wait_dscnt 0x0
	v_add_nc_u64_e32 v[78:79], v[78:79], v[0:1]
	s_mov_b32 s21, exec_lo
	s_delay_alu instid0(VALU_DEP_1)
	v_cmpx_lt_u64_e64 v[22:23], v[78:79]
	s_cbranch_execz .LBB6_9620
; %bb.9612:                             ;   in Loop: Header=BB6_9581 Depth=1
	s_mov_b32 s22, 0
	s_mov_b32 s25, 0
                                        ; implicit-def: $sgpr23
                                        ; implicit-def: $sgpr24
	s_branch .LBB6_9614
.LBB6_9613:                             ;   in Loop: Header=BB6_9614 Depth=2
	s_or_b32 exec_lo, exec_lo, s27
	s_delay_alu instid0(SALU_CYCLE_1) | instskip(NEXT) | instid1(SALU_CYCLE_1)
	s_and_b32 s26, exec_lo, s28
	s_or_b32 s22, s26, s22
	s_and_not1_b32 s23, s23, exec_lo
	s_and_b32 s26, s24, exec_lo
	s_delay_alu instid0(SALU_CYCLE_1)
	s_or_b32 s23, s23, s26
	s_and_not1_b32 exec_lo, exec_lo, s22
	s_cbranch_execz .LBB6_9618
.LBB6_9614:                             ;   Parent Loop BB6_9581 Depth=1
                                        ; =>  This Inner Loop Header: Depth=2
	s_add_co_i32 s25, s25, 1
	s_delay_alu instid0(SALU_CYCLE_1) | instskip(SKIP_1) | instid1(SALU_CYCLE_1)
	s_cmp_lg_u32 s25, 0x2710
	s_cselect_b32 s26, -1, 0
	s_and_b32 vcc_lo, exec_lo, s26
	s_cbranch_vccz .LBB6_9616
; %bb.9615:                             ;   in Loop: Header=BB6_9614 Depth=2
	s_mov_b32 s28, -1
	s_or_b32 s24, s24, exec_lo
	s_and_saveexec_b32 s27, s26
	s_cbranch_execz .LBB6_9613
	s_branch .LBB6_9617
.LBB6_9616:                             ;   in Loop: Header=BB6_9614 Depth=2
	s_trap 2
	ds_load_b64 v[22:23], v0
	s_and_not1_b32 s26, s26, exec_lo
	s_mov_b32 s25, 0
	s_wait_loadcnt_dscnt 0x0
	flat_load_b32 v2, v[22:23] scope:SCOPE_SYS
	s_wait_loadcnt_dscnt 0x0
	global_inv scope:SCOPE_SYS
	v_cmp_eq_u32_e32 vcc_lo, 0, v2
	s_and_b32 s27, vcc_lo, exec_lo
	s_delay_alu instid0(SALU_CYCLE_1)
	s_or_b32 s26, s26, s27
	s_mov_b32 s28, -1
	s_or_b32 s24, s24, exec_lo
	s_and_saveexec_b32 s27, s26
	s_cbranch_execz .LBB6_9613
.LBB6_9617:                             ;   in Loop: Header=BB6_9614 Depth=2
	s_sleep 1
	s_trap 2
	ds_load_b64 v[22:23], v0
	s_wait_dscnt 0x0
	s_and_not1_b32 s24, s24, exec_lo
	v_cmp_ge_u64_e32 vcc_lo, v[22:23], v[78:79]
	s_or_not1_b32 s28, vcc_lo, exec_lo
	s_branch .LBB6_9613
.LBB6_9618:                             ;   in Loop: Header=BB6_9581 Depth=1
	s_or_b32 exec_lo, exec_lo, s22
	s_and_saveexec_b32 s22, s23
	s_delay_alu instid0(SALU_CYCLE_1)
	s_xor_b32 s22, exec_lo, s22
	s_cbranch_execz .LBB6_9620
; %bb.9619:                             ;   in Loop: Header=BB6_9581 Depth=1
	ds_store_b32 v0, v32
	s_trap 2
.LBB6_9620:                             ;   in Loop: Header=BB6_9581 Depth=1
	s_or_b32 exec_lo, exec_lo, s21
	;;#ASMSTART
	s_wakeup
	;;#ASMEND
.LBB6_9621:                             ;   in Loop: Header=BB6_9581 Depth=1
	s_or_b32 exec_lo, exec_lo, s20
.LBB6_9622:                             ;   in Loop: Header=BB6_9581 Depth=1
	s_and_not1_saveexec_b32 s19, s19
	s_cbranch_execz .LBB6_9624
; %bb.9623:                             ;   in Loop: Header=BB6_9581 Depth=1
	global_wb scope:SCOPE_DEV
	s_wait_storecnt 0x0
	s_wait_loadcnt_dscnt 0x0
	global_inv scope:SCOPE_DEV
	s_barrier_signal -1
	s_barrier_wait -1
.LBB6_9624:                             ;   in Loop: Header=BB6_9581 Depth=1
	s_or_b32 exec_lo, exec_lo, s19
.LBB6_9625:                             ;   in Loop: Header=BB6_9581 Depth=1
	s_delay_alu instid0(SALU_CYCLE_1) | instskip(SKIP_3) | instid1(VALU_DEP_1)
	s_or_b32 exec_lo, exec_lo, s10
	s_trap 2
	ds_load_b32 v19, v0
	v_and_b32_e32 v2, 0x4000, v59
	v_cmp_ne_u32_e32 vcc_lo, 0, v2
	s_and_b32 s19, s16, vcc_lo
	s_delay_alu instid0(SALU_CYCLE_1)
	s_and_saveexec_b32 s10, s19
	s_cbranch_execz .LBB6_9644
; %bb.9626:                             ;   in Loop: Header=BB6_9581 Depth=1
	s_and_saveexec_b32 s19, s3
	s_delay_alu instid0(SALU_CYCLE_1)
	s_xor_b32 s19, exec_lo, s19
	s_cbranch_execz .LBB6_9641
; %bb.9627:                             ;   in Loop: Header=BB6_9581 Depth=1
	s_and_saveexec_b32 s20, s4
	s_cbranch_execz .LBB6_9640
; %bb.9628:                             ;   in Loop: Header=BB6_9581 Depth=1
	s_mov_b32 s22, exec_lo
	s_mov_b32 s21, exec_lo
	v_mbcnt_lo_u32_b32 v2, s22, 0
	global_wb scope:SCOPE_DEV
	s_wait_storecnt 0x0
	s_wait_loadcnt_dscnt 0x0
	global_inv scope:SCOPE_DEV
	v_cmpx_eq_u32_e32 0, v2
	s_cbranch_execz .LBB6_9630
; %bb.9629:                             ;   in Loop: Header=BB6_9581 Depth=1
	s_bcnt1_i32_b32 s22, s22
	s_delay_alu instid0(SALU_CYCLE_1)
	v_mov_b32_e32 v2, s22
	s_wait_loadcnt 0x0
	ds_add_u64 v0, v[2:3]
	s_trap 2
.LBB6_9630:                             ;   in Loop: Header=BB6_9581 Depth=1
	s_or_b32 exec_lo, exec_lo, s21
	s_trap 2
	ds_load_b64 v[22:23], v0
	s_wait_dscnt 0x0
	v_add_nc_u64_e32 v[78:79], v[78:79], v[0:1]
	s_mov_b32 s21, exec_lo
	s_delay_alu instid0(VALU_DEP_1)
	v_cmpx_lt_u64_e64 v[22:23], v[78:79]
	s_cbranch_execz .LBB6_9639
; %bb.9631:                             ;   in Loop: Header=BB6_9581 Depth=1
	s_mov_b32 s22, 0
	s_mov_b32 s25, 0
                                        ; implicit-def: $sgpr23
                                        ; implicit-def: $sgpr24
	s_branch .LBB6_9633
.LBB6_9632:                             ;   in Loop: Header=BB6_9633 Depth=2
	s_or_b32 exec_lo, exec_lo, s27
	s_delay_alu instid0(SALU_CYCLE_1) | instskip(NEXT) | instid1(SALU_CYCLE_1)
	s_and_b32 s26, exec_lo, s28
	s_or_b32 s22, s26, s22
	s_and_not1_b32 s23, s23, exec_lo
	s_and_b32 s26, s24, exec_lo
	s_delay_alu instid0(SALU_CYCLE_1)
	s_or_b32 s23, s23, s26
	s_and_not1_b32 exec_lo, exec_lo, s22
	s_cbranch_execz .LBB6_9637
.LBB6_9633:                             ;   Parent Loop BB6_9581 Depth=1
                                        ; =>  This Inner Loop Header: Depth=2
	s_add_co_i32 s25, s25, 1
	s_delay_alu instid0(SALU_CYCLE_1) | instskip(SKIP_1) | instid1(SALU_CYCLE_1)
	s_cmp_lg_u32 s25, 0x2710
	s_cselect_b32 s26, -1, 0
	s_and_b32 vcc_lo, exec_lo, s26
	s_cbranch_vccz .LBB6_9635
; %bb.9634:                             ;   in Loop: Header=BB6_9633 Depth=2
	s_mov_b32 s28, -1
	s_or_b32 s24, s24, exec_lo
	s_and_saveexec_b32 s27, s26
	s_cbranch_execz .LBB6_9632
	s_branch .LBB6_9636
.LBB6_9635:                             ;   in Loop: Header=BB6_9633 Depth=2
	s_trap 2
	ds_load_b64 v[22:23], v0
	s_and_not1_b32 s26, s26, exec_lo
	s_mov_b32 s25, 0
	s_wait_loadcnt_dscnt 0x0
	flat_load_b32 v2, v[22:23] scope:SCOPE_SYS
	s_wait_loadcnt_dscnt 0x0
	global_inv scope:SCOPE_SYS
	v_cmp_eq_u32_e32 vcc_lo, 0, v2
	s_and_b32 s27, vcc_lo, exec_lo
	s_delay_alu instid0(SALU_CYCLE_1)
	s_or_b32 s26, s26, s27
	s_mov_b32 s28, -1
	s_or_b32 s24, s24, exec_lo
	s_and_saveexec_b32 s27, s26
	s_cbranch_execz .LBB6_9632
.LBB6_9636:                             ;   in Loop: Header=BB6_9633 Depth=2
	s_sleep 1
	s_trap 2
	ds_load_b64 v[22:23], v0
	s_wait_dscnt 0x0
	s_and_not1_b32 s24, s24, exec_lo
	v_cmp_ge_u64_e32 vcc_lo, v[22:23], v[78:79]
	s_or_not1_b32 s28, vcc_lo, exec_lo
	s_branch .LBB6_9632
.LBB6_9637:                             ;   in Loop: Header=BB6_9581 Depth=1
	s_or_b32 exec_lo, exec_lo, s22
	s_and_saveexec_b32 s22, s23
	s_delay_alu instid0(SALU_CYCLE_1)
	s_xor_b32 s22, exec_lo, s22
	s_cbranch_execz .LBB6_9639
; %bb.9638:                             ;   in Loop: Header=BB6_9581 Depth=1
	ds_store_b32 v0, v32
	s_trap 2
.LBB6_9639:                             ;   in Loop: Header=BB6_9581 Depth=1
	s_or_b32 exec_lo, exec_lo, s21
	;;#ASMSTART
	s_wakeup
	;;#ASMEND
.LBB6_9640:                             ;   in Loop: Header=BB6_9581 Depth=1
	s_or_b32 exec_lo, exec_lo, s20
.LBB6_9641:                             ;   in Loop: Header=BB6_9581 Depth=1
	s_and_not1_saveexec_b32 s19, s19
	s_cbranch_execz .LBB6_9643
; %bb.9642:                             ;   in Loop: Header=BB6_9581 Depth=1
	global_wb scope:SCOPE_DEV
	s_wait_storecnt 0x0
	s_wait_loadcnt_dscnt 0x0
	global_inv scope:SCOPE_DEV
	s_barrier_signal -1
	s_barrier_wait -1
.LBB6_9643:                             ;   in Loop: Header=BB6_9581 Depth=1
	s_or_b32 exec_lo, exec_lo, s19
.LBB6_9644:                             ;   in Loop: Header=BB6_9581 Depth=1
	s_delay_alu instid0(SALU_CYCLE_1)
	s_or_b32 exec_lo, exec_lo, s10
	s_trap 2
	ds_load_b64 v[22:23], v0
	s_wait_dscnt 0x0
	v_cmp_eq_u64_e32 vcc_lo, 0, v[22:23]
	s_cbranch_vccnz .LBB6_9652
; %bb.9645:                             ;   in Loop: Header=BB6_9581 Depth=1
	s_trap 2
	ds_load_b64 v[24:25], v0
	s_wait_dscnt 0x0
	v_cmp_eq_u64_e32 vcc_lo, 0, v[24:25]
	s_cbranch_vccnz .LBB6_9652
; %bb.9646:                             ;   in Loop: Header=BB6_9581 Depth=1
	s_mov_b32 s10, -1
	s_and_saveexec_b32 s19, s5
	s_cbranch_execz .LBB6_9648
; %bb.9647:                             ;   in Loop: Header=BB6_9581 Depth=1
	ds_load_b32 v2, v0 offset:720
	s_wait_dscnt 0x0
	v_and_b32_e32 v2, 15, v2
	s_delay_alu instid0(VALU_DEP_1)
	v_cmp_eq_u32_e32 vcc_lo, 0, v2
	s_or_not1_b32 s10, vcc_lo, exec_lo
.LBB6_9648:                             ;   in Loop: Header=BB6_9581 Depth=1
	s_or_b32 exec_lo, exec_lo, s19
	s_and_saveexec_b32 s19, s6
	s_cbranch_execz .LBB6_9650
; %bb.9649:                             ;   in Loop: Header=BB6_9581 Depth=1
	ds_load_b32 v2, v0 offset:784
	s_wait_dscnt 0x0
	v_and_b32_e32 v2, 15, v2
	s_delay_alu instid0(VALU_DEP_1) | instskip(SKIP_3) | instid1(SALU_CYCLE_1)
	v_cmp_eq_u32_e32 vcc_lo, 0, v2
	s_and_b32 s20, s10, vcc_lo
	s_and_not1_b32 s10, s10, exec_lo
	s_and_b32 s20, s20, exec_lo
	s_or_b32 s10, s10, s20
.LBB6_9650:                             ;   in Loop: Header=BB6_9581 Depth=1
	s_or_b32 exec_lo, exec_lo, s19
	v_cmp_eq_u32_e32 vcc_lo, 0, v19
	s_xor_b32 s10, s10, -1
	v_mov_b32_e32 v26, v30
	v_cndmask_b32_e64 v21, 0, 1, s10
	s_mov_b32 s20, -1
	v_dual_cndmask_b32 v2, 0, v20 :: v_dual_mov_b32 v19, 0
	v_mov_b32_e32 v28, v58
	s_delay_alu instid0(VALU_DEP_3) | instskip(NEXT) | instid1(VALU_DEP_3)
	v_cmp_ne_u32_e32 vcc_lo, 0, v21
	v_mov_b32_e32 v21, v2
	s_cbranch_vccz .LBB6_9653
; %bb.9651:                             ;   in Loop: Header=BB6_9581 Depth=1
	s_and_saveexec_b32 s10, s20
	s_cbranch_execnz .LBB6_9666
	s_branch .LBB6_9674
.LBB6_9652:                             ;   in Loop: Header=BB6_9581 Depth=1
	s_mov_b32 s10, 0
	s_and_saveexec_b32 s19, s2
	s_cbranch_execnz .LBB6_9675
	s_branch .LBB6_9693
.LBB6_9653:                             ;   in Loop: Header=BB6_9581 Depth=1
	v_lshrrev_b32_e32 v19, 12, v2
	s_mov_b32 s10, exec_lo
	s_delay_alu instid0(VALU_DEP_1) | instskip(NEXT) | instid1(VALU_DEP_1)
	v_sub_nc_u32_e32 v33, v19, v30
	v_cmpx_lt_i32_e32 0, v33
	s_cbranch_execz .LBB6_9657
; %bb.9654:                             ;   in Loop: Header=BB6_9581 Depth=1
	v_mov_b64_e32 v[26:27], v[24:25]
	v_mov_b64_e32 v[28:29], v[22:23]
	s_mov_b32 s19, 0
.LBB6_9655:                             ;   Parent Loop BB6_9581 Depth=1
                                        ; =>  This Inner Loop Header: Depth=2
	s_delay_alu instid0(VALU_DEP_1)
	v_add_nc_u64_e32 v[38:39], v[10:11], v[28:29]
	v_sub_nc_u32_e32 v33, v33, v0
	v_add_nc_u64_e32 v[28:29], v[28:29], v[6:7]
	s_clause 0x7
	global_load_b128 v[34:37], v[38:39], off th:TH_LOAD_NT
	global_load_b128 v[48:51], v[38:39], off offset:512 th:TH_LOAD_NT
	global_load_b128 v[52:55], v[38:39], off offset:1024 th:TH_LOAD_NT
	;; [unrolled: 1-line block ×7, first 2 shown]
	s_wait_xcnt 0x0
	v_add_nc_u64_e32 v[38:39], v[10:11], v[26:27]
	v_add_nc_u64_e32 v[26:27], v[26:27], v[6:7]
	v_cmp_gt_i32_e32 vcc_lo, 1, v33
	s_wait_loadcnt 0x7
	global_store_b128 v[38:39], v[34:37], off th:TH_STORE_NT
	s_wait_loadcnt 0x6
	global_store_b128 v[38:39], v[48:51], off offset:512 th:TH_STORE_NT
	s_wait_loadcnt 0x5
	global_store_b128 v[38:39], v[52:55], off offset:1024 th:TH_STORE_NT
	;; [unrolled: 2-line block ×7, first 2 shown]
	s_or_b32 s19, vcc_lo, s19
	s_wait_xcnt 0x0
	s_and_not1_b32 exec_lo, exec_lo, s19
	s_cbranch_execnz .LBB6_9655
; %bb.9656:                             ;   in Loop: Header=BB6_9581 Depth=1
	s_or_b32 exec_lo, exec_lo, s19
.LBB6_9657:                             ;   in Loop: Header=BB6_9581 Depth=1
	s_delay_alu instid0(SALU_CYCLE_1) | instskip(SKIP_4) | instid1(VALU_DEP_2)
	s_or_b32 exec_lo, exec_lo, s10
	v_and_b32_e32 v27, 0x3ffff000, v2
	v_mov_b32_e32 v19, 0
	s_mov_b32 s20, 0
	s_mov_b32 s19, exec_lo
                                        ; implicit-def: $vgpr21
                                        ; implicit-def: $vgpr28
                                        ; implicit-def: $vgpr26
	v_cmpx_ne_u32_e64 v2, v27
	s_cbranch_execz .LBB6_9665
; %bb.9658:                             ;   in Loop: Header=BB6_9581 Depth=1
	v_lshlrev_b32_e32 v19, 5, v33
	v_bfe_u32 v34, v2, 9, 3
	v_and_b32_e32 v33, 0xfff, v2
	s_mov_b32 s20, exec_lo
	s_delay_alu instid0(VALU_DEP_3) | instskip(NEXT) | instid1(VALU_DEP_1)
	v_sub_nc_u32_e32 v19, v31, v19
	v_ashrrev_i32_e32 v21, 31, v19
	s_delay_alu instid0(VALU_DEP_1) | instskip(NEXT) | instid1(VALU_DEP_1)
	v_lshrrev_b32_e32 v21, 27, v21
	v_add_nc_u32_e32 v21, v19, v21
	s_delay_alu instid0(VALU_DEP_1) | instskip(NEXT) | instid1(VALU_DEP_1)
	v_and_b32_e32 v26, 0xffffffe0, v21
	v_dual_ashrrev_i32 v28, 5, v21 :: v_dual_sub_nc_u32 v29, v19, v26
	v_and_b32_e32 v19, 0x1ff, v2
	s_delay_alu instid0(VALU_DEP_2) | instskip(NEXT) | instid1(VALU_DEP_2)
	v_lshlrev_b32_e32 v21, 4, v29
	v_cmp_lt_u32_e32 vcc_lo, 15, v19
	s_delay_alu instid0(VALU_DEP_2) | instskip(SKIP_1) | instid1(VALU_DEP_1)
	v_lshl_add_u32 v26, v28, 9, v21
	v_add_co_ci_u32_e64 v34, null, 0, v34, vcc_lo
	v_dual_sub_nc_u32 v21, v33, v26 :: v_dual_sub_nc_u32 v33, v34, v28
	s_delay_alu instid0(VALU_DEP_1)
	v_cmpx_lt_i32_e32 15, v21
	s_cbranch_execz .LBB6_9662
; %bb.9659:                             ;   in Loop: Header=BB6_9581 Depth=1
	v_add_nc_u32_e32 v26, v26, v27
	s_mov_b32 s21, 0
	s_delay_alu instid0(VALU_DEP_1)
	v_ashrrev_i32_e32 v27, 31, v26
.LBB6_9660:                             ;   Parent Loop BB6_9581 Depth=1
                                        ; =>  This Inner Loop Header: Depth=2
	s_delay_alu instid0(VALU_DEP_1) | instskip(SKIP_4) | instid1(VALU_DEP_4)
	v_add_nc_u64_e32 v[34:35], v[22:23], v[26:27]
	v_sub_nc_u32_e32 v21, v21, v8
	v_add_nc_u64_e32 v[38:39], v[24:25], v[26:27]
	v_add_nc_u64_e32 v[26:27], v[26:27], v[8:9]
	v_sub_nc_u32_e32 v33, v33, v0
	v_cmp_gt_i32_e64 s10, 16, v21
	global_load_b128 v[34:37], v[34:35], off th:TH_LOAD_NT
	s_or_b32 s21, s10, s21
	s_wait_loadcnt 0x0
	global_store_b128 v[38:39], v[34:37], off th:TH_STORE_NT
	s_wait_xcnt 0x0
	s_and_not1_b32 exec_lo, exec_lo, s21
	s_cbranch_execnz .LBB6_9660
; %bb.9661:                             ;   in Loop: Header=BB6_9581 Depth=1
	s_or_b32 exec_lo, exec_lo, s21
.LBB6_9662:                             ;   in Loop: Header=BB6_9581 Depth=1
	s_delay_alu instid0(SALU_CYCLE_1) | instskip(SKIP_3) | instid1(VALU_DEP_1)
	s_or_b32 exec_lo, exec_lo, s20
	v_and_b32_e32 v21, 15, v2
	s_mov_b32 s20, 0
	s_mov_b32 s21, exec_lo
                                        ; implicit-def: $vgpr28
                                        ; implicit-def: $vgpr26
	v_dual_cndmask_b32 v21, v19, v21, vcc_lo :: v_dual_mov_b32 v19, 0
	s_delay_alu instid0(VALU_DEP_1)
	v_cmpx_ne_u32_e32 0, v21
	s_cbranch_execz .LBB6_9664
; %bb.9663:                             ;   in Loop: Header=BB6_9581 Depth=1
	v_cmp_lt_i32_e64 s10, 0, v33
	v_and_b32_e32 v26, 0x1f0, v2
	s_mov_b32 s20, exec_lo
	s_delay_alu instid0(VALU_DEP_1) | instskip(NEXT) | instid1(VALU_DEP_1)
	v_dual_cndmask_b32 v19, 0, v0, s10 :: v_dual_cndmask_b32 v26, 0, v26, vcc_lo
	v_sub_nc_u32_e32 v19, v19, v33
	s_delay_alu instid0(VALU_DEP_1) | instskip(NEXT) | instid1(VALU_DEP_1)
	v_lshl_add_u32 v28, v19, 5, v29
	v_ashrrev_i32_e32 v19, 31, v28
	s_delay_alu instid0(VALU_DEP_1) | instskip(NEXT) | instid1(VALU_DEP_1)
	v_lshrrev_b32_e32 v19, 27, v19
	v_add_nc_u32_e32 v27, v28, v19
	v_and_or_b32 v19, 0x3ffffe00, v2, v26
	s_delay_alu instid0(VALU_DEP_2)
	v_ashrrev_i32_e32 v26, 5, v27
.LBB6_9664:                             ;   in Loop: Header=BB6_9581 Depth=1
	s_or_b32 exec_lo, exec_lo, s21
	s_delay_alu instid0(SALU_CYCLE_1)
	s_and_b32 s20, s20, exec_lo
.LBB6_9665:                             ;   in Loop: Header=BB6_9581 Depth=1
	s_or_b32 exec_lo, exec_lo, s19
	s_and_saveexec_b32 s10, s20
	s_cbranch_execz .LBB6_9674
.LBB6_9666:                             ;   in Loop: Header=BB6_9581 Depth=1
	v_lshrrev_b32_e32 v27, 10, v21
	s_mov_b32 s19, exec_lo
	s_delay_alu instid0(VALU_DEP_1) | instskip(NEXT) | instid1(VALU_DEP_1)
	v_dual_sub_nc_u32 v29, v27, v26 :: v_dual_ashrrev_i32 v27, 31, v28
	v_lshrrev_b32_e32 v33, 27, v27
	s_delay_alu instid0(VALU_DEP_2)
	v_cmpx_lt_i32_e32 0, v29
	s_cbranch_execz .LBB6_9670
; %bb.9667:                             ;   in Loop: Header=BB6_9581 Depth=1
	s_delay_alu instid0(VALU_DEP_2) | instskip(SKIP_1) | instid1(VALU_DEP_1)
	v_dual_add_nc_u32 v27, v28, v33 :: v_dual_lshlrev_b32 v26, 10, v26
	s_mov_b32 s20, 0
	v_and_b32_e32 v27, 0xffffffe0, v27
	s_delay_alu instid0(VALU_DEP_1) | instskip(NEXT) | instid1(VALU_DEP_1)
	v_sub_nc_u32_e32 v27, v28, v27
	v_add3_u32 v26, v19, v27, v26
	s_delay_alu instid0(VALU_DEP_1)
	v_ashrrev_i32_e32 v27, 31, v26
.LBB6_9668:                             ;   Parent Loop BB6_9581 Depth=1
                                        ; =>  This Inner Loop Header: Depth=2
	s_delay_alu instid0(VALU_DEP_1)
	v_add_nc_u64_e32 v[34:35], v[26:27], v[22:23]
	v_sub_nc_u32_e32 v29, v29, v0
	v_add_nc_u64_e32 v[22:23], v[22:23], v[12:13]
	s_clause 0x1f
	flat_load_u8 v36, v[34:35] th:TH_LOAD_NT
	flat_load_u8 v37, v[34:35] offset:32 th:TH_LOAD_NT
	flat_load_u8 v38, v[34:35] offset:64 th:TH_LOAD_NT
	;; [unrolled: 1-line block ×31, first 2 shown]
	s_wait_xcnt 0x0
	v_add_nc_u64_e32 v[34:35], v[26:27], v[24:25]
	v_add_nc_u64_e32 v[24:25], v[24:25], v[12:13]
	v_cmp_gt_i32_e32 vcc_lo, 1, v29
	s_wait_loadcnt_dscnt 0x1f1f
	flat_store_b8 v[34:35], v36 th:TH_STORE_NT
	s_wait_loadcnt_dscnt 0x1e1f
	flat_store_b8 v[34:35], v37 offset:32 th:TH_STORE_NT
	s_wait_loadcnt_dscnt 0x1d1f
	flat_store_b8 v[34:35], v38 offset:64 th:TH_STORE_NT
	s_wait_loadcnt_dscnt 0x1c1f
	flat_store_b8 v[34:35], v39 offset:96 th:TH_STORE_NT
	s_wait_loadcnt_dscnt 0x1b1f
	flat_store_b8 v[34:35], v48 offset:128 th:TH_STORE_NT
	s_wait_loadcnt_dscnt 0x1a1f
	flat_store_b8 v[34:35], v49 offset:160 th:TH_STORE_NT
	s_wait_loadcnt_dscnt 0x191f
	flat_store_b8 v[34:35], v50 offset:192 th:TH_STORE_NT
	s_wait_loadcnt_dscnt 0x181f
	flat_store_b8 v[34:35], v51 offset:224 th:TH_STORE_NT
	s_wait_loadcnt_dscnt 0x171f
	flat_store_b8 v[34:35], v52 offset:256 th:TH_STORE_NT
	s_wait_loadcnt_dscnt 0x161f
	flat_store_b8 v[34:35], v53 offset:288 th:TH_STORE_NT
	s_wait_loadcnt_dscnt 0x151f
	flat_store_b8 v[34:35], v54 offset:320 th:TH_STORE_NT
	s_wait_loadcnt_dscnt 0x141f
	flat_store_b8 v[34:35], v55 offset:352 th:TH_STORE_NT
	s_wait_loadcnt_dscnt 0x131f
	flat_store_b8 v[34:35], v64 offset:384 th:TH_STORE_NT
	s_wait_loadcnt_dscnt 0x121f
	flat_store_b8 v[34:35], v65 offset:416 th:TH_STORE_NT
	s_wait_loadcnt_dscnt 0x111f
	flat_store_b8 v[34:35], v66 offset:448 th:TH_STORE_NT
	s_wait_loadcnt_dscnt 0x101f
	flat_store_b8 v[34:35], v67 offset:480 th:TH_STORE_NT
	s_wait_loadcnt_dscnt 0xf1f
	flat_store_b8 v[34:35], v68 offset:512 th:TH_STORE_NT
	s_wait_loadcnt_dscnt 0xe1f
	flat_store_b8 v[34:35], v69 offset:544 th:TH_STORE_NT
	s_wait_loadcnt_dscnt 0xd1f
	flat_store_b8 v[34:35], v70 offset:576 th:TH_STORE_NT
	s_wait_loadcnt_dscnt 0xc1f
	flat_store_b8 v[34:35], v71 offset:608 th:TH_STORE_NT
	s_wait_loadcnt_dscnt 0xb1f
	flat_store_b8 v[34:35], v80 offset:640 th:TH_STORE_NT
	s_wait_loadcnt_dscnt 0xa1f
	flat_store_b8 v[34:35], v81 offset:672 th:TH_STORE_NT
	s_wait_loadcnt_dscnt 0x91f
	flat_store_b8 v[34:35], v82 offset:704 th:TH_STORE_NT
	s_wait_loadcnt_dscnt 0x81f
	flat_store_b8 v[34:35], v83 offset:736 th:TH_STORE_NT
	s_wait_loadcnt_dscnt 0x71f
	flat_store_b8 v[34:35], v84 offset:768 th:TH_STORE_NT
	s_wait_loadcnt_dscnt 0x61f
	flat_store_b8 v[34:35], v85 offset:800 th:TH_STORE_NT
	s_wait_loadcnt_dscnt 0x51f
	flat_store_b8 v[34:35], v86 offset:832 th:TH_STORE_NT
	s_wait_loadcnt_dscnt 0x41f
	flat_store_b8 v[34:35], v87 offset:864 th:TH_STORE_NT
	s_wait_loadcnt_dscnt 0x31f
	flat_store_b8 v[34:35], v96 offset:896 th:TH_STORE_NT
	s_wait_loadcnt_dscnt 0x21f
	flat_store_b8 v[34:35], v97 offset:928 th:TH_STORE_NT
	s_wait_loadcnt_dscnt 0x11f
	flat_store_b8 v[34:35], v98 offset:960 th:TH_STORE_NT
	s_wait_loadcnt_dscnt 0x1f
	flat_store_b8 v[34:35], v99 offset:992 th:TH_STORE_NT
	s_or_b32 s20, vcc_lo, s20
	s_wait_xcnt 0x0
	s_and_not1_b32 exec_lo, exec_lo, s20
	s_cbranch_execnz .LBB6_9668
; %bb.9669:                             ;   in Loop: Header=BB6_9581 Depth=1
	s_or_b32 exec_lo, exec_lo, s20
.LBB6_9670:                             ;   in Loop: Header=BB6_9581 Depth=1
	s_delay_alu instid0(SALU_CYCLE_1) | instskip(SKIP_1) | instid1(VALU_DEP_1)
	s_or_b32 exec_lo, exec_lo, s19
	v_and_b32_e32 v24, 0xfffffc00, v21
	v_cmp_ne_u32_e32 vcc_lo, v21, v24
	s_and_b32 exec_lo, exec_lo, vcc_lo
	s_cbranch_execz .LBB6_9674
; %bb.9671:                             ;   in Loop: Header=BB6_9581 Depth=1
	v_add_nc_u32_e32 v22, v28, v33
	v_and_b32_e32 v21, 0x3ff, v21
	s_delay_alu instid0(VALU_DEP_2) | instskip(NEXT) | instid1(VALU_DEP_1)
	v_and_b32_e32 v22, 0xffffffe0, v22
	v_dual_lshlrev_b32 v23, 5, v29 :: v_dual_sub_nc_u32 v22, v28, v22
	s_delay_alu instid0(VALU_DEP_1) | instskip(NEXT) | instid1(VALU_DEP_1)
	v_sub_nc_u32_e32 v25, v22, v23
	v_sub_nc_u32_e32 v21, v21, v25
	s_delay_alu instid0(VALU_DEP_1)
	v_cmp_lt_i32_e32 vcc_lo, 0, v21
	s_and_b32 exec_lo, exec_lo, vcc_lo
	s_cbranch_execz .LBB6_9674
; %bb.9672:                             ;   in Loop: Header=BB6_9581 Depth=1
	s_trap 2
	ds_load_b64 v[22:23], v0
	v_add3_u32 v24, v24, v19, v25
	s_mov_b32 s19, 0
	s_delay_alu instid0(VALU_DEP_1)
	v_ashrrev_i32_e32 v25, 31, v24
.LBB6_9673:                             ;   Parent Loop BB6_9581 Depth=1
                                        ; =>  This Inner Loop Header: Depth=2
	s_wait_dscnt 0x0
	s_delay_alu instid0(VALU_DEP_1) | instskip(SKIP_2) | instid1(VALU_DEP_2)
	v_add_nc_u64_e32 v[26:27], v[22:23], v[24:25]
	v_sub_nc_u32_e32 v21, v21, v4
	v_add_nc_u64_e32 v[24:25], v[24:25], v[4:5]
	v_cmp_gt_i32_e32 vcc_lo, 1, v21
	flat_load_u8 v19, v[26:27] th:TH_LOAD_NT
	s_or_b32 s19, vcc_lo, s19
	s_wait_loadcnt_dscnt 0x0
	flat_store_b8 v[26:27], v19 th:TH_STORE_NT
	s_wait_xcnt 0x0
	s_and_not1_b32 exec_lo, exec_lo, s19
	s_cbranch_execnz .LBB6_9673
.LBB6_9674:                             ;   in Loop: Header=BB6_9581 Depth=1
	s_or_b32 exec_lo, exec_lo, s10
	v_cmp_ne_u32_e64 s10, 0, v2
	s_and_saveexec_b32 s19, s2
	s_cbranch_execz .LBB6_9693
.LBB6_9675:                             ;   in Loop: Header=BB6_9581 Depth=1
	s_and_saveexec_b32 s20, s3
	s_delay_alu instid0(SALU_CYCLE_1)
	s_xor_b32 s20, exec_lo, s20
	s_cbranch_execz .LBB6_9690
; %bb.9676:                             ;   in Loop: Header=BB6_9581 Depth=1
	s_and_saveexec_b32 s21, s4
	s_cbranch_execz .LBB6_9689
; %bb.9677:                             ;   in Loop: Header=BB6_9581 Depth=1
	s_mov_b32 s23, exec_lo
	s_mov_b32 s22, exec_lo
	v_mbcnt_lo_u32_b32 v2, s23, 0
	global_wb scope:SCOPE_DEV
	s_wait_storecnt 0x0
	s_wait_loadcnt_dscnt 0x0
	global_inv scope:SCOPE_DEV
	v_cmpx_eq_u32_e32 0, v2
	s_cbranch_execz .LBB6_9679
; %bb.9678:                             ;   in Loop: Header=BB6_9581 Depth=1
	s_bcnt1_i32_b32 s23, s23
	s_delay_alu instid0(SALU_CYCLE_1)
	v_mov_b32_e32 v2, s23
	s_wait_loadcnt 0x0
	ds_add_u64 v0, v[2:3]
	s_trap 2
.LBB6_9679:                             ;   in Loop: Header=BB6_9581 Depth=1
	s_or_b32 exec_lo, exec_lo, s22
	s_trap 2
	ds_load_b64 v[22:23], v0
	s_wait_dscnt 0x0
	v_add_nc_u64_e32 v[78:79], v[78:79], v[0:1]
	s_mov_b32 s22, exec_lo
	s_delay_alu instid0(VALU_DEP_1)
	v_cmpx_lt_u64_e64 v[22:23], v[78:79]
	s_cbranch_execz .LBB6_9688
; %bb.9680:                             ;   in Loop: Header=BB6_9581 Depth=1
	s_mov_b32 s23, 0
	s_mov_b32 s26, 0
                                        ; implicit-def: $sgpr24
                                        ; implicit-def: $sgpr25
	s_branch .LBB6_9682
.LBB6_9681:                             ;   in Loop: Header=BB6_9682 Depth=2
	s_or_b32 exec_lo, exec_lo, s28
	s_delay_alu instid0(SALU_CYCLE_1) | instskip(NEXT) | instid1(SALU_CYCLE_1)
	s_and_b32 s27, exec_lo, s29
	s_or_b32 s23, s27, s23
	s_and_not1_b32 s24, s24, exec_lo
	s_and_b32 s27, s25, exec_lo
	s_delay_alu instid0(SALU_CYCLE_1)
	s_or_b32 s24, s24, s27
	s_and_not1_b32 exec_lo, exec_lo, s23
	s_cbranch_execz .LBB6_9686
.LBB6_9682:                             ;   Parent Loop BB6_9581 Depth=1
                                        ; =>  This Inner Loop Header: Depth=2
	s_add_co_i32 s26, s26, 1
	s_delay_alu instid0(SALU_CYCLE_1) | instskip(SKIP_1) | instid1(SALU_CYCLE_1)
	s_cmp_lg_u32 s26, 0x2710
	s_cselect_b32 s27, -1, 0
	s_and_b32 vcc_lo, exec_lo, s27
	s_cbranch_vccz .LBB6_9684
; %bb.9683:                             ;   in Loop: Header=BB6_9682 Depth=2
	s_mov_b32 s29, -1
	s_or_b32 s25, s25, exec_lo
	s_and_saveexec_b32 s28, s27
	s_cbranch_execz .LBB6_9681
	s_branch .LBB6_9685
.LBB6_9684:                             ;   in Loop: Header=BB6_9682 Depth=2
	s_trap 2
	ds_load_b64 v[22:23], v0
	s_and_not1_b32 s27, s27, exec_lo
	s_mov_b32 s26, 0
	s_wait_loadcnt_dscnt 0x0
	flat_load_b32 v2, v[22:23] scope:SCOPE_SYS
	s_wait_loadcnt_dscnt 0x0
	global_inv scope:SCOPE_SYS
	v_cmp_eq_u32_e32 vcc_lo, 0, v2
	s_and_b32 s28, vcc_lo, exec_lo
	s_delay_alu instid0(SALU_CYCLE_1)
	s_or_b32 s27, s27, s28
	s_mov_b32 s29, -1
	s_or_b32 s25, s25, exec_lo
	s_and_saveexec_b32 s28, s27
	s_cbranch_execz .LBB6_9681
.LBB6_9685:                             ;   in Loop: Header=BB6_9682 Depth=2
	s_sleep 1
	s_trap 2
	ds_load_b64 v[22:23], v0
	s_wait_dscnt 0x0
	s_and_not1_b32 s25, s25, exec_lo
	v_cmp_ge_u64_e32 vcc_lo, v[22:23], v[78:79]
	s_or_not1_b32 s29, vcc_lo, exec_lo
	s_branch .LBB6_9681
.LBB6_9686:                             ;   in Loop: Header=BB6_9581 Depth=1
	s_or_b32 exec_lo, exec_lo, s23
	s_and_saveexec_b32 s23, s24
	s_delay_alu instid0(SALU_CYCLE_1)
	s_xor_b32 s23, exec_lo, s23
	s_cbranch_execz .LBB6_9688
; %bb.9687:                             ;   in Loop: Header=BB6_9581 Depth=1
	ds_store_b32 v0, v32
	s_trap 2
.LBB6_9688:                             ;   in Loop: Header=BB6_9581 Depth=1
	s_or_b32 exec_lo, exec_lo, s22
	;;#ASMSTART
	s_wakeup
	;;#ASMEND
.LBB6_9689:                             ;   in Loop: Header=BB6_9581 Depth=1
	s_or_b32 exec_lo, exec_lo, s21
.LBB6_9690:                             ;   in Loop: Header=BB6_9581 Depth=1
	s_and_not1_saveexec_b32 s20, s20
	s_cbranch_execz .LBB6_9692
; %bb.9691:                             ;   in Loop: Header=BB6_9581 Depth=1
	global_wb scope:SCOPE_DEV
	s_wait_storecnt 0x0
	s_wait_loadcnt_dscnt 0x0
	global_inv scope:SCOPE_DEV
	s_barrier_signal -1
	s_barrier_wait -1
.LBB6_9692:                             ;   in Loop: Header=BB6_9581 Depth=1
	s_or_b32 exec_lo, exec_lo, s20
.LBB6_9693:                             ;   in Loop: Header=BB6_9581 Depth=1
	s_delay_alu instid0(SALU_CYCLE_1) | instskip(SKIP_1) | instid1(VALU_DEP_1)
	s_or_b32 exec_lo, exec_lo, s19
	v_and_b32_e32 v2, 16, v59
	v_cmp_ne_u32_e32 vcc_lo, 0, v2
	s_and_b32 s19, vcc_lo, s10
	s_delay_alu instid0(SALU_CYCLE_1)
	s_and_saveexec_b32 s10, s19
	s_cbranch_execz .LBB6_9695
; %bb.9694:                             ;   in Loop: Header=BB6_9581 Depth=1
	global_wb scope:SCOPE_SYS
	s_wait_storecnt 0x0
	s_wait_loadcnt_dscnt 0x0
	global_inv scope:SCOPE_SYS
.LBB6_9695:                             ;   in Loop: Header=BB6_9581 Depth=1
	s_or_b32 exec_lo, exec_lo, s10
	s_delay_alu instid0(SALU_CYCLE_1)
	s_mov_b32 s10, exec_lo
	v_cmpx_ne_u32_e32 0, v2
	s_cbranch_execz .LBB6_9699
; %bb.9696:                             ;   in Loop: Header=BB6_9581 Depth=1
	s_and_saveexec_b32 s19, s7
	s_cbranch_execz .LBB6_9698
; %bb.9697:                             ;   in Loop: Header=BB6_9581 Depth=1
	global_wb scope:SCOPE_SYS
	s_wait_storecnt 0x0
	s_wait_loadcnt_dscnt 0x0
	flat_store_b32 v[88:89], v32 scope:SCOPE_SYS
.LBB6_9698:                             ;   in Loop: Header=BB6_9581 Depth=1
	s_wait_xcnt 0x0
	s_or_b32 exec_lo, exec_lo, s19
	v_add_nc_u64_e32 v[62:63], 1, v[62:63]
	global_wb scope:SCOPE_SYS
	s_wait_storecnt 0x0
	s_wait_loadcnt_dscnt 0x0
	flat_store_b64 v[102:103], v[62:63] scope:SCOPE_SYS
.LBB6_9699:                             ;   in Loop: Header=BB6_9581 Depth=1
	s_wait_xcnt 0x0
	s_or_b32 exec_lo, exec_lo, s10
	v_mov_b32_e32 v2, v20
.LBB6_9700:                             ;   in Loop: Header=BB6_9581 Depth=1
	s_or_b32 exec_lo, exec_lo, s18
	s_and_saveexec_b32 s18, s17
	s_cbranch_execz .LBB6_9580
; %bb.9701:                             ;   in Loop: Header=BB6_9581 Depth=1
	s_delay_alu instid0(VALU_DEP_1) | instskip(SKIP_1) | instid1(VALU_DEP_1)
	v_dual_sub_nc_u32 v2, v18, v2 :: v_dual_bitop2_b32 v19, 8, v59 bitop3:0x40
	s_mov_b32 s17, exec_lo
	v_min_i32_e32 v18, v20, v2
	s_delay_alu instid0(VALU_DEP_2)
	v_cmpx_ne_u32_e32 0, v19
	s_cbranch_execz .LBB6_9723
; %bb.9702:                             ;   in Loop: Header=BB6_9581 Depth=1
	s_wait_loadcnt 0x0
	v_add_nc_u64_e32 v[22:23], 8, v[76:77]
	v_add_nc_u64_e32 v[20:21], 1, v[62:63]
	s_mov_b32 s19, exec_lo
	s_delay_alu instid0(VALU_DEP_1)
	v_cmpx_lt_u64_e64 v[22:23], v[20:21]
	s_cbranch_execz .LBB6_9714
; %bb.9703:                             ;   in Loop: Header=BB6_9581 Depth=1
	v_and_b32_e32 v2, 64, v59
	s_mov_b32 s20, 0
	s_mov_b32 s24, 0
                                        ; implicit-def: $sgpr21
                                        ; implicit-def: $sgpr22
                                        ; implicit-def: $sgpr23
	s_delay_alu instid0(VALU_DEP_1)
	v_cmp_eq_u32_e32 vcc_lo, 0, v2
	s_branch .LBB6_9707
.LBB6_9704:                             ;   in Loop: Header=BB6_9707 Depth=2
	s_wait_loadcnt_dscnt 0x0
	v_add_nc_u64_e32 v[22:23], 8, v[76:77]
	s_or_b32 s27, s27, exec_lo
	s_delay_alu instid0(VALU_DEP_1)
	v_cmp_ge_u64_e64 s10, v[22:23], v[20:21]
	s_or_not1_b32 s26, s10, exec_lo
.LBB6_9705:                             ;   in Loop: Header=BB6_9707 Depth=2
	s_or_b32 exec_lo, exec_lo, s29
	s_delay_alu instid0(SALU_CYCLE_1)
	s_and_not1_b32 s10, s23, exec_lo
	s_and_b32 s23, s27, exec_lo
	s_and_not1_b32 s22, s22, exec_lo
	s_and_b32 s26, s26, exec_lo
	s_or_b32 s23, s10, s23
	s_or_b32 s22, s22, s26
.LBB6_9706:                             ;   in Loop: Header=BB6_9707 Depth=2
	s_or_b32 exec_lo, exec_lo, s25
	s_delay_alu instid0(SALU_CYCLE_1) | instskip(NEXT) | instid1(SALU_CYCLE_1)
	s_and_b32 s10, exec_lo, s22
	s_or_b32 s20, s10, s20
	s_and_not1_b32 s10, s21, exec_lo
	s_and_b32 s21, s23, exec_lo
	s_delay_alu instid0(SALU_CYCLE_1)
	s_or_b32 s21, s10, s21
	s_and_not1_b32 exec_lo, exec_lo, s20
	s_cbranch_execz .LBB6_9711
.LBB6_9707:                             ;   Parent Loop BB6_9581 Depth=1
                                        ; =>  This Inner Loop Header: Depth=2
	s_sleep 1
	s_wait_loadcnt_dscnt 0x0
	flat_load_b64 v[76:77], v[102:103] scope:SCOPE_SYS
	s_or_b32 s23, s23, exec_lo
	s_or_b32 s22, s22, exec_lo
                                        ; implicit-def: $vgpr2
	s_wait_xcnt 0x0
	s_and_saveexec_b32 s25, vcc_lo
	s_cbranch_execz .LBB6_9706
; %bb.9708:                             ;   in Loop: Header=BB6_9707 Depth=2
	s_cmp_lt_i32 s24, 0x270f
	s_mov_b32 s26, -1
	s_cselect_b32 s28, -1, 0
	s_cmp_gt_i32 s24, 0x270e
	s_cbranch_scc0 .LBB6_9710
; %bb.9709:                             ;   in Loop: Header=BB6_9707 Depth=2
	s_trap 2
	ds_load_b64 v[22:23], v0
	s_and_not1_b32 s24, s28, exec_lo
	s_mov_b32 s27, 0
	s_wait_storecnt 0x0
	s_wait_loadcnt_dscnt 0x0
	flat_load_b32 v2, v[22:23] scope:SCOPE_SYS
	s_wait_loadcnt_dscnt 0x0
	global_inv scope:SCOPE_SYS
	v_cmp_eq_u32_e64 s10, 0, v2
	s_and_b32 s10, s10, exec_lo
	s_delay_alu instid0(SALU_CYCLE_1)
	s_or_b32 s28, s24, s10
	s_mov_b32 s24, 0
	s_and_saveexec_b32 s29, s28
	s_cbranch_execz .LBB6_9705
	s_branch .LBB6_9704
.LBB6_9710:                             ;   in Loop: Header=BB6_9707 Depth=2
	s_add_co_i32 s24, s24, 1
	s_mov_b32 s27, -1
                                        ; implicit-def: $vgpr2
	s_and_saveexec_b32 s29, s28
	s_cbranch_execz .LBB6_9705
	s_branch .LBB6_9704
.LBB6_9711:                             ;   in Loop: Header=BB6_9581 Depth=1
	s_or_b32 exec_lo, exec_lo, s20
	s_xor_b32 s10, s21, -1
	s_delay_alu instid0(SALU_CYCLE_1) | instskip(NEXT) | instid1(SALU_CYCLE_1)
	s_and_saveexec_b32 s20, s10
	s_xor_b32 s10, exec_lo, s20
	s_cbranch_execz .LBB6_9713
; %bb.9712:                             ;   in Loop: Header=BB6_9581 Depth=1
	v_or_b32_e32 v59, 64, v59
	s_wait_storecnt 0x0
	s_wait_loadcnt_dscnt 0x0
	ds_store_b32 v0, v2
	s_trap 2
.LBB6_9713:                             ;   in Loop: Header=BB6_9581 Depth=1
	s_or_b32 exec_lo, exec_lo, s10
.LBB6_9714:                             ;   in Loop: Header=BB6_9581 Depth=1
	s_delay_alu instid0(SALU_CYCLE_1) | instskip(SKIP_3) | instid1(VALU_DEP_1)
	s_or_b32 exec_lo, exec_lo, s19
	v_and_b32_e32 v2, 0x100, v59
	s_mov_b32 s10, -1
	;;#ASMSTART
	s_wakeup
	;;#ASMEND
                                        ; implicit-def: $vgpr22_vgpr23
	v_cmp_ne_u32_e32 vcc_lo, 0, v2
	v_and_b32_e32 v2, 7, v62
	s_and_saveexec_b32 s19, vcc_lo
	s_cbranch_execz .LBB6_9718
; %bb.9715:                             ;   in Loop: Header=BB6_9581 Depth=1
	s_delay_alu instid0(VALU_DEP_1)
	v_mad_nc_u64_u32 v[24:25], v2, 24, v[60:61]
	v_ashrrev_i32_e32 v19, 31, v18
	s_clause 0x1
	flat_load_b32 v22, v[24:25]
	flat_store_b64 v[24:25], v[18:19] offset:8
	s_wait_loadcnt_dscnt 0x1
	v_cmp_eq_u32_e64 s10, 1, v22
	v_cmp_ne_u32_e32 vcc_lo, 1, v22
                                        ; implicit-def: $vgpr22_vgpr23
	s_wait_xcnt 0x0
	s_and_saveexec_b32 s20, s10
	s_cbranch_execz .LBB6_9717
; %bb.9716:                             ;   in Loop: Header=BB6_9581 Depth=1
	flat_load_b32 v22, v[24:25] offset:4 scope:SCOPE_SYS
	s_wait_loadcnt_dscnt 0x0
	v_ashrrev_i32_e32 v23, 31, v22
.LBB6_9717:                             ;   in Loop: Header=BB6_9581 Depth=1
	s_wait_xcnt 0x0
	s_or_b32 exec_lo, exec_lo, s20
	s_delay_alu instid0(SALU_CYCLE_1)
	s_or_not1_b32 s10, vcc_lo, exec_lo
.LBB6_9718:                             ;   in Loop: Header=BB6_9581 Depth=1
	s_or_b32 exec_lo, exec_lo, s19
	s_and_saveexec_b32 s19, s10
; %bb.9719:                             ;   in Loop: Header=BB6_9581 Depth=1
	v_mul_u64_e32 v[22:23], v[2:3], v[116:117]
; %bb.9720:                             ;   in Loop: Header=BB6_9581 Depth=1
	s_or_b32 exec_lo, exec_lo, s19
	s_delay_alu instid0(VALU_DEP_1)
	v_add_nc_u64_e32 v[22:23], v[46:47], v[22:23]
	v_and_b32_e32 v2, 0x2000, v59
	s_mov_b32 s10, exec_lo
	ds_store_b64 v0, v[22:23] offset:784
	v_cmpx_ne_u32_e32 0, v2
	s_cbranch_execz .LBB6_9722
; %bb.9721:                             ;   in Loop: Header=BB6_9581 Depth=1
	ds_load_b64 v[22:23], v0 offset:872
	s_wait_dscnt 0x0
	v_add_nc_u64_e32 v[22:23], 1, v[22:23]
	ds_store_b64 v0, v[22:23] offset:872
.LBB6_9722:                             ;   in Loop: Header=BB6_9581 Depth=1
	s_or_b32 exec_lo, exec_lo, s10
	v_mov_b64_e32 v[62:63], v[20:21]
.LBB6_9723:                             ;   in Loop: Header=BB6_9581 Depth=1
	s_or_b32 exec_lo, exec_lo, s17
	s_and_saveexec_b32 s10, s2
	s_cbranch_execz .LBB6_9742
; %bb.9724:                             ;   in Loop: Header=BB6_9581 Depth=1
	s_and_saveexec_b32 s17, s3
	s_delay_alu instid0(SALU_CYCLE_1)
	s_xor_b32 s17, exec_lo, s17
	s_cbranch_execz .LBB6_9739
; %bb.9725:                             ;   in Loop: Header=BB6_9581 Depth=1
	s_and_saveexec_b32 s19, s4
	s_cbranch_execz .LBB6_9738
; %bb.9726:                             ;   in Loop: Header=BB6_9581 Depth=1
	s_mov_b32 s21, exec_lo
	s_mov_b32 s20, exec_lo
	v_mbcnt_lo_u32_b32 v2, s21, 0
	global_wb scope:SCOPE_DEV
	s_wait_storecnt 0x0
	s_wait_loadcnt_dscnt 0x0
	global_inv scope:SCOPE_DEV
	v_cmpx_eq_u32_e32 0, v2
	s_cbranch_execz .LBB6_9728
; %bb.9727:                             ;   in Loop: Header=BB6_9581 Depth=1
	s_bcnt1_i32_b32 s21, s21
	s_delay_alu instid0(SALU_CYCLE_1)
	v_mov_b32_e32 v2, s21
	s_wait_loadcnt 0x0
	ds_add_u64 v0, v[2:3]
	s_trap 2
.LBB6_9728:                             ;   in Loop: Header=BB6_9581 Depth=1
	s_or_b32 exec_lo, exec_lo, s20
	s_trap 2
	ds_load_b64 v[20:21], v0
	s_wait_dscnt 0x0
	v_add_nc_u64_e32 v[78:79], v[78:79], v[0:1]
	s_mov_b32 s20, exec_lo
	s_delay_alu instid0(VALU_DEP_1)
	v_cmpx_lt_u64_e64 v[20:21], v[78:79]
	s_cbranch_execz .LBB6_9737
; %bb.9729:                             ;   in Loop: Header=BB6_9581 Depth=1
	s_mov_b32 s21, 0
	s_mov_b32 s24, 0
                                        ; implicit-def: $sgpr22
                                        ; implicit-def: $sgpr23
	s_branch .LBB6_9731
.LBB6_9730:                             ;   in Loop: Header=BB6_9731 Depth=2
	s_or_b32 exec_lo, exec_lo, s26
	s_delay_alu instid0(SALU_CYCLE_1) | instskip(NEXT) | instid1(SALU_CYCLE_1)
	s_and_b32 s25, exec_lo, s27
	s_or_b32 s21, s25, s21
	s_and_not1_b32 s22, s22, exec_lo
	s_and_b32 s25, s23, exec_lo
	s_delay_alu instid0(SALU_CYCLE_1)
	s_or_b32 s22, s22, s25
	s_and_not1_b32 exec_lo, exec_lo, s21
	s_cbranch_execz .LBB6_9735
.LBB6_9731:                             ;   Parent Loop BB6_9581 Depth=1
                                        ; =>  This Inner Loop Header: Depth=2
	s_add_co_i32 s24, s24, 1
	s_delay_alu instid0(SALU_CYCLE_1) | instskip(SKIP_1) | instid1(SALU_CYCLE_1)
	s_cmp_lg_u32 s24, 0x2710
	s_cselect_b32 s25, -1, 0
	s_and_b32 vcc_lo, exec_lo, s25
	s_cbranch_vccz .LBB6_9733
; %bb.9732:                             ;   in Loop: Header=BB6_9731 Depth=2
	s_mov_b32 s27, -1
	s_or_b32 s23, s23, exec_lo
	s_and_saveexec_b32 s26, s25
	s_cbranch_execz .LBB6_9730
	s_branch .LBB6_9734
.LBB6_9733:                             ;   in Loop: Header=BB6_9731 Depth=2
	s_trap 2
	ds_load_b64 v[20:21], v0
	s_and_not1_b32 s25, s25, exec_lo
	s_mov_b32 s24, 0
	s_wait_loadcnt_dscnt 0x0
	flat_load_b32 v2, v[20:21] scope:SCOPE_SYS
	s_wait_loadcnt_dscnt 0x0
	global_inv scope:SCOPE_SYS
	v_cmp_eq_u32_e32 vcc_lo, 0, v2
	s_and_b32 s26, vcc_lo, exec_lo
	s_delay_alu instid0(SALU_CYCLE_1)
	s_or_b32 s25, s25, s26
	s_mov_b32 s27, -1
	s_or_b32 s23, s23, exec_lo
	s_and_saveexec_b32 s26, s25
	s_cbranch_execz .LBB6_9730
.LBB6_9734:                             ;   in Loop: Header=BB6_9731 Depth=2
	s_sleep 1
	s_trap 2
	ds_load_b64 v[20:21], v0
	s_wait_dscnt 0x0
	s_and_not1_b32 s23, s23, exec_lo
	v_cmp_ge_u64_e32 vcc_lo, v[20:21], v[78:79]
	s_or_not1_b32 s27, vcc_lo, exec_lo
	s_branch .LBB6_9730
.LBB6_9735:                             ;   in Loop: Header=BB6_9581 Depth=1
	s_or_b32 exec_lo, exec_lo, s21
	s_and_saveexec_b32 s21, s22
	s_delay_alu instid0(SALU_CYCLE_1)
	s_xor_b32 s21, exec_lo, s21
	s_cbranch_execz .LBB6_9737
; %bb.9736:                             ;   in Loop: Header=BB6_9581 Depth=1
	ds_store_b32 v0, v32
	s_trap 2
.LBB6_9737:                             ;   in Loop: Header=BB6_9581 Depth=1
	s_or_b32 exec_lo, exec_lo, s20
	;;#ASMSTART
	s_wakeup
	;;#ASMEND
.LBB6_9738:                             ;   in Loop: Header=BB6_9581 Depth=1
	s_or_b32 exec_lo, exec_lo, s19
.LBB6_9739:                             ;   in Loop: Header=BB6_9581 Depth=1
	s_and_not1_saveexec_b32 s17, s17
	s_cbranch_execz .LBB6_9741
; %bb.9740:                             ;   in Loop: Header=BB6_9581 Depth=1
	global_wb scope:SCOPE_DEV
	s_wait_storecnt 0x0
	s_wait_loadcnt_dscnt 0x0
	global_inv scope:SCOPE_DEV
	s_barrier_signal -1
	s_barrier_wait -1
.LBB6_9741:                             ;   in Loop: Header=BB6_9581 Depth=1
	s_or_b32 exec_lo, exec_lo, s17
.LBB6_9742:                             ;   in Loop: Header=BB6_9581 Depth=1
	s_delay_alu instid0(SALU_CYCLE_1)
	s_or_b32 exec_lo, exec_lo, s10
	s_trap 2
	ds_load_b32 v2, v0
	v_cmp_lt_i32_e32 vcc_lo, 0, v18
	s_wait_dscnt 0x0
	v_readfirstlane_b32 s10, v2
	v_and_b32_e32 v2, 16, v59
	s_cmp_eq_u32 s10, 0
	s_delay_alu instid0(VALU_DEP_1) | instskip(SKIP_1) | instid1(SALU_CYCLE_1)
	v_cmp_ne_u32_e64 s10, 0, v2
	s_cselect_b32 s17, -1, 0
	s_and_b32 s17, vcc_lo, s17
	s_delay_alu instid0(SALU_CYCLE_1) | instskip(NEXT) | instid1(SALU_CYCLE_1)
	s_and_b32 s17, s10, s17
	s_and_saveexec_b32 s10, s17
	s_cbranch_execz .LBB6_9744
; %bb.9743:                             ;   in Loop: Header=BB6_9581 Depth=1
	global_wb scope:SCOPE_SYS
	s_wait_loadcnt 0x0
	s_wait_storecnt 0x0
	global_inv scope:SCOPE_SYS
.LBB6_9744:                             ;   in Loop: Header=BB6_9581 Depth=1
	s_or_b32 exec_lo, exec_lo, s10
	s_delay_alu instid0(SALU_CYCLE_1)
	s_mov_b32 s10, exec_lo
	v_cmpx_ne_u32_e32 0, v2
	s_cbranch_execz .LBB6_9579
; %bb.9745:                             ;   in Loop: Header=BB6_9581 Depth=1
	s_and_saveexec_b32 s17, s7
	s_cbranch_execz .LBB6_9578
; %bb.9746:                             ;   in Loop: Header=BB6_9581 Depth=1
	global_wb scope:SCOPE_SYS
	s_wait_loadcnt 0x0
	s_wait_storecnt 0x0
	flat_store_b32 v[88:89], v32 scope:SCOPE_SYS
	s_branch .LBB6_9578
.LBB6_9747:
	s_or_b32 exec_lo, exec_lo, s13
.LBB6_9748:
	s_delay_alu instid0(SALU_CYCLE_1)
	s_or_b32 exec_lo, exec_lo, s12
.LBB6_9749:
	s_delay_alu instid0(SALU_CYCLE_1) | instskip(SKIP_2) | instid1(VALU_DEP_1)
	s_or_b32 exec_lo, exec_lo, s11
	v_and_b32_e32 v0, 0x800, v59
	s_mov_b32 s1, exec_lo
	v_cmpx_eq_u32_e32 0, v0
	s_cbranch_execz .LBB6_9782
; %bb.9750:
	v_and_b32_e32 v0, 48, v59
	s_mov_b32 s0, exec_lo
	s_delay_alu instid0(VALU_DEP_1)
	v_cmpx_ne_u32_e32 0, v0
	s_cbranch_execz .LBB6_9752
; %bb.9751:
	s_wait_dscnt 0x0
	flat_store_b64 v[72:73], v[62:63] offset:104
.LBB6_9752:
	s_wait_xcnt 0x0
	s_or_b32 exec_lo, exec_lo, s0
	v_and_b32_e32 v0, 0x88, v59
	s_mov_b32 s2, exec_lo
	s_delay_alu instid0(VALU_DEP_1)
	v_cmpx_eq_u32_e32 0x88, v0
	s_cbranch_execz .LBB6_9762
; %bb.9753:
	s_wait_dscnt 0x0
	v_dual_add_nc_u32 v0, -1, v62 :: v_dual_bitop2_b32 v4, 64, v59 bitop3:0x40
	s_mov_b32 s3, 0
	s_delay_alu instid0(VALU_DEP_1) | instskip(NEXT) | instid1(VALU_DEP_2)
	v_and_b32_e32 v0, 7, v0
	v_cmp_eq_u32_e64 s0, 0, v4
	s_delay_alu instid0(VALU_DEP_2)
	v_mad_nc_u64_u32 v[0:1], v0, 24, v[60:61]
	flat_load_b64 v[2:3], v[0:1] offset:8 scope:SCOPE_SYS
	s_wait_loadcnt_dscnt 0x0
	v_cmp_ne_u64_e32 vcc_lo, -1, v[2:3]
	s_and_b32 s0, vcc_lo, s0
	s_wait_xcnt 0x0
	s_and_b32 exec_lo, exec_lo, s0
	s_cbranch_execz .LBB6_9762
; %bb.9754:
	s_mov_b32 s5, 0
                                        ; implicit-def: $sgpr0
                                        ; implicit-def: $sgpr4
	s_branch .LBB6_9757
.LBB6_9755:                             ;   in Loop: Header=BB6_9757 Depth=1
	flat_load_b64 v[4:5], v[0:1] offset:8 scope:SCOPE_SYS
	s_wait_loadcnt 0x0
	s_and_not1_b32 s4, s4, exec_lo
	s_wait_dscnt 0x0
	v_cmp_eq_u64_e32 vcc_lo, -1, v[4:5]
	s_or_not1_b32 s7, vcc_lo, exec_lo
.LBB6_9756:                             ;   in Loop: Header=BB6_9757 Depth=1
	s_wait_xcnt 0x0
	s_or_b32 exec_lo, exec_lo, s10
	s_delay_alu instid0(SALU_CYCLE_1) | instskip(NEXT) | instid1(SALU_CYCLE_1)
	s_and_b32 s6, exec_lo, s7
	s_or_b32 s3, s6, s3
	s_and_not1_b32 s0, s0, exec_lo
	s_and_b32 s6, s4, exec_lo
	s_delay_alu instid0(SALU_CYCLE_1)
	s_or_b32 s0, s0, s6
	s_and_not1_b32 exec_lo, exec_lo, s3
	s_cbranch_execz .LBB6_9760
.LBB6_9757:                             ; =>This Inner Loop Header: Depth=1
	s_cmp_lt_i32 s5, 0x270f
	s_cselect_b32 s6, -1, 0
	s_delay_alu instid0(SALU_CYCLE_1)
	s_and_b32 vcc_lo, exec_lo, s6
	s_cbranch_vccnz .LBB6_9759
; %bb.9758:                             ;   in Loop: Header=BB6_9757 Depth=1
	s_trap 2
	ds_load_b64 v[2:3], v0
	s_and_not1_b32 s6, s6, exec_lo
	s_mov_b32 s5, 0
	s_wait_storecnt_dscnt 0x0
	flat_load_b32 v2, v[2:3] scope:SCOPE_SYS
	s_wait_loadcnt_dscnt 0x0
	global_inv scope:SCOPE_SYS
	v_cmp_eq_u32_e32 vcc_lo, 0, v2
	s_and_b32 s7, vcc_lo, exec_lo
	s_delay_alu instid0(SALU_CYCLE_1)
	s_or_b32 s6, s6, s7
	s_mov_b32 s7, -1
	s_or_b32 s4, s4, exec_lo
	s_wait_xcnt 0x0
	s_and_saveexec_b32 s10, s6
	s_cbranch_execz .LBB6_9756
	s_branch .LBB6_9755
.LBB6_9759:                             ;   in Loop: Header=BB6_9757 Depth=1
	s_add_co_i32 s5, s5, 1
                                        ; implicit-def: $vgpr2
	s_mov_b32 s7, -1
	s_or_b32 s4, s4, exec_lo
	s_and_saveexec_b32 s10, s6
	s_cbranch_execz .LBB6_9756
	s_branch .LBB6_9755
.LBB6_9760:
	s_or_b32 exec_lo, exec_lo, s3
	s_and_saveexec_b32 s3, s0
	s_delay_alu instid0(SALU_CYCLE_1)
	s_xor_b32 s3, exec_lo, s3
	s_cbranch_execz .LBB6_9762
; %bb.9761:
	s_wait_loadcnt 0x0
	s_wait_storecnt 0x0
	ds_store_b32 v0, v2
	s_trap 2
.LBB6_9762:
	s_or_b32 exec_lo, exec_lo, s2
	v_and_b32_e32 v0, 0x2000, v59
	s_mov_b32 s0, exec_lo
	s_delay_alu instid0(VALU_DEP_1)
	v_cmpx_ne_u32_e32 0, v0
	s_cbranch_execz .LBB6_9764
; %bb.9763:
	s_trap 2
	scratch_load_b64 v[2:3], off, s33 offset:368 th:TH_LOAD_LU ; 8-byte Folded Reload
	ds_load_b64 v[0:1], v0
	s_wait_loadcnt_dscnt 0x0
	flat_store_b64 v[2:3], v[0:1] offset:16
.LBB6_9764:
	s_wait_xcnt 0x0
	s_or_b32 exec_lo, exec_lo, s0
	v_cmp_ne_u32_e32 vcc_lo, 32, v56
	s_and_b32 exec_lo, exec_lo, vcc_lo
	s_cbranch_execz .LBB6_9782
; %bb.9765:
	s_mov_b32 s0, exec_lo
	v_cmpx_ne_u32_e64 v56, v74
	s_xor_b32 s0, exec_lo, s0
	s_cbranch_execz .LBB6_9780
; %bb.9766:
	v_and_b32_e32 v0, 31, v57
	s_mov_b32 s2, exec_lo
	s_delay_alu instid0(VALU_DEP_1)
	v_cmpx_eq_u32_e32 0, v0
	s_cbranch_execz .LBB6_9779
; %bb.9767:
	s_mov_b32 s4, exec_lo
	s_mov_b32 s3, exec_lo
	v_mbcnt_lo_u32_b32 v0, s4, 0
	global_wb scope:SCOPE_DEV
	s_wait_storecnt 0x0
	s_wait_loadcnt_dscnt 0x0
	global_inv scope:SCOPE_DEV
	v_cmpx_eq_u32_e32 0, v0
	s_cbranch_execz .LBB6_9769
; %bb.9768:
	s_bcnt1_i32_b32 s4, s4
	s_delay_alu instid0(SALU_CYCLE_1)
	v_dual_mov_b32 v1, 0 :: v_dual_mov_b32 v0, s4
	s_wait_loadcnt 0x0
	ds_add_u64 v0, v[0:1]
	s_trap 2
.LBB6_9769:
	s_or_b32 exec_lo, exec_lo, s3
	s_trap 2
	ds_load_b64 v[2:3], v0
	s_wait_dscnt 0x0
	v_dual_mov_b32 v1, 0 :: v_dual_lshrrev_b32 v0, 5, v56
	s_mov_b32 s3, exec_lo
	s_delay_alu instid0(VALU_DEP_1) | instskip(NEXT) | instid1(VALU_DEP_1)
	v_add_nc_u64_e32 v[0:1], v[78:79], v[0:1]
	v_cmpx_lt_u64_e64 v[2:3], v[0:1]
	s_cbranch_execz .LBB6_9778
; %bb.9770:
	s_mov_b32 s4, 0
	s_mov_b32 s7, 0
                                        ; implicit-def: $sgpr5
                                        ; implicit-def: $sgpr6
	s_branch .LBB6_9772
.LBB6_9771:                             ;   in Loop: Header=BB6_9772 Depth=1
	s_or_b32 exec_lo, exec_lo, s11
	s_delay_alu instid0(SALU_CYCLE_1) | instskip(NEXT) | instid1(SALU_CYCLE_1)
	s_and_b32 s10, exec_lo, s12
	s_or_b32 s4, s10, s4
	s_and_not1_b32 s5, s5, exec_lo
	s_and_b32 s10, s6, exec_lo
	s_delay_alu instid0(SALU_CYCLE_1)
	s_or_b32 s5, s5, s10
	s_and_not1_b32 exec_lo, exec_lo, s4
	s_cbranch_execz .LBB6_9776
.LBB6_9772:                             ; =>This Inner Loop Header: Depth=1
	s_add_co_i32 s7, s7, 1
	s_delay_alu instid0(SALU_CYCLE_1) | instskip(SKIP_1) | instid1(SALU_CYCLE_1)
	s_cmp_lg_u32 s7, 0x2710
	s_cselect_b32 s10, -1, 0
	s_and_b32 vcc_lo, exec_lo, s10
	s_cbranch_vccz .LBB6_9774
; %bb.9773:                             ;   in Loop: Header=BB6_9772 Depth=1
	s_mov_b32 s12, -1
	s_or_b32 s6, s6, exec_lo
	s_and_saveexec_b32 s11, s10
	s_cbranch_execz .LBB6_9771
	s_branch .LBB6_9775
.LBB6_9774:                             ;   in Loop: Header=BB6_9772 Depth=1
	s_trap 2
	ds_load_b64 v[2:3], v0
	s_and_not1_b32 s10, s10, exec_lo
	s_mov_b32 s7, 0
	s_wait_loadcnt_dscnt 0x0
	flat_load_b32 v2, v[2:3] scope:SCOPE_SYS
	s_wait_loadcnt_dscnt 0x0
	global_inv scope:SCOPE_SYS
	v_cmp_eq_u32_e32 vcc_lo, 0, v2
	s_and_b32 s11, vcc_lo, exec_lo
	s_delay_alu instid0(SALU_CYCLE_1)
	s_or_b32 s10, s10, s11
	s_mov_b32 s12, -1
	s_or_b32 s6, s6, exec_lo
	s_and_saveexec_b32 s11, s10
	s_cbranch_execz .LBB6_9771
.LBB6_9775:                             ;   in Loop: Header=BB6_9772 Depth=1
	s_sleep 1
	s_trap 2
	ds_load_b64 v[2:3], v0
	s_wait_dscnt 0x0
	s_and_not1_b32 s6, s6, exec_lo
	v_cmp_ge_u64_e32 vcc_lo, v[2:3], v[0:1]
	s_or_not1_b32 s12, vcc_lo, exec_lo
	s_branch .LBB6_9771
.LBB6_9776:
	s_or_b32 exec_lo, exec_lo, s4
	s_and_saveexec_b32 s4, s5
	s_delay_alu instid0(SALU_CYCLE_1)
	s_xor_b32 s4, exec_lo, s4
	s_cbranch_execz .LBB6_9778
; %bb.9777:
	v_mov_b32_e32 v0, 1
	ds_store_b32 v0, v0
	s_trap 2
.LBB6_9778:
	s_or_b32 exec_lo, exec_lo, s3
	;;#ASMSTART
	s_wakeup
	;;#ASMEND
.LBB6_9779:
	s_or_b32 exec_lo, exec_lo, s2
.LBB6_9780:
	s_and_not1_saveexec_b32 s0, s0
	s_cbranch_execz .LBB6_9782
; %bb.9781:
	global_wb scope:SCOPE_DEV
	s_wait_storecnt 0x0
	s_wait_loadcnt_dscnt 0x0
	global_inv scope:SCOPE_DEV
	s_barrier_signal -1
	s_barrier_wait -1
.LBB6_9782:
	s_or_b32 exec_lo, exec_lo, s1
.LBB6_9783:
	s_and_not1_saveexec_b32 s21, s14
	s_cbranch_execz .LBB6_9785
; %bb.9784:
	s_get_pc_i64 s[0:1]
	s_add_nc_u64 s[0:1], s[0:1], __PRETTY_FUNCTION__._ZN10PrimitivesI14__hip_fp8_e5m28FuncProdIS0_E12FanSymmetricILi1EELi0E11ProtoSimpleILi1ELi1ELi0ELi4ELi0ELi0EELi0ELb0ELi0ELi0ELi0EEC2EiiPKiS9_PKvPvmhhhP15ncclDevWorkCollP14ncclDevWorkP2pii@rel64+4
	s_get_pc_i64 s[2:3]
	s_add_nc_u64 s[2:3], s[2:3], __assert_fail@rel64+4
	v_dual_mov_b32 v0, s0 :: v_dual_mov_b32 v1, s1
	s_swap_pc_i64 s[30:31], s[2:3]
	; divergent unreachable
.LBB6_9785:
	s_or_b32 exec_lo, exec_lo, s21
	s_clause 0x14
	scratch_load_b32 v126, off, s33
	scratch_load_b32 v125, off, s33 offset:4
	scratch_load_b32 v124, off, s33 offset:8
	;; [unrolled: 1-line block ×20, first 2 shown]
	s_wait_dscnt 0x1
	s_clause 0x3
	scratch_load_b32 v89, off, s33 offset:84
	scratch_load_b32 v88, off, s33 offset:88
	;; [unrolled: 1-line block ×4, first 2 shown]
	s_wait_loadcnt 0x19
	s_clause 0x5
	scratch_load_b32 v77, off, s33 offset:100
	scratch_load_b32 v76, off, s33 offset:104
	scratch_load_b32 v75, off, s33 offset:108
	scratch_load_b32 v74, off, s33 offset:112
	scratch_load_b32 v73, off, s33 offset:116
	scratch_load_b32 v72, off, s33 offset:120
	s_wait_dscnt 0x0
	s_clause 0xf
	scratch_load_b32 v63, off, s33 offset:124
	scratch_load_b32 v62, off, s33 offset:128
	;; [unrolled: 1-line block ×16, first 2 shown]
	v_readlane_b32 s30, v127, 0
	v_readlane_b32 s31, v127, 1
	s_mov_b32 s32, s33
	s_wait_xcnt 0x0
	s_or_saveexec_b32 s0, -1
	scratch_load_b32 v127, off, s33 offset:476 ; 4-byte Folded Reload
	s_wait_xcnt 0x0
	s_mov_b32 exec_lo, s0
	s_mov_b32 s33, s45
	s_wait_loadcnt 0x0
	s_set_pc_i64 s[30:31]
.Lfunc_end6:
	.size	_ZN12_GLOBAL__N_17runRingI14__hip_fp8_e5m28FuncProdIS1_E11ProtoSimpleILi1ELi1ELi0ELi4ELi0ELi0EELi0ELi4ELi0EEEviiP15ncclDevWorkColl, .Lfunc_end6-_ZN12_GLOBAL__N_17runRingI14__hip_fp8_e5m28FuncProdIS1_E11ProtoSimpleILi1ELi1ELi0ELi4ELi0ELi0EELi0ELi4ELi0EEEviiP15ncclDevWorkColl
                                        ; -- End function
	.set .L_ZN12_GLOBAL__N_17runRingI14__hip_fp8_e5m28FuncProdIS1_E11ProtoSimpleILi1ELi1ELi0ELi4ELi0ELi0EELi0ELi4ELi0EEEviiP15ncclDevWorkColl.num_vgpr, max(128, .L__assert_fail.num_vgpr)
	.set .L_ZN12_GLOBAL__N_17runRingI14__hip_fp8_e5m28FuncProdIS1_E11ProtoSimpleILi1ELi1ELi0ELi4ELi0ELi0EELi0ELi4ELi0EEEviiP15ncclDevWorkColl.num_agpr, max(0, .L__assert_fail.num_agpr)
	.set .L_ZN12_GLOBAL__N_17runRingI14__hip_fp8_e5m28FuncProdIS1_E11ProtoSimpleILi1ELi1ELi0ELi4ELi0ELi0EELi0ELi4ELi0EEEviiP15ncclDevWorkColl.numbered_sgpr, max(46, .L__assert_fail.numbered_sgpr)
	.set .L_ZN12_GLOBAL__N_17runRingI14__hip_fp8_e5m28FuncProdIS1_E11ProtoSimpleILi1ELi1ELi0ELi4ELi0ELi0EELi0ELi4ELi0EEEviiP15ncclDevWorkColl.num_named_barrier, max(0, .L__assert_fail.num_named_barrier)
	.set .L_ZN12_GLOBAL__N_17runRingI14__hip_fp8_e5m28FuncProdIS1_E11ProtoSimpleILi1ELi1ELi0ELi4ELi0ELi0EELi0ELi4ELi0EEEviiP15ncclDevWorkColl.private_seg_size, 496+max(.L__assert_fail.private_seg_size)
	.set .L_ZN12_GLOBAL__N_17runRingI14__hip_fp8_e5m28FuncProdIS1_E11ProtoSimpleILi1ELi1ELi0ELi4ELi0ELi0EELi0ELi4ELi0EEEviiP15ncclDevWorkColl.uses_vcc, or(1, .L__assert_fail.uses_vcc)
	.set .L_ZN12_GLOBAL__N_17runRingI14__hip_fp8_e5m28FuncProdIS1_E11ProtoSimpleILi1ELi1ELi0ELi4ELi0ELi0EELi0ELi4ELi0EEEviiP15ncclDevWorkColl.uses_flat_scratch, or(1, .L__assert_fail.uses_flat_scratch)
	.set .L_ZN12_GLOBAL__N_17runRingI14__hip_fp8_e5m28FuncProdIS1_E11ProtoSimpleILi1ELi1ELi0ELi4ELi0ELi0EELi0ELi4ELi0EEEviiP15ncclDevWorkColl.has_dyn_sized_stack, or(0, .L__assert_fail.has_dyn_sized_stack)
	.set .L_ZN12_GLOBAL__N_17runRingI14__hip_fp8_e5m28FuncProdIS1_E11ProtoSimpleILi1ELi1ELi0ELi4ELi0ELi0EELi0ELi4ELi0EEEviiP15ncclDevWorkColl.has_recursion, or(1, .L__assert_fail.has_recursion)
	.set .L_ZN12_GLOBAL__N_17runRingI14__hip_fp8_e5m28FuncProdIS1_E11ProtoSimpleILi1ELi1ELi0ELi4ELi0ELi0EELi0ELi4ELi0EEEviiP15ncclDevWorkColl.has_indirect_call, or(0, .L__assert_fail.has_indirect_call)
	.section	.AMDGPU.csdata,"",@progbits
; Function info:
; codeLenInByte = 281916
; TotalNumSgprs: 48
; NumVgprs: 128
; ScratchSize: 560
; MemoryBound: 1
	.text
	.p2align	2                               ; -- Begin function _Z48ncclDevFunc_Reduce_RING_SIMPLE_Prod_f8e5m2_0_0_4v
	.type	_Z48ncclDevFunc_Reduce_RING_SIMPLE_Prod_f8e5m2_0_0_4v,@function
_Z48ncclDevFunc_Reduce_RING_SIMPLE_Prod_f8e5m2_0_0_4v: ; @_Z48ncclDevFunc_Reduce_RING_SIMPLE_Prod_f8e5m2_0_0_4v
; %bb.0:
	s_wait_loadcnt_dscnt 0x0
	s_wait_kmcnt 0x0
	s_mov_b32 s61, s33
	s_mov_b32 s33, s32
	s_or_saveexec_b32 s0, -1
	scratch_store_b32 off, v42, s33 offset:12 ; 4-byte Folded Spill
	s_wait_xcnt 0x0
	s_mov_b32 exec_lo, s0
	s_add_co_i32 s32, s32, 32
	s_clause 0x2
	scratch_store_b32 off, v40, s33 offset:8
	; meta instruction
	scratch_store_b32 off, v41, s33 offset:4
	; meta instruction
	scratch_store_b32 off, v127, s33
	v_writelane_b32 v42, s30, 0
	v_writelane_b32 v42, s31, 1
	s_trap 2
	ds_load_b32 v0, v0
	s_wait_xcnt 0x2
	v_mov_b32_e32 v40, v31
	s_wait_dscnt 0x0
	v_cmp_gt_i32_e32 vcc_lo, 1, v0
	s_cbranch_vccnz .LBB7_8
; %bb.1:
	s_wait_xcnt 0x1
	v_and_b32_e32 v41, 0x3ff, v40
	s_mov_b32 s56, s12
	s_mov_b64 s[46:47], s[8:9]
	s_mov_b32 s57, 0
	s_get_pc_i64 s[58:59]
	s_add_nc_u64 s[58:59], s[58:59], _ZN12_GLOBAL__N_17runRingI14__hip_fp8_e5m28FuncProdIS1_E11ProtoSimpleILi1ELi1ELi0ELi4ELi0ELi0EELi0ELi4ELi0EEEviiP15ncclDevWorkColl@rel64+4
	s_branch .LBB7_3
.LBB7_2:                                ;   in Loop: Header=BB7_3 Depth=1
	s_or_b32 exec_lo, exec_lo, s60
	s_trap 2
	ds_load_b32 v0, v0
	s_add_co_i32 s57, s57, 1
	s_wait_dscnt 0x0
	v_cmp_lt_i32_e32 vcc_lo, s57, v0
	s_cbranch_vccz .LBB7_8
.LBB7_3:                                ; =>This Inner Loop Header: Depth=1
	s_trap 2
	ds_load_b32 v0, v0
	s_cmp_eq_u32 s57, 0
	s_cbranch_scc1 .LBB7_6
; %bb.4:                                ;   in Loop: Header=BB7_3 Depth=1
	s_trap 2
	s_wait_dscnt 0x0
	ds_load_b32 v1, v0
	s_wait_dscnt 0x0
	v_xor_b32_e32 v1, v1, v0
	s_delay_alu instid0(VALU_DEP_1) | instskip(NEXT) | instid1(VALU_DEP_1)
	v_and_b32_e32 v1, 0xff0000, v1
	v_cmp_eq_u32_e32 vcc_lo, 0, v1
	s_cbranch_vccnz .LBB7_6
; %bb.5:                                ;   in Loop: Header=BB7_3 Depth=1
	s_wait_storecnt 0x0
	s_barrier_signal -1
	s_barrier_wait -1
	ds_load_b32 v0, v0
.LBB7_6:                                ;   in Loop: Header=BB7_3 Depth=1
	s_wait_dscnt 0x0
	v_lshrrev_b32_e32 v0, 11, v0
	s_mov_b32 s60, exec_lo
	s_delay_alu instid0(VALU_DEP_1) | instskip(SKIP_1) | instid1(VALU_DEP_1)
	v_and_b32_e32 v1, 0x1fe0, v0
	s_wait_xcnt 0x0
	v_cmpx_lt_u32_e64 v41, v1
	s_cbranch_execz .LBB7_2
; %bb.7:                                ;   in Loop: Header=BB7_3 Depth=1
	s_mov_b64 s[0:1], src_shared_base
	v_dual_mov_b32 v31, v40 :: v_dual_mov_b32 v0, v41
	v_mov_b32_e32 v3, s1
	s_mov_b64 s[8:9], s[46:47]
	s_mov_b32 s12, s56
	s_swap_pc_i64 s[30:31], s[58:59]
	s_branch .LBB7_2
.LBB7_8:
	s_clause 0x2
	scratch_load_b32 v127, off, s33
	scratch_load_b32 v41, off, s33 offset:4
	scratch_load_b32 v40, off, s33 offset:8
	v_readlane_b32 s30, v42, 0
	v_readlane_b32 s31, v42, 1
	s_mov_b32 s32, s33
	s_wait_xcnt 0x0
	s_or_saveexec_b32 s0, -1
	scratch_load_b32 v42, off, s33 offset:12 ; 4-byte Folded Reload
	s_wait_xcnt 0x0
	s_mov_b32 exec_lo, s0
	s_mov_b32 s33, s61
	s_wait_loadcnt 0x0
	s_set_pc_i64 s[30:31]
.Lfunc_end7:
	.size	_Z48ncclDevFunc_Reduce_RING_SIMPLE_Prod_f8e5m2_0_0_4v, .Lfunc_end7-_Z48ncclDevFunc_Reduce_RING_SIMPLE_Prod_f8e5m2_0_0_4v
                                        ; -- End function
	.set .L_Z48ncclDevFunc_Reduce_RING_SIMPLE_Prod_f8e5m2_0_0_4v.num_vgpr, max(128, .L_ZN12_GLOBAL__N_17runRingI14__hip_fp8_e5m28FuncProdIS1_E11ProtoSimpleILi1ELi1ELi0ELi4ELi0ELi0EELi0ELi4ELi0EEEviiP15ncclDevWorkColl.num_vgpr)
	.set .L_Z48ncclDevFunc_Reduce_RING_SIMPLE_Prod_f8e5m2_0_0_4v.num_agpr, max(0, .L_ZN12_GLOBAL__N_17runRingI14__hip_fp8_e5m28FuncProdIS1_E11ProtoSimpleILi1ELi1ELi0ELi4ELi0ELi0EELi0ELi4ELi0EEEviiP15ncclDevWorkColl.num_agpr)
	.set .L_Z48ncclDevFunc_Reduce_RING_SIMPLE_Prod_f8e5m2_0_0_4v.numbered_sgpr, max(62, .L_ZN12_GLOBAL__N_17runRingI14__hip_fp8_e5m28FuncProdIS1_E11ProtoSimpleILi1ELi1ELi0ELi4ELi0ELi0EELi0ELi4ELi0EEEviiP15ncclDevWorkColl.numbered_sgpr)
	.set .L_Z48ncclDevFunc_Reduce_RING_SIMPLE_Prod_f8e5m2_0_0_4v.num_named_barrier, max(0, .L_ZN12_GLOBAL__N_17runRingI14__hip_fp8_e5m28FuncProdIS1_E11ProtoSimpleILi1ELi1ELi0ELi4ELi0ELi0EELi0ELi4ELi0EEEviiP15ncclDevWorkColl.num_named_barrier)
	.set .L_Z48ncclDevFunc_Reduce_RING_SIMPLE_Prod_f8e5m2_0_0_4v.private_seg_size, 32+max(.L_ZN12_GLOBAL__N_17runRingI14__hip_fp8_e5m28FuncProdIS1_E11ProtoSimpleILi1ELi1ELi0ELi4ELi0ELi0EELi0ELi4ELi0EEEviiP15ncclDevWorkColl.private_seg_size)
	.set .L_Z48ncclDevFunc_Reduce_RING_SIMPLE_Prod_f8e5m2_0_0_4v.uses_vcc, or(1, .L_ZN12_GLOBAL__N_17runRingI14__hip_fp8_e5m28FuncProdIS1_E11ProtoSimpleILi1ELi1ELi0ELi4ELi0ELi0EELi0ELi4ELi0EEEviiP15ncclDevWorkColl.uses_vcc)
	.set .L_Z48ncclDevFunc_Reduce_RING_SIMPLE_Prod_f8e5m2_0_0_4v.uses_flat_scratch, or(1, .L_ZN12_GLOBAL__N_17runRingI14__hip_fp8_e5m28FuncProdIS1_E11ProtoSimpleILi1ELi1ELi0ELi4ELi0ELi0EELi0ELi4ELi0EEEviiP15ncclDevWorkColl.uses_flat_scratch)
	.set .L_Z48ncclDevFunc_Reduce_RING_SIMPLE_Prod_f8e5m2_0_0_4v.has_dyn_sized_stack, or(0, .L_ZN12_GLOBAL__N_17runRingI14__hip_fp8_e5m28FuncProdIS1_E11ProtoSimpleILi1ELi1ELi0ELi4ELi0ELi0EELi0ELi4ELi0EEEviiP15ncclDevWorkColl.has_dyn_sized_stack)
	.set .L_Z48ncclDevFunc_Reduce_RING_SIMPLE_Prod_f8e5m2_0_0_4v.has_recursion, or(1, .L_ZN12_GLOBAL__N_17runRingI14__hip_fp8_e5m28FuncProdIS1_E11ProtoSimpleILi1ELi1ELi0ELi4ELi0ELi0EELi0ELi4ELi0EEEviiP15ncclDevWorkColl.has_recursion)
	.set .L_Z48ncclDevFunc_Reduce_RING_SIMPLE_Prod_f8e5m2_0_0_4v.has_indirect_call, or(0, .L_ZN12_GLOBAL__N_17runRingI14__hip_fp8_e5m28FuncProdIS1_E11ProtoSimpleILi1ELi1ELi0ELi4ELi0ELi0EELi0ELi4ELi0EEEviiP15ncclDevWorkColl.has_indirect_call)
	.section	.AMDGPU.csdata,"",@progbits
; Function info:
; codeLenInByte = 464
; TotalNumSgprs: 64
; NumVgprs: 128
; ScratchSize: 592
; MemoryBound: 0
	.text
	.p2alignl 7, 3214868480
	.fill 96, 4, 3214868480
	.section	.AMDGPU.gpr_maximums,"",@progbits
	.set amdgpu.max_num_vgpr, 128
	.set amdgpu.max_num_agpr, 0
	.set amdgpu.max_num_sgpr, 62
	.text
	.type	__const.__assert_fail.fmt,@object ; @__const.__assert_fail.fmt
	.section	.rodata.str1.16,"aMS",@progbits,1
	.p2align	4, 0x0
__const.__assert_fail.fmt:
	.asciz	"%s:%u: %s: Device-side assertion `%s' failed.\n"
	.size	__const.__assert_fail.fmt, 47

	.type	.str.3,@object                  ; @.str.3
	.section	.rodata.str1.1,"aMS",@progbits,1
.str.3:
	.asciz	"2*(nrecv+nsend) <= nthreads"
	.size	.str.3, 28

	.type	.str.4,@object                  ; @.str.4
.str.4:
	.asciz	"/root/src/amdgpu-assembly/repos/ROCm__rccl/hipify/src/device/prims_simple.h"
	.size	.str.4, 76

	.type	__PRETTY_FUNCTION__._ZN10PrimitivesI14__hip_fp8_e5m28FuncProdIS0_E12FanSymmetricILi1EELi0E11ProtoSimpleILi1ELi1ELi0ELi1ELi0ELi0EELi0ELb0ELi0ELi0ELi0EEC2EiiPKiS9_PKvPvmhhhP15ncclDevWorkCollP14ncclDevWorkP2pii,@object ; @__PRETTY_FUNCTION__._ZN10PrimitivesI14__hip_fp8_e5m28FuncProdIS0_E12FanSymmetricILi1EELi0E11ProtoSimpleILi1ELi1ELi0ELi1ELi0ELi0EELi0ELb0ELi0ELi0ELi0EEC2EiiPKiS9_PKvPvmhhhP15ncclDevWorkCollP14ncclDevWorkP2pii
__PRETTY_FUNCTION__._ZN10PrimitivesI14__hip_fp8_e5m28FuncProdIS0_E12FanSymmetricILi1EELi0E11ProtoSimpleILi1ELi1ELi0ELi1ELi0ELi0EELi0ELb0ELi0ELi0ELi0EEC2EiiPKiS9_PKvPvmhhhP15ncclDevWorkCollP14ncclDevWorkP2pii:
	.asciz	"Primitives<__hip_fp8_e5m2, FuncProd<__hip_fp8_e5m2>, FanSymmetric<1>, 0, ProtoSimple<1, 1, 0, 1>, 0>::Primitives(int, int, const int *, const int *, const void *, void *, uint64_t, uint8_t, uint8_t, uint8_t, struct ncclDevWorkColl *, struct ncclDevWorkP2p *, int, int) [T = __hip_fp8_e5m2, RedOp = FuncProd<__hip_fp8_e5m2>, Fan = FanSymmetric<1>, Direct = 0, Proto = ProtoSimple<1, 1, 0, 1>, P2p = 0, isNetOffload = false, Metadata = 0, Pipeline = 0, useAcc = 0]"
	.size	__PRETTY_FUNCTION__._ZN10PrimitivesI14__hip_fp8_e5m28FuncProdIS0_E12FanSymmetricILi1EELi0E11ProtoSimpleILi1ELi1ELi0ELi1ELi0ELi0EELi0ELb0ELi0ELi0ELi0EEC2EiiPKiS9_PKvPvmhhhP15ncclDevWorkCollP14ncclDevWorkP2pii, 463

	.type	__PRETTY_FUNCTION__._ZN10PrimitivesI14__hip_fp8_e5m28FuncProdIS0_E12FanSymmetricILi1EELi0E11ProtoSimpleILi1ELi1ELi0ELi2ELi0ELi0EELi0ELb0ELi0ELi0ELi0EEC2EiiPKiS9_PKvPvmhhhP15ncclDevWorkCollP14ncclDevWorkP2pii,@object ; @__PRETTY_FUNCTION__._ZN10PrimitivesI14__hip_fp8_e5m28FuncProdIS0_E12FanSymmetricILi1EELi0E11ProtoSimpleILi1ELi1ELi0ELi2ELi0ELi0EELi0ELb0ELi0ELi0ELi0EEC2EiiPKiS9_PKvPvmhhhP15ncclDevWorkCollP14ncclDevWorkP2pii
__PRETTY_FUNCTION__._ZN10PrimitivesI14__hip_fp8_e5m28FuncProdIS0_E12FanSymmetricILi1EELi0E11ProtoSimpleILi1ELi1ELi0ELi2ELi0ELi0EELi0ELb0ELi0ELi0ELi0EEC2EiiPKiS9_PKvPvmhhhP15ncclDevWorkCollP14ncclDevWorkP2pii:
	.asciz	"Primitives<__hip_fp8_e5m2, FuncProd<__hip_fp8_e5m2>, FanSymmetric<1>, 0, ProtoSimple<1, 1, 0, 2>, 0>::Primitives(int, int, const int *, const int *, const void *, void *, uint64_t, uint8_t, uint8_t, uint8_t, struct ncclDevWorkColl *, struct ncclDevWorkP2p *, int, int) [T = __hip_fp8_e5m2, RedOp = FuncProd<__hip_fp8_e5m2>, Fan = FanSymmetric<1>, Direct = 0, Proto = ProtoSimple<1, 1, 0, 2>, P2p = 0, isNetOffload = false, Metadata = 0, Pipeline = 0, useAcc = 0]"
	.size	__PRETTY_FUNCTION__._ZN10PrimitivesI14__hip_fp8_e5m28FuncProdIS0_E12FanSymmetricILi1EELi0E11ProtoSimpleILi1ELi1ELi0ELi2ELi0ELi0EELi0ELb0ELi0ELi0ELi0EEC2EiiPKiS9_PKvPvmhhhP15ncclDevWorkCollP14ncclDevWorkP2pii, 463

	.type	__PRETTY_FUNCTION__._ZN10PrimitivesI14__hip_fp8_e5m28FuncProdIS0_E12FanSymmetricILi1EELi0E11ProtoSimpleILi1ELi1ELi0ELi4ELi0ELi0EELi0ELb0ELi0ELi0ELi0EEC2EiiPKiS9_PKvPvmhhhP15ncclDevWorkCollP14ncclDevWorkP2pii,@object ; @__PRETTY_FUNCTION__._ZN10PrimitivesI14__hip_fp8_e5m28FuncProdIS0_E12FanSymmetricILi1EELi0E11ProtoSimpleILi1ELi1ELi0ELi4ELi0ELi0EELi0ELb0ELi0ELi0ELi0EEC2EiiPKiS9_PKvPvmhhhP15ncclDevWorkCollP14ncclDevWorkP2pii
__PRETTY_FUNCTION__._ZN10PrimitivesI14__hip_fp8_e5m28FuncProdIS0_E12FanSymmetricILi1EELi0E11ProtoSimpleILi1ELi1ELi0ELi4ELi0ELi0EELi0ELb0ELi0ELi0ELi0EEC2EiiPKiS9_PKvPvmhhhP15ncclDevWorkCollP14ncclDevWorkP2pii:
	.asciz	"Primitives<__hip_fp8_e5m2, FuncProd<__hip_fp8_e5m2>, FanSymmetric<1>, 0, ProtoSimple<1, 1, 0, 4>, 0>::Primitives(int, int, const int *, const int *, const void *, void *, uint64_t, uint8_t, uint8_t, uint8_t, struct ncclDevWorkColl *, struct ncclDevWorkP2p *, int, int) [T = __hip_fp8_e5m2, RedOp = FuncProd<__hip_fp8_e5m2>, Fan = FanSymmetric<1>, Direct = 0, Proto = ProtoSimple<1, 1, 0, 4>, P2p = 0, isNetOffload = false, Metadata = 0, Pipeline = 0, useAcc = 0]"
	.size	__PRETTY_FUNCTION__._ZN10PrimitivesI14__hip_fp8_e5m28FuncProdIS0_E12FanSymmetricILi1EELi0E11ProtoSimpleILi1ELi1ELi0ELi4ELi0ELi0EELi0ELb0ELi0ELi0ELi0EEC2EiiPKiS9_PKvPvmhhhP15ncclDevWorkCollP14ncclDevWorkP2pii, 463

	.type	__hip_cuid_df682f3355931021,@object ; @__hip_cuid_df682f3355931021
	.section	.bss,"aw",@nobits
	.globl	__hip_cuid_df682f3355931021
__hip_cuid_df682f3355931021:
	.byte	0                               ; 0x0
	.size	__hip_cuid_df682f3355931021, 1

	.ident	"AMD clang version 22.0.0git (https://github.com/RadeonOpenCompute/llvm-project roc-7.2.4 26084 f58b06dce1f9c15707c5f808fd002e18c2accf7e)"
	.section	".note.GNU-stack","",@progbits
	.addrsig
	.addrsig_sym _Z48ncclDevFunc_Reduce_RING_SIMPLE_Prod_f8e5m2_0_0_1v
	.addrsig_sym _Z48ncclDevFunc_Reduce_RING_SIMPLE_Prod_f8e5m2_0_0_2v
	.addrsig_sym _Z48ncclDevFunc_Reduce_RING_SIMPLE_Prod_f8e5m2_0_0_4v
	.addrsig_sym ncclShmem
	.addrsig_sym __hip_cuid_df682f3355931021
	.amdgpu_metadata
---
amdhsa.kernels:  []
amdhsa.target:   amdgcn-amd-amdhsa--gfx1250
amdhsa.version:
  - 1
  - 2
...

	.end_amdgpu_metadata
